;; amdgpu-corpus repo=ROCm/hipCUB kind=compiled arch=gfx1100 opt=O3
	.text
	.amdgcn_target "amdgcn-amd-amdhsa--gfx1100"
	.amdhsa_code_object_version 6
	.section	.text._Z26warp_inclusive_scan_kernelIfLj1ELj61EENSt9enable_ifIXntsr10test_utilsE35device_test_enabled_for_warp_size_vIXT1_EEEvE4typeEPT_S4_,"axG",@progbits,_Z26warp_inclusive_scan_kernelIfLj1ELj61EENSt9enable_ifIXntsr10test_utilsE35device_test_enabled_for_warp_size_vIXT1_EEEvE4typeEPT_S4_,comdat
	.protected	_Z26warp_inclusive_scan_kernelIfLj1ELj61EENSt9enable_ifIXntsr10test_utilsE35device_test_enabled_for_warp_size_vIXT1_EEEvE4typeEPT_S4_ ; -- Begin function _Z26warp_inclusive_scan_kernelIfLj1ELj61EENSt9enable_ifIXntsr10test_utilsE35device_test_enabled_for_warp_size_vIXT1_EEEvE4typeEPT_S4_
	.globl	_Z26warp_inclusive_scan_kernelIfLj1ELj61EENSt9enable_ifIXntsr10test_utilsE35device_test_enabled_for_warp_size_vIXT1_EEEvE4typeEPT_S4_
	.p2align	8
	.type	_Z26warp_inclusive_scan_kernelIfLj1ELj61EENSt9enable_ifIXntsr10test_utilsE35device_test_enabled_for_warp_size_vIXT1_EEEvE4typeEPT_S4_,@function
_Z26warp_inclusive_scan_kernelIfLj1ELj61EENSt9enable_ifIXntsr10test_utilsE35device_test_enabled_for_warp_size_vIXT1_EEEvE4typeEPT_S4_: ; @_Z26warp_inclusive_scan_kernelIfLj1ELj61EENSt9enable_ifIXntsr10test_utilsE35device_test_enabled_for_warp_size_vIXT1_EEEvE4typeEPT_S4_
; %bb.0:
	s_endpgm
	.section	.rodata,"a",@progbits
	.p2align	6, 0x0
	.amdhsa_kernel _Z26warp_inclusive_scan_kernelIfLj1ELj61EENSt9enable_ifIXntsr10test_utilsE35device_test_enabled_for_warp_size_vIXT1_EEEvE4typeEPT_S4_
		.amdhsa_group_segment_fixed_size 0
		.amdhsa_private_segment_fixed_size 0
		.amdhsa_kernarg_size 16
		.amdhsa_user_sgpr_count 15
		.amdhsa_user_sgpr_dispatch_ptr 0
		.amdhsa_user_sgpr_queue_ptr 0
		.amdhsa_user_sgpr_kernarg_segment_ptr 1
		.amdhsa_user_sgpr_dispatch_id 0
		.amdhsa_user_sgpr_private_segment_size 0
		.amdhsa_wavefront_size32 1
		.amdhsa_uses_dynamic_stack 0
		.amdhsa_enable_private_segment 0
		.amdhsa_system_sgpr_workgroup_id_x 1
		.amdhsa_system_sgpr_workgroup_id_y 0
		.amdhsa_system_sgpr_workgroup_id_z 0
		.amdhsa_system_sgpr_workgroup_info 0
		.amdhsa_system_vgpr_workitem_id 0
		.amdhsa_next_free_vgpr 1
		.amdhsa_next_free_sgpr 1
		.amdhsa_reserve_vcc 0
		.amdhsa_float_round_mode_32 0
		.amdhsa_float_round_mode_16_64 0
		.amdhsa_float_denorm_mode_32 3
		.amdhsa_float_denorm_mode_16_64 3
		.amdhsa_dx10_clamp 1
		.amdhsa_ieee_mode 1
		.amdhsa_fp16_overflow 0
		.amdhsa_workgroup_processor_mode 1
		.amdhsa_memory_ordered 1
		.amdhsa_forward_progress 0
		.amdhsa_shared_vgpr_count 0
		.amdhsa_exception_fp_ieee_invalid_op 0
		.amdhsa_exception_fp_denorm_src 0
		.amdhsa_exception_fp_ieee_div_zero 0
		.amdhsa_exception_fp_ieee_overflow 0
		.amdhsa_exception_fp_ieee_underflow 0
		.amdhsa_exception_fp_ieee_inexact 0
		.amdhsa_exception_int_div_zero 0
	.end_amdhsa_kernel
	.section	.text._Z26warp_inclusive_scan_kernelIfLj1ELj61EENSt9enable_ifIXntsr10test_utilsE35device_test_enabled_for_warp_size_vIXT1_EEEvE4typeEPT_S4_,"axG",@progbits,_Z26warp_inclusive_scan_kernelIfLj1ELj61EENSt9enable_ifIXntsr10test_utilsE35device_test_enabled_for_warp_size_vIXT1_EEEvE4typeEPT_S4_,comdat
.Lfunc_end0:
	.size	_Z26warp_inclusive_scan_kernelIfLj1ELj61EENSt9enable_ifIXntsr10test_utilsE35device_test_enabled_for_warp_size_vIXT1_EEEvE4typeEPT_S4_, .Lfunc_end0-_Z26warp_inclusive_scan_kernelIfLj1ELj61EENSt9enable_ifIXntsr10test_utilsE35device_test_enabled_for_warp_size_vIXT1_EEEvE4typeEPT_S4_
                                        ; -- End function
	.section	.AMDGPU.csdata,"",@progbits
; Kernel info:
; codeLenInByte = 4
; NumSgprs: 0
; NumVgprs: 0
; ScratchSize: 0
; MemoryBound: 0
; FloatMode: 240
; IeeeMode: 1
; LDSByteSize: 0 bytes/workgroup (compile time only)
; SGPRBlocks: 0
; VGPRBlocks: 0
; NumSGPRsForWavesPerEU: 1
; NumVGPRsForWavesPerEU: 1
; Occupancy: 16
; WaveLimiterHint : 0
; COMPUTE_PGM_RSRC2:SCRATCH_EN: 0
; COMPUTE_PGM_RSRC2:USER_SGPR: 15
; COMPUTE_PGM_RSRC2:TRAP_HANDLER: 0
; COMPUTE_PGM_RSRC2:TGID_X_EN: 1
; COMPUTE_PGM_RSRC2:TGID_Y_EN: 0
; COMPUTE_PGM_RSRC2:TGID_Z_EN: 0
; COMPUTE_PGM_RSRC2:TIDIG_COMP_CNT: 0
	.section	.text._Z26warp_inclusive_scan_kernelIfLj61ELj61EENSt9enable_ifIXntsr10test_utilsE35device_test_enabled_for_warp_size_vIXT1_EEEvE4typeEPT_S4_,"axG",@progbits,_Z26warp_inclusive_scan_kernelIfLj61ELj61EENSt9enable_ifIXntsr10test_utilsE35device_test_enabled_for_warp_size_vIXT1_EEEvE4typeEPT_S4_,comdat
	.protected	_Z26warp_inclusive_scan_kernelIfLj61ELj61EENSt9enable_ifIXntsr10test_utilsE35device_test_enabled_for_warp_size_vIXT1_EEEvE4typeEPT_S4_ ; -- Begin function _Z26warp_inclusive_scan_kernelIfLj61ELj61EENSt9enable_ifIXntsr10test_utilsE35device_test_enabled_for_warp_size_vIXT1_EEEvE4typeEPT_S4_
	.globl	_Z26warp_inclusive_scan_kernelIfLj61ELj61EENSt9enable_ifIXntsr10test_utilsE35device_test_enabled_for_warp_size_vIXT1_EEEvE4typeEPT_S4_
	.p2align	8
	.type	_Z26warp_inclusive_scan_kernelIfLj61ELj61EENSt9enable_ifIXntsr10test_utilsE35device_test_enabled_for_warp_size_vIXT1_EEEvE4typeEPT_S4_,@function
_Z26warp_inclusive_scan_kernelIfLj61ELj61EENSt9enable_ifIXntsr10test_utilsE35device_test_enabled_for_warp_size_vIXT1_EEEvE4typeEPT_S4_: ; @_Z26warp_inclusive_scan_kernelIfLj61ELj61EENSt9enable_ifIXntsr10test_utilsE35device_test_enabled_for_warp_size_vIXT1_EEEvE4typeEPT_S4_
; %bb.0:
	s_endpgm
	.section	.rodata,"a",@progbits
	.p2align	6, 0x0
	.amdhsa_kernel _Z26warp_inclusive_scan_kernelIfLj61ELj61EENSt9enable_ifIXntsr10test_utilsE35device_test_enabled_for_warp_size_vIXT1_EEEvE4typeEPT_S4_
		.amdhsa_group_segment_fixed_size 0
		.amdhsa_private_segment_fixed_size 0
		.amdhsa_kernarg_size 16
		.amdhsa_user_sgpr_count 15
		.amdhsa_user_sgpr_dispatch_ptr 0
		.amdhsa_user_sgpr_queue_ptr 0
		.amdhsa_user_sgpr_kernarg_segment_ptr 1
		.amdhsa_user_sgpr_dispatch_id 0
		.amdhsa_user_sgpr_private_segment_size 0
		.amdhsa_wavefront_size32 1
		.amdhsa_uses_dynamic_stack 0
		.amdhsa_enable_private_segment 0
		.amdhsa_system_sgpr_workgroup_id_x 1
		.amdhsa_system_sgpr_workgroup_id_y 0
		.amdhsa_system_sgpr_workgroup_id_z 0
		.amdhsa_system_sgpr_workgroup_info 0
		.amdhsa_system_vgpr_workitem_id 0
		.amdhsa_next_free_vgpr 1
		.amdhsa_next_free_sgpr 1
		.amdhsa_reserve_vcc 0
		.amdhsa_float_round_mode_32 0
		.amdhsa_float_round_mode_16_64 0
		.amdhsa_float_denorm_mode_32 3
		.amdhsa_float_denorm_mode_16_64 3
		.amdhsa_dx10_clamp 1
		.amdhsa_ieee_mode 1
		.amdhsa_fp16_overflow 0
		.amdhsa_workgroup_processor_mode 1
		.amdhsa_memory_ordered 1
		.amdhsa_forward_progress 0
		.amdhsa_shared_vgpr_count 0
		.amdhsa_exception_fp_ieee_invalid_op 0
		.amdhsa_exception_fp_denorm_src 0
		.amdhsa_exception_fp_ieee_div_zero 0
		.amdhsa_exception_fp_ieee_overflow 0
		.amdhsa_exception_fp_ieee_underflow 0
		.amdhsa_exception_fp_ieee_inexact 0
		.amdhsa_exception_int_div_zero 0
	.end_amdhsa_kernel
	.section	.text._Z26warp_inclusive_scan_kernelIfLj61ELj61EENSt9enable_ifIXntsr10test_utilsE35device_test_enabled_for_warp_size_vIXT1_EEEvE4typeEPT_S4_,"axG",@progbits,_Z26warp_inclusive_scan_kernelIfLj61ELj61EENSt9enable_ifIXntsr10test_utilsE35device_test_enabled_for_warp_size_vIXT1_EEEvE4typeEPT_S4_,comdat
.Lfunc_end1:
	.size	_Z26warp_inclusive_scan_kernelIfLj61ELj61EENSt9enable_ifIXntsr10test_utilsE35device_test_enabled_for_warp_size_vIXT1_EEEvE4typeEPT_S4_, .Lfunc_end1-_Z26warp_inclusive_scan_kernelIfLj61ELj61EENSt9enable_ifIXntsr10test_utilsE35device_test_enabled_for_warp_size_vIXT1_EEEvE4typeEPT_S4_
                                        ; -- End function
	.section	.AMDGPU.csdata,"",@progbits
; Kernel info:
; codeLenInByte = 4
; NumSgprs: 0
; NumVgprs: 0
; ScratchSize: 0
; MemoryBound: 0
; FloatMode: 240
; IeeeMode: 1
; LDSByteSize: 0 bytes/workgroup (compile time only)
; SGPRBlocks: 0
; VGPRBlocks: 0
; NumSGPRsForWavesPerEU: 1
; NumVGPRsForWavesPerEU: 1
; Occupancy: 16
; WaveLimiterHint : 0
; COMPUTE_PGM_RSRC2:SCRATCH_EN: 0
; COMPUTE_PGM_RSRC2:USER_SGPR: 15
; COMPUTE_PGM_RSRC2:TRAP_HANDLER: 0
; COMPUTE_PGM_RSRC2:TGID_X_EN: 1
; COMPUTE_PGM_RSRC2:TGID_Y_EN: 0
; COMPUTE_PGM_RSRC2:TGID_Z_EN: 0
; COMPUTE_PGM_RSRC2:TIDIG_COMP_CNT: 0
	.section	.text._Z26warp_inclusive_scan_kernelIfLj1ELj37EENSt9enable_ifIXntsr10test_utilsE35device_test_enabled_for_warp_size_vIXT1_EEEvE4typeEPT_S4_,"axG",@progbits,_Z26warp_inclusive_scan_kernelIfLj1ELj37EENSt9enable_ifIXntsr10test_utilsE35device_test_enabled_for_warp_size_vIXT1_EEEvE4typeEPT_S4_,comdat
	.protected	_Z26warp_inclusive_scan_kernelIfLj1ELj37EENSt9enable_ifIXntsr10test_utilsE35device_test_enabled_for_warp_size_vIXT1_EEEvE4typeEPT_S4_ ; -- Begin function _Z26warp_inclusive_scan_kernelIfLj1ELj37EENSt9enable_ifIXntsr10test_utilsE35device_test_enabled_for_warp_size_vIXT1_EEEvE4typeEPT_S4_
	.globl	_Z26warp_inclusive_scan_kernelIfLj1ELj37EENSt9enable_ifIXntsr10test_utilsE35device_test_enabled_for_warp_size_vIXT1_EEEvE4typeEPT_S4_
	.p2align	8
	.type	_Z26warp_inclusive_scan_kernelIfLj1ELj37EENSt9enable_ifIXntsr10test_utilsE35device_test_enabled_for_warp_size_vIXT1_EEEvE4typeEPT_S4_,@function
_Z26warp_inclusive_scan_kernelIfLj1ELj37EENSt9enable_ifIXntsr10test_utilsE35device_test_enabled_for_warp_size_vIXT1_EEEvE4typeEPT_S4_: ; @_Z26warp_inclusive_scan_kernelIfLj1ELj37EENSt9enable_ifIXntsr10test_utilsE35device_test_enabled_for_warp_size_vIXT1_EEEvE4typeEPT_S4_
; %bb.0:
	s_endpgm
	.section	.rodata,"a",@progbits
	.p2align	6, 0x0
	.amdhsa_kernel _Z26warp_inclusive_scan_kernelIfLj1ELj37EENSt9enable_ifIXntsr10test_utilsE35device_test_enabled_for_warp_size_vIXT1_EEEvE4typeEPT_S4_
		.amdhsa_group_segment_fixed_size 0
		.amdhsa_private_segment_fixed_size 0
		.amdhsa_kernarg_size 16
		.amdhsa_user_sgpr_count 15
		.amdhsa_user_sgpr_dispatch_ptr 0
		.amdhsa_user_sgpr_queue_ptr 0
		.amdhsa_user_sgpr_kernarg_segment_ptr 1
		.amdhsa_user_sgpr_dispatch_id 0
		.amdhsa_user_sgpr_private_segment_size 0
		.amdhsa_wavefront_size32 1
		.amdhsa_uses_dynamic_stack 0
		.amdhsa_enable_private_segment 0
		.amdhsa_system_sgpr_workgroup_id_x 1
		.amdhsa_system_sgpr_workgroup_id_y 0
		.amdhsa_system_sgpr_workgroup_id_z 0
		.amdhsa_system_sgpr_workgroup_info 0
		.amdhsa_system_vgpr_workitem_id 0
		.amdhsa_next_free_vgpr 1
		.amdhsa_next_free_sgpr 1
		.amdhsa_reserve_vcc 0
		.amdhsa_float_round_mode_32 0
		.amdhsa_float_round_mode_16_64 0
		.amdhsa_float_denorm_mode_32 3
		.amdhsa_float_denorm_mode_16_64 3
		.amdhsa_dx10_clamp 1
		.amdhsa_ieee_mode 1
		.amdhsa_fp16_overflow 0
		.amdhsa_workgroup_processor_mode 1
		.amdhsa_memory_ordered 1
		.amdhsa_forward_progress 0
		.amdhsa_shared_vgpr_count 0
		.amdhsa_exception_fp_ieee_invalid_op 0
		.amdhsa_exception_fp_denorm_src 0
		.amdhsa_exception_fp_ieee_div_zero 0
		.amdhsa_exception_fp_ieee_overflow 0
		.amdhsa_exception_fp_ieee_underflow 0
		.amdhsa_exception_fp_ieee_inexact 0
		.amdhsa_exception_int_div_zero 0
	.end_amdhsa_kernel
	.section	.text._Z26warp_inclusive_scan_kernelIfLj1ELj37EENSt9enable_ifIXntsr10test_utilsE35device_test_enabled_for_warp_size_vIXT1_EEEvE4typeEPT_S4_,"axG",@progbits,_Z26warp_inclusive_scan_kernelIfLj1ELj37EENSt9enable_ifIXntsr10test_utilsE35device_test_enabled_for_warp_size_vIXT1_EEEvE4typeEPT_S4_,comdat
.Lfunc_end2:
	.size	_Z26warp_inclusive_scan_kernelIfLj1ELj37EENSt9enable_ifIXntsr10test_utilsE35device_test_enabled_for_warp_size_vIXT1_EEEvE4typeEPT_S4_, .Lfunc_end2-_Z26warp_inclusive_scan_kernelIfLj1ELj37EENSt9enable_ifIXntsr10test_utilsE35device_test_enabled_for_warp_size_vIXT1_EEEvE4typeEPT_S4_
                                        ; -- End function
	.section	.AMDGPU.csdata,"",@progbits
; Kernel info:
; codeLenInByte = 4
; NumSgprs: 0
; NumVgprs: 0
; ScratchSize: 0
; MemoryBound: 0
; FloatMode: 240
; IeeeMode: 1
; LDSByteSize: 0 bytes/workgroup (compile time only)
; SGPRBlocks: 0
; VGPRBlocks: 0
; NumSGPRsForWavesPerEU: 1
; NumVGPRsForWavesPerEU: 1
; Occupancy: 16
; WaveLimiterHint : 0
; COMPUTE_PGM_RSRC2:SCRATCH_EN: 0
; COMPUTE_PGM_RSRC2:USER_SGPR: 15
; COMPUTE_PGM_RSRC2:TRAP_HANDLER: 0
; COMPUTE_PGM_RSRC2:TGID_X_EN: 1
; COMPUTE_PGM_RSRC2:TGID_Y_EN: 0
; COMPUTE_PGM_RSRC2:TGID_Z_EN: 0
; COMPUTE_PGM_RSRC2:TIDIG_COMP_CNT: 0
	.section	.text._Z26warp_inclusive_scan_kernelIfLj37ELj37EENSt9enable_ifIXntsr10test_utilsE35device_test_enabled_for_warp_size_vIXT1_EEEvE4typeEPT_S4_,"axG",@progbits,_Z26warp_inclusive_scan_kernelIfLj37ELj37EENSt9enable_ifIXntsr10test_utilsE35device_test_enabled_for_warp_size_vIXT1_EEEvE4typeEPT_S4_,comdat
	.protected	_Z26warp_inclusive_scan_kernelIfLj37ELj37EENSt9enable_ifIXntsr10test_utilsE35device_test_enabled_for_warp_size_vIXT1_EEEvE4typeEPT_S4_ ; -- Begin function _Z26warp_inclusive_scan_kernelIfLj37ELj37EENSt9enable_ifIXntsr10test_utilsE35device_test_enabled_for_warp_size_vIXT1_EEEvE4typeEPT_S4_
	.globl	_Z26warp_inclusive_scan_kernelIfLj37ELj37EENSt9enable_ifIXntsr10test_utilsE35device_test_enabled_for_warp_size_vIXT1_EEEvE4typeEPT_S4_
	.p2align	8
	.type	_Z26warp_inclusive_scan_kernelIfLj37ELj37EENSt9enable_ifIXntsr10test_utilsE35device_test_enabled_for_warp_size_vIXT1_EEEvE4typeEPT_S4_,@function
_Z26warp_inclusive_scan_kernelIfLj37ELj37EENSt9enable_ifIXntsr10test_utilsE35device_test_enabled_for_warp_size_vIXT1_EEEvE4typeEPT_S4_: ; @_Z26warp_inclusive_scan_kernelIfLj37ELj37EENSt9enable_ifIXntsr10test_utilsE35device_test_enabled_for_warp_size_vIXT1_EEEvE4typeEPT_S4_
; %bb.0:
	s_endpgm
	.section	.rodata,"a",@progbits
	.p2align	6, 0x0
	.amdhsa_kernel _Z26warp_inclusive_scan_kernelIfLj37ELj37EENSt9enable_ifIXntsr10test_utilsE35device_test_enabled_for_warp_size_vIXT1_EEEvE4typeEPT_S4_
		.amdhsa_group_segment_fixed_size 0
		.amdhsa_private_segment_fixed_size 0
		.amdhsa_kernarg_size 16
		.amdhsa_user_sgpr_count 15
		.amdhsa_user_sgpr_dispatch_ptr 0
		.amdhsa_user_sgpr_queue_ptr 0
		.amdhsa_user_sgpr_kernarg_segment_ptr 1
		.amdhsa_user_sgpr_dispatch_id 0
		.amdhsa_user_sgpr_private_segment_size 0
		.amdhsa_wavefront_size32 1
		.amdhsa_uses_dynamic_stack 0
		.amdhsa_enable_private_segment 0
		.amdhsa_system_sgpr_workgroup_id_x 1
		.amdhsa_system_sgpr_workgroup_id_y 0
		.amdhsa_system_sgpr_workgroup_id_z 0
		.amdhsa_system_sgpr_workgroup_info 0
		.amdhsa_system_vgpr_workitem_id 0
		.amdhsa_next_free_vgpr 1
		.amdhsa_next_free_sgpr 1
		.amdhsa_reserve_vcc 0
		.amdhsa_float_round_mode_32 0
		.amdhsa_float_round_mode_16_64 0
		.amdhsa_float_denorm_mode_32 3
		.amdhsa_float_denorm_mode_16_64 3
		.amdhsa_dx10_clamp 1
		.amdhsa_ieee_mode 1
		.amdhsa_fp16_overflow 0
		.amdhsa_workgroup_processor_mode 1
		.amdhsa_memory_ordered 1
		.amdhsa_forward_progress 0
		.amdhsa_shared_vgpr_count 0
		.amdhsa_exception_fp_ieee_invalid_op 0
		.amdhsa_exception_fp_denorm_src 0
		.amdhsa_exception_fp_ieee_div_zero 0
		.amdhsa_exception_fp_ieee_overflow 0
		.amdhsa_exception_fp_ieee_underflow 0
		.amdhsa_exception_fp_ieee_inexact 0
		.amdhsa_exception_int_div_zero 0
	.end_amdhsa_kernel
	.section	.text._Z26warp_inclusive_scan_kernelIfLj37ELj37EENSt9enable_ifIXntsr10test_utilsE35device_test_enabled_for_warp_size_vIXT1_EEEvE4typeEPT_S4_,"axG",@progbits,_Z26warp_inclusive_scan_kernelIfLj37ELj37EENSt9enable_ifIXntsr10test_utilsE35device_test_enabled_for_warp_size_vIXT1_EEEvE4typeEPT_S4_,comdat
.Lfunc_end3:
	.size	_Z26warp_inclusive_scan_kernelIfLj37ELj37EENSt9enable_ifIXntsr10test_utilsE35device_test_enabled_for_warp_size_vIXT1_EEEvE4typeEPT_S4_, .Lfunc_end3-_Z26warp_inclusive_scan_kernelIfLj37ELj37EENSt9enable_ifIXntsr10test_utilsE35device_test_enabled_for_warp_size_vIXT1_EEEvE4typeEPT_S4_
                                        ; -- End function
	.section	.AMDGPU.csdata,"",@progbits
; Kernel info:
; codeLenInByte = 4
; NumSgprs: 0
; NumVgprs: 0
; ScratchSize: 0
; MemoryBound: 0
; FloatMode: 240
; IeeeMode: 1
; LDSByteSize: 0 bytes/workgroup (compile time only)
; SGPRBlocks: 0
; VGPRBlocks: 0
; NumSGPRsForWavesPerEU: 1
; NumVGPRsForWavesPerEU: 1
; Occupancy: 16
; WaveLimiterHint : 0
; COMPUTE_PGM_RSRC2:SCRATCH_EN: 0
; COMPUTE_PGM_RSRC2:USER_SGPR: 15
; COMPUTE_PGM_RSRC2:TRAP_HANDLER: 0
; COMPUTE_PGM_RSRC2:TGID_X_EN: 1
; COMPUTE_PGM_RSRC2:TGID_Y_EN: 0
; COMPUTE_PGM_RSRC2:TGID_Z_EN: 0
; COMPUTE_PGM_RSRC2:TIDIG_COMP_CNT: 0
	.section	.text._Z26warp_inclusive_scan_kernelIfLj30ELj15EENSt9enable_ifIXsr10test_utilsE35device_test_enabled_for_warp_size_vIXT1_EEEvE4typeEPT_S4_,"axG",@progbits,_Z26warp_inclusive_scan_kernelIfLj30ELj15EENSt9enable_ifIXsr10test_utilsE35device_test_enabled_for_warp_size_vIXT1_EEEvE4typeEPT_S4_,comdat
	.protected	_Z26warp_inclusive_scan_kernelIfLj30ELj15EENSt9enable_ifIXsr10test_utilsE35device_test_enabled_for_warp_size_vIXT1_EEEvE4typeEPT_S4_ ; -- Begin function _Z26warp_inclusive_scan_kernelIfLj30ELj15EENSt9enable_ifIXsr10test_utilsE35device_test_enabled_for_warp_size_vIXT1_EEEvE4typeEPT_S4_
	.globl	_Z26warp_inclusive_scan_kernelIfLj30ELj15EENSt9enable_ifIXsr10test_utilsE35device_test_enabled_for_warp_size_vIXT1_EEEvE4typeEPT_S4_
	.p2align	8
	.type	_Z26warp_inclusive_scan_kernelIfLj30ELj15EENSt9enable_ifIXsr10test_utilsE35device_test_enabled_for_warp_size_vIXT1_EEEvE4typeEPT_S4_,@function
_Z26warp_inclusive_scan_kernelIfLj30ELj15EENSt9enable_ifIXsr10test_utilsE35device_test_enabled_for_warp_size_vIXT1_EEEvE4typeEPT_S4_: ; @_Z26warp_inclusive_scan_kernelIfLj30ELj15EENSt9enable_ifIXsr10test_utilsE35device_test_enabled_for_warp_size_vIXT1_EEEvE4typeEPT_S4_
; %bb.0:
	s_clause 0x1
	s_load_b32 s4, s[0:1], 0x1c
	s_load_b128 s[0:3], s[0:1], 0x0
	s_waitcnt lgkmcnt(0)
	s_and_b32 s4, s4, 0xffff
	s_delay_alu instid0(SALU_CYCLE_1) | instskip(SKIP_2) | instid1(VALU_DEP_1)
	v_mad_u64_u32 v[1:2], null, s15, s4, v[0:1]
	v_mov_b32_e32 v2, 0
	v_mul_u32_u24_e32 v0, 0x1112, v0
	v_lshrrev_b32_e32 v0, 16, v0
	s_delay_alu instid0(VALU_DEP_3) | instskip(NEXT) | instid1(VALU_DEP_1)
	v_lshlrev_b64 v[1:2], 2, v[1:2]
	v_add_co_u32 v3, vcc_lo, s0, v1
	s_delay_alu instid0(VALU_DEP_2) | instskip(SKIP_2) | instid1(VALU_DEP_1)
	v_add_co_ci_u32_e32 v4, vcc_lo, s1, v2, vcc_lo
	global_load_b32 v3, v[3:4], off
	v_mbcnt_lo_u32_b32 v4, -1, 0
	v_mul_hi_u32 v5, 0x11111112, v4
	s_delay_alu instid0(VALU_DEP_1) | instskip(NEXT) | instid1(VALU_DEP_1)
	v_mul_u32_u24_e32 v5, 15, v5
	v_sub_nc_u32_e32 v4, v4, v5
	s_delay_alu instid0(VALU_DEP_1) | instskip(SKIP_1) | instid1(VALU_DEP_2)
	v_lshlrev_b32_e32 v5, 2, v4
	v_cmp_ne_u32_e32 vcc_lo, 0, v4
	v_mad_u32_u24 v0, v0, 60, v5
	s_waitcnt vmcnt(0)
	ds_store_b32 v0, v3
	; wave barrier
	s_and_saveexec_b32 s0, vcc_lo
	s_cbranch_execz .LBB4_2
; %bb.1:
	v_add_nc_u32_e32 v5, -4, v0
	ds_load_b32 v5, v5
	s_waitcnt lgkmcnt(0)
	v_add_f32_e32 v3, v3, v5
.LBB4_2:
	s_or_b32 exec_lo, exec_lo, s0
	; wave barrier
	s_and_saveexec_b32 s0, vcc_lo
	s_cbranch_execz .LBB4_4
; %bb.3:
	ds_store_b32 v0, v3
.LBB4_4:
	s_or_b32 exec_lo, exec_lo, s0
	v_cmp_lt_u32_e32 vcc_lo, 1, v4
	; wave barrier
	s_and_saveexec_b32 s0, vcc_lo
	s_cbranch_execz .LBB4_6
; %bb.5:
	v_add_nc_u32_e32 v5, -8, v0
	ds_load_b32 v5, v5
	s_waitcnt lgkmcnt(0)
	v_add_f32_e32 v3, v3, v5
.LBB4_6:
	s_or_b32 exec_lo, exec_lo, s0
	; wave barrier
	s_and_saveexec_b32 s0, vcc_lo
	s_cbranch_execz .LBB4_8
; %bb.7:
	ds_store_b32 v0, v3
.LBB4_8:
	s_or_b32 exec_lo, exec_lo, s0
	v_cmp_lt_u32_e32 vcc_lo, 3, v4
	;; [unrolled: 18-line block ×3, first 2 shown]
	; wave barrier
	s_and_saveexec_b32 s0, vcc_lo
	s_cbranch_execz .LBB4_14
; %bb.13:
	v_subrev_nc_u32_e32 v4, 32, v0
	ds_load_b32 v4, v4
	s_waitcnt lgkmcnt(0)
	v_add_f32_e32 v3, v3, v4
.LBB4_14:
	s_or_b32 exec_lo, exec_lo, s0
	; wave barrier
	s_and_saveexec_b32 s0, vcc_lo
	s_cbranch_execz .LBB4_16
; %bb.15:
	ds_store_b32 v0, v3
.LBB4_16:
	s_or_b32 exec_lo, exec_lo, s0
	v_add_co_u32 v0, vcc_lo, s2, v1
	v_add_co_ci_u32_e32 v1, vcc_lo, s3, v2, vcc_lo
	; wave barrier
	global_store_b32 v[0:1], v3, off
	s_nop 0
	s_sendmsg sendmsg(MSG_DEALLOC_VGPRS)
	s_endpgm
	.section	.rodata,"a",@progbits
	.p2align	6, 0x0
	.amdhsa_kernel _Z26warp_inclusive_scan_kernelIfLj30ELj15EENSt9enable_ifIXsr10test_utilsE35device_test_enabled_for_warp_size_vIXT1_EEEvE4typeEPT_S4_
		.amdhsa_group_segment_fixed_size 120
		.amdhsa_private_segment_fixed_size 0
		.amdhsa_kernarg_size 272
		.amdhsa_user_sgpr_count 15
		.amdhsa_user_sgpr_dispatch_ptr 0
		.amdhsa_user_sgpr_queue_ptr 0
		.amdhsa_user_sgpr_kernarg_segment_ptr 1
		.amdhsa_user_sgpr_dispatch_id 0
		.amdhsa_user_sgpr_private_segment_size 0
		.amdhsa_wavefront_size32 1
		.amdhsa_uses_dynamic_stack 0
		.amdhsa_enable_private_segment 0
		.amdhsa_system_sgpr_workgroup_id_x 1
		.amdhsa_system_sgpr_workgroup_id_y 0
		.amdhsa_system_sgpr_workgroup_id_z 0
		.amdhsa_system_sgpr_workgroup_info 0
		.amdhsa_system_vgpr_workitem_id 0
		.amdhsa_next_free_vgpr 6
		.amdhsa_next_free_sgpr 16
		.amdhsa_reserve_vcc 1
		.amdhsa_float_round_mode_32 0
		.amdhsa_float_round_mode_16_64 0
		.amdhsa_float_denorm_mode_32 3
		.amdhsa_float_denorm_mode_16_64 3
		.amdhsa_dx10_clamp 1
		.amdhsa_ieee_mode 1
		.amdhsa_fp16_overflow 0
		.amdhsa_workgroup_processor_mode 1
		.amdhsa_memory_ordered 1
		.amdhsa_forward_progress 0
		.amdhsa_shared_vgpr_count 0
		.amdhsa_exception_fp_ieee_invalid_op 0
		.amdhsa_exception_fp_denorm_src 0
		.amdhsa_exception_fp_ieee_div_zero 0
		.amdhsa_exception_fp_ieee_overflow 0
		.amdhsa_exception_fp_ieee_underflow 0
		.amdhsa_exception_fp_ieee_inexact 0
		.amdhsa_exception_int_div_zero 0
	.end_amdhsa_kernel
	.section	.text._Z26warp_inclusive_scan_kernelIfLj30ELj15EENSt9enable_ifIXsr10test_utilsE35device_test_enabled_for_warp_size_vIXT1_EEEvE4typeEPT_S4_,"axG",@progbits,_Z26warp_inclusive_scan_kernelIfLj30ELj15EENSt9enable_ifIXsr10test_utilsE35device_test_enabled_for_warp_size_vIXT1_EEEvE4typeEPT_S4_,comdat
.Lfunc_end4:
	.size	_Z26warp_inclusive_scan_kernelIfLj30ELj15EENSt9enable_ifIXsr10test_utilsE35device_test_enabled_for_warp_size_vIXT1_EEEvE4typeEPT_S4_, .Lfunc_end4-_Z26warp_inclusive_scan_kernelIfLj30ELj15EENSt9enable_ifIXsr10test_utilsE35device_test_enabled_for_warp_size_vIXT1_EEEvE4typeEPT_S4_
                                        ; -- End function
	.section	.AMDGPU.csdata,"",@progbits
; Kernel info:
; codeLenInByte = 412
; NumSgprs: 18
; NumVgprs: 6
; ScratchSize: 0
; MemoryBound: 0
; FloatMode: 240
; IeeeMode: 1
; LDSByteSize: 120 bytes/workgroup (compile time only)
; SGPRBlocks: 2
; VGPRBlocks: 0
; NumSGPRsForWavesPerEU: 18
; NumVGPRsForWavesPerEU: 6
; Occupancy: 16
; WaveLimiterHint : 0
; COMPUTE_PGM_RSRC2:SCRATCH_EN: 0
; COMPUTE_PGM_RSRC2:USER_SGPR: 15
; COMPUTE_PGM_RSRC2:TRAP_HANDLER: 0
; COMPUTE_PGM_RSRC2:TGID_X_EN: 1
; COMPUTE_PGM_RSRC2:TGID_Y_EN: 0
; COMPUTE_PGM_RSRC2:TGID_Z_EN: 0
; COMPUTE_PGM_RSRC2:TIDIG_COMP_CNT: 0
	.section	.text._Z26warp_inclusive_scan_kernelIfLj60ELj15EENSt9enable_ifIXsr10test_utilsE35device_test_enabled_for_warp_size_vIXT1_EEEvE4typeEPT_S4_,"axG",@progbits,_Z26warp_inclusive_scan_kernelIfLj60ELj15EENSt9enable_ifIXsr10test_utilsE35device_test_enabled_for_warp_size_vIXT1_EEEvE4typeEPT_S4_,comdat
	.protected	_Z26warp_inclusive_scan_kernelIfLj60ELj15EENSt9enable_ifIXsr10test_utilsE35device_test_enabled_for_warp_size_vIXT1_EEEvE4typeEPT_S4_ ; -- Begin function _Z26warp_inclusive_scan_kernelIfLj60ELj15EENSt9enable_ifIXsr10test_utilsE35device_test_enabled_for_warp_size_vIXT1_EEEvE4typeEPT_S4_
	.globl	_Z26warp_inclusive_scan_kernelIfLj60ELj15EENSt9enable_ifIXsr10test_utilsE35device_test_enabled_for_warp_size_vIXT1_EEEvE4typeEPT_S4_
	.p2align	8
	.type	_Z26warp_inclusive_scan_kernelIfLj60ELj15EENSt9enable_ifIXsr10test_utilsE35device_test_enabled_for_warp_size_vIXT1_EEEvE4typeEPT_S4_,@function
_Z26warp_inclusive_scan_kernelIfLj60ELj15EENSt9enable_ifIXsr10test_utilsE35device_test_enabled_for_warp_size_vIXT1_EEEvE4typeEPT_S4_: ; @_Z26warp_inclusive_scan_kernelIfLj60ELj15EENSt9enable_ifIXsr10test_utilsE35device_test_enabled_for_warp_size_vIXT1_EEEvE4typeEPT_S4_
; %bb.0:
	s_clause 0x1
	s_load_b32 s4, s[0:1], 0x1c
	s_load_b128 s[0:3], s[0:1], 0x0
	s_waitcnt lgkmcnt(0)
	s_and_b32 s4, s4, 0xffff
	s_delay_alu instid0(SALU_CYCLE_1) | instskip(SKIP_2) | instid1(VALU_DEP_1)
	v_mad_u64_u32 v[1:2], null, s15, s4, v[0:1]
	v_mov_b32_e32 v2, 0
	v_mul_u32_u24_e32 v0, 0x1112, v0
	v_lshrrev_b32_e32 v0, 16, v0
	s_delay_alu instid0(VALU_DEP_3) | instskip(NEXT) | instid1(VALU_DEP_1)
	v_lshlrev_b64 v[1:2], 2, v[1:2]
	v_add_co_u32 v3, vcc_lo, s0, v1
	s_delay_alu instid0(VALU_DEP_2) | instskip(SKIP_2) | instid1(VALU_DEP_1)
	v_add_co_ci_u32_e32 v4, vcc_lo, s1, v2, vcc_lo
	global_load_b32 v3, v[3:4], off
	v_mbcnt_lo_u32_b32 v4, -1, 0
	v_mul_hi_u32 v5, 0x11111112, v4
	s_delay_alu instid0(VALU_DEP_1) | instskip(NEXT) | instid1(VALU_DEP_1)
	v_mul_u32_u24_e32 v5, 15, v5
	v_sub_nc_u32_e32 v4, v4, v5
	s_delay_alu instid0(VALU_DEP_1) | instskip(SKIP_1) | instid1(VALU_DEP_2)
	v_lshlrev_b32_e32 v5, 2, v4
	v_cmp_ne_u32_e32 vcc_lo, 0, v4
	v_mad_u32_u24 v0, v0, 60, v5
	s_waitcnt vmcnt(0)
	ds_store_b32 v0, v3
	; wave barrier
	s_and_saveexec_b32 s0, vcc_lo
	s_cbranch_execz .LBB5_2
; %bb.1:
	v_add_nc_u32_e32 v5, -4, v0
	ds_load_b32 v5, v5
	s_waitcnt lgkmcnt(0)
	v_add_f32_e32 v3, v3, v5
.LBB5_2:
	s_or_b32 exec_lo, exec_lo, s0
	; wave barrier
	s_and_saveexec_b32 s0, vcc_lo
	s_cbranch_execz .LBB5_4
; %bb.3:
	ds_store_b32 v0, v3
.LBB5_4:
	s_or_b32 exec_lo, exec_lo, s0
	v_cmp_lt_u32_e32 vcc_lo, 1, v4
	; wave barrier
	s_and_saveexec_b32 s0, vcc_lo
	s_cbranch_execz .LBB5_6
; %bb.5:
	v_add_nc_u32_e32 v5, -8, v0
	ds_load_b32 v5, v5
	s_waitcnt lgkmcnt(0)
	v_add_f32_e32 v3, v3, v5
.LBB5_6:
	s_or_b32 exec_lo, exec_lo, s0
	; wave barrier
	s_and_saveexec_b32 s0, vcc_lo
	s_cbranch_execz .LBB5_8
; %bb.7:
	ds_store_b32 v0, v3
.LBB5_8:
	s_or_b32 exec_lo, exec_lo, s0
	v_cmp_lt_u32_e32 vcc_lo, 3, v4
	;; [unrolled: 18-line block ×3, first 2 shown]
	; wave barrier
	s_and_saveexec_b32 s0, vcc_lo
	s_cbranch_execz .LBB5_14
; %bb.13:
	v_subrev_nc_u32_e32 v4, 32, v0
	ds_load_b32 v4, v4
	s_waitcnt lgkmcnt(0)
	v_add_f32_e32 v3, v3, v4
.LBB5_14:
	s_or_b32 exec_lo, exec_lo, s0
	; wave barrier
	s_and_saveexec_b32 s0, vcc_lo
	s_cbranch_execz .LBB5_16
; %bb.15:
	ds_store_b32 v0, v3
.LBB5_16:
	s_or_b32 exec_lo, exec_lo, s0
	v_add_co_u32 v0, vcc_lo, s2, v1
	v_add_co_ci_u32_e32 v1, vcc_lo, s3, v2, vcc_lo
	; wave barrier
	global_store_b32 v[0:1], v3, off
	s_nop 0
	s_sendmsg sendmsg(MSG_DEALLOC_VGPRS)
	s_endpgm
	.section	.rodata,"a",@progbits
	.p2align	6, 0x0
	.amdhsa_kernel _Z26warp_inclusive_scan_kernelIfLj60ELj15EENSt9enable_ifIXsr10test_utilsE35device_test_enabled_for_warp_size_vIXT1_EEEvE4typeEPT_S4_
		.amdhsa_group_segment_fixed_size 240
		.amdhsa_private_segment_fixed_size 0
		.amdhsa_kernarg_size 272
		.amdhsa_user_sgpr_count 15
		.amdhsa_user_sgpr_dispatch_ptr 0
		.amdhsa_user_sgpr_queue_ptr 0
		.amdhsa_user_sgpr_kernarg_segment_ptr 1
		.amdhsa_user_sgpr_dispatch_id 0
		.amdhsa_user_sgpr_private_segment_size 0
		.amdhsa_wavefront_size32 1
		.amdhsa_uses_dynamic_stack 0
		.amdhsa_enable_private_segment 0
		.amdhsa_system_sgpr_workgroup_id_x 1
		.amdhsa_system_sgpr_workgroup_id_y 0
		.amdhsa_system_sgpr_workgroup_id_z 0
		.amdhsa_system_sgpr_workgroup_info 0
		.amdhsa_system_vgpr_workitem_id 0
		.amdhsa_next_free_vgpr 6
		.amdhsa_next_free_sgpr 16
		.amdhsa_reserve_vcc 1
		.amdhsa_float_round_mode_32 0
		.amdhsa_float_round_mode_16_64 0
		.amdhsa_float_denorm_mode_32 3
		.amdhsa_float_denorm_mode_16_64 3
		.amdhsa_dx10_clamp 1
		.amdhsa_ieee_mode 1
		.amdhsa_fp16_overflow 0
		.amdhsa_workgroup_processor_mode 1
		.amdhsa_memory_ordered 1
		.amdhsa_forward_progress 0
		.amdhsa_shared_vgpr_count 0
		.amdhsa_exception_fp_ieee_invalid_op 0
		.amdhsa_exception_fp_denorm_src 0
		.amdhsa_exception_fp_ieee_div_zero 0
		.amdhsa_exception_fp_ieee_overflow 0
		.amdhsa_exception_fp_ieee_underflow 0
		.amdhsa_exception_fp_ieee_inexact 0
		.amdhsa_exception_int_div_zero 0
	.end_amdhsa_kernel
	.section	.text._Z26warp_inclusive_scan_kernelIfLj60ELj15EENSt9enable_ifIXsr10test_utilsE35device_test_enabled_for_warp_size_vIXT1_EEEvE4typeEPT_S4_,"axG",@progbits,_Z26warp_inclusive_scan_kernelIfLj60ELj15EENSt9enable_ifIXsr10test_utilsE35device_test_enabled_for_warp_size_vIXT1_EEEvE4typeEPT_S4_,comdat
.Lfunc_end5:
	.size	_Z26warp_inclusive_scan_kernelIfLj60ELj15EENSt9enable_ifIXsr10test_utilsE35device_test_enabled_for_warp_size_vIXT1_EEEvE4typeEPT_S4_, .Lfunc_end5-_Z26warp_inclusive_scan_kernelIfLj60ELj15EENSt9enable_ifIXsr10test_utilsE35device_test_enabled_for_warp_size_vIXT1_EEEvE4typeEPT_S4_
                                        ; -- End function
	.section	.AMDGPU.csdata,"",@progbits
; Kernel info:
; codeLenInByte = 412
; NumSgprs: 18
; NumVgprs: 6
; ScratchSize: 0
; MemoryBound: 0
; FloatMode: 240
; IeeeMode: 1
; LDSByteSize: 240 bytes/workgroup (compile time only)
; SGPRBlocks: 2
; VGPRBlocks: 0
; NumSGPRsForWavesPerEU: 18
; NumVGPRsForWavesPerEU: 6
; Occupancy: 16
; WaveLimiterHint : 0
; COMPUTE_PGM_RSRC2:SCRATCH_EN: 0
; COMPUTE_PGM_RSRC2:USER_SGPR: 15
; COMPUTE_PGM_RSRC2:TRAP_HANDLER: 0
; COMPUTE_PGM_RSRC2:TGID_X_EN: 1
; COMPUTE_PGM_RSRC2:TGID_Y_EN: 0
; COMPUTE_PGM_RSRC2:TGID_Z_EN: 0
; COMPUTE_PGM_RSRC2:TIDIG_COMP_CNT: 0
	.section	.text._Z26warp_inclusive_scan_kernelIfLj28ELj7EENSt9enable_ifIXsr10test_utilsE35device_test_enabled_for_warp_size_vIXT1_EEEvE4typeEPT_S4_,"axG",@progbits,_Z26warp_inclusive_scan_kernelIfLj28ELj7EENSt9enable_ifIXsr10test_utilsE35device_test_enabled_for_warp_size_vIXT1_EEEvE4typeEPT_S4_,comdat
	.protected	_Z26warp_inclusive_scan_kernelIfLj28ELj7EENSt9enable_ifIXsr10test_utilsE35device_test_enabled_for_warp_size_vIXT1_EEEvE4typeEPT_S4_ ; -- Begin function _Z26warp_inclusive_scan_kernelIfLj28ELj7EENSt9enable_ifIXsr10test_utilsE35device_test_enabled_for_warp_size_vIXT1_EEEvE4typeEPT_S4_
	.globl	_Z26warp_inclusive_scan_kernelIfLj28ELj7EENSt9enable_ifIXsr10test_utilsE35device_test_enabled_for_warp_size_vIXT1_EEEvE4typeEPT_S4_
	.p2align	8
	.type	_Z26warp_inclusive_scan_kernelIfLj28ELj7EENSt9enable_ifIXsr10test_utilsE35device_test_enabled_for_warp_size_vIXT1_EEEvE4typeEPT_S4_,@function
_Z26warp_inclusive_scan_kernelIfLj28ELj7EENSt9enable_ifIXsr10test_utilsE35device_test_enabled_for_warp_size_vIXT1_EEEvE4typeEPT_S4_: ; @_Z26warp_inclusive_scan_kernelIfLj28ELj7EENSt9enable_ifIXsr10test_utilsE35device_test_enabled_for_warp_size_vIXT1_EEEvE4typeEPT_S4_
; %bb.0:
	s_clause 0x1
	s_load_b32 s4, s[0:1], 0x1c
	s_load_b128 s[0:3], s[0:1], 0x0
	s_waitcnt lgkmcnt(0)
	s_and_b32 s4, s4, 0xffff
	s_delay_alu instid0(SALU_CYCLE_1) | instskip(SKIP_2) | instid1(VALU_DEP_1)
	v_mad_u64_u32 v[1:2], null, s15, s4, v[0:1]
	v_mov_b32_e32 v2, 0
	v_mul_u32_u24_e32 v0, 0x2493, v0
	v_lshrrev_b32_e32 v0, 16, v0
	s_delay_alu instid0(VALU_DEP_3) | instskip(NEXT) | instid1(VALU_DEP_1)
	v_lshlrev_b64 v[1:2], 2, v[1:2]
	v_add_co_u32 v3, vcc_lo, s0, v1
	s_delay_alu instid0(VALU_DEP_2) | instskip(SKIP_2) | instid1(VALU_DEP_1)
	v_add_co_ci_u32_e32 v4, vcc_lo, s1, v2, vcc_lo
	global_load_b32 v3, v[3:4], off
	v_mbcnt_lo_u32_b32 v4, -1, 0
	v_mul_hi_u32 v5, 0x24924925, v4
	s_delay_alu instid0(VALU_DEP_1) | instskip(NEXT) | instid1(VALU_DEP_1)
	v_mul_u32_u24_e32 v5, 7, v5
	v_sub_nc_u32_e32 v4, v4, v5
	s_delay_alu instid0(VALU_DEP_1) | instskip(SKIP_1) | instid1(VALU_DEP_2)
	v_lshlrev_b32_e32 v5, 2, v4
	v_cmp_ne_u32_e32 vcc_lo, 0, v4
	v_mad_u32_u24 v0, v0, 28, v5
	s_waitcnt vmcnt(0)
	ds_store_b32 v0, v3
	; wave barrier
	s_and_saveexec_b32 s0, vcc_lo
	s_cbranch_execz .LBB6_2
; %bb.1:
	v_add_nc_u32_e32 v5, -4, v0
	ds_load_b32 v5, v5
	s_waitcnt lgkmcnt(0)
	v_add_f32_e32 v3, v3, v5
.LBB6_2:
	s_or_b32 exec_lo, exec_lo, s0
	; wave barrier
	s_and_saveexec_b32 s0, vcc_lo
	s_cbranch_execz .LBB6_4
; %bb.3:
	ds_store_b32 v0, v3
.LBB6_4:
	s_or_b32 exec_lo, exec_lo, s0
	v_cmp_lt_u32_e32 vcc_lo, 1, v4
	; wave barrier
	s_and_saveexec_b32 s0, vcc_lo
	s_cbranch_execz .LBB6_6
; %bb.5:
	v_add_nc_u32_e32 v5, -8, v0
	ds_load_b32 v5, v5
	s_waitcnt lgkmcnt(0)
	v_add_f32_e32 v3, v3, v5
.LBB6_6:
	s_or_b32 exec_lo, exec_lo, s0
	; wave barrier
	s_and_saveexec_b32 s0, vcc_lo
	s_cbranch_execz .LBB6_8
; %bb.7:
	ds_store_b32 v0, v3
.LBB6_8:
	s_or_b32 exec_lo, exec_lo, s0
	v_cmp_lt_u32_e32 vcc_lo, 3, v4
	; wave barrier
	s_and_saveexec_b32 s0, vcc_lo
	s_cbranch_execz .LBB6_10
; %bb.9:
	v_add_nc_u32_e32 v4, -16, v0
	ds_load_b32 v4, v4
	s_waitcnt lgkmcnt(0)
	v_add_f32_e32 v3, v3, v4
.LBB6_10:
	s_or_b32 exec_lo, exec_lo, s0
	; wave barrier
	s_and_saveexec_b32 s0, vcc_lo
	s_cbranch_execz .LBB6_12
; %bb.11:
	ds_store_b32 v0, v3
.LBB6_12:
	s_or_b32 exec_lo, exec_lo, s0
	v_add_co_u32 v0, vcc_lo, s2, v1
	v_add_co_ci_u32_e32 v1, vcc_lo, s3, v2, vcc_lo
	; wave barrier
	global_store_b32 v[0:1], v3, off
	s_nop 0
	s_sendmsg sendmsg(MSG_DEALLOC_VGPRS)
	s_endpgm
	.section	.rodata,"a",@progbits
	.p2align	6, 0x0
	.amdhsa_kernel _Z26warp_inclusive_scan_kernelIfLj28ELj7EENSt9enable_ifIXsr10test_utilsE35device_test_enabled_for_warp_size_vIXT1_EEEvE4typeEPT_S4_
		.amdhsa_group_segment_fixed_size 112
		.amdhsa_private_segment_fixed_size 0
		.amdhsa_kernarg_size 272
		.amdhsa_user_sgpr_count 15
		.amdhsa_user_sgpr_dispatch_ptr 0
		.amdhsa_user_sgpr_queue_ptr 0
		.amdhsa_user_sgpr_kernarg_segment_ptr 1
		.amdhsa_user_sgpr_dispatch_id 0
		.amdhsa_user_sgpr_private_segment_size 0
		.amdhsa_wavefront_size32 1
		.amdhsa_uses_dynamic_stack 0
		.amdhsa_enable_private_segment 0
		.amdhsa_system_sgpr_workgroup_id_x 1
		.amdhsa_system_sgpr_workgroup_id_y 0
		.amdhsa_system_sgpr_workgroup_id_z 0
		.amdhsa_system_sgpr_workgroup_info 0
		.amdhsa_system_vgpr_workitem_id 0
		.amdhsa_next_free_vgpr 6
		.amdhsa_next_free_sgpr 16
		.amdhsa_reserve_vcc 1
		.amdhsa_float_round_mode_32 0
		.amdhsa_float_round_mode_16_64 0
		.amdhsa_float_denorm_mode_32 3
		.amdhsa_float_denorm_mode_16_64 3
		.amdhsa_dx10_clamp 1
		.amdhsa_ieee_mode 1
		.amdhsa_fp16_overflow 0
		.amdhsa_workgroup_processor_mode 1
		.amdhsa_memory_ordered 1
		.amdhsa_forward_progress 0
		.amdhsa_shared_vgpr_count 0
		.amdhsa_exception_fp_ieee_invalid_op 0
		.amdhsa_exception_fp_denorm_src 0
		.amdhsa_exception_fp_ieee_div_zero 0
		.amdhsa_exception_fp_ieee_overflow 0
		.amdhsa_exception_fp_ieee_underflow 0
		.amdhsa_exception_fp_ieee_inexact 0
		.amdhsa_exception_int_div_zero 0
	.end_amdhsa_kernel
	.section	.text._Z26warp_inclusive_scan_kernelIfLj28ELj7EENSt9enable_ifIXsr10test_utilsE35device_test_enabled_for_warp_size_vIXT1_EEEvE4typeEPT_S4_,"axG",@progbits,_Z26warp_inclusive_scan_kernelIfLj28ELj7EENSt9enable_ifIXsr10test_utilsE35device_test_enabled_for_warp_size_vIXT1_EEEvE4typeEPT_S4_,comdat
.Lfunc_end6:
	.size	_Z26warp_inclusive_scan_kernelIfLj28ELj7EENSt9enable_ifIXsr10test_utilsE35device_test_enabled_for_warp_size_vIXT1_EEEvE4typeEPT_S4_, .Lfunc_end6-_Z26warp_inclusive_scan_kernelIfLj28ELj7EENSt9enable_ifIXsr10test_utilsE35device_test_enabled_for_warp_size_vIXT1_EEEvE4typeEPT_S4_
                                        ; -- End function
	.section	.AMDGPU.csdata,"",@progbits
; Kernel info:
; codeLenInByte = 356
; NumSgprs: 18
; NumVgprs: 6
; ScratchSize: 0
; MemoryBound: 0
; FloatMode: 240
; IeeeMode: 1
; LDSByteSize: 112 bytes/workgroup (compile time only)
; SGPRBlocks: 2
; VGPRBlocks: 0
; NumSGPRsForWavesPerEU: 18
; NumVGPRsForWavesPerEU: 6
; Occupancy: 16
; WaveLimiterHint : 0
; COMPUTE_PGM_RSRC2:SCRATCH_EN: 0
; COMPUTE_PGM_RSRC2:USER_SGPR: 15
; COMPUTE_PGM_RSRC2:TRAP_HANDLER: 0
; COMPUTE_PGM_RSRC2:TGID_X_EN: 1
; COMPUTE_PGM_RSRC2:TGID_Y_EN: 0
; COMPUTE_PGM_RSRC2:TGID_Z_EN: 0
; COMPUTE_PGM_RSRC2:TIDIG_COMP_CNT: 0
	.section	.text._Z26warp_inclusive_scan_kernelIfLj63ELj7EENSt9enable_ifIXsr10test_utilsE35device_test_enabled_for_warp_size_vIXT1_EEEvE4typeEPT_S4_,"axG",@progbits,_Z26warp_inclusive_scan_kernelIfLj63ELj7EENSt9enable_ifIXsr10test_utilsE35device_test_enabled_for_warp_size_vIXT1_EEEvE4typeEPT_S4_,comdat
	.protected	_Z26warp_inclusive_scan_kernelIfLj63ELj7EENSt9enable_ifIXsr10test_utilsE35device_test_enabled_for_warp_size_vIXT1_EEEvE4typeEPT_S4_ ; -- Begin function _Z26warp_inclusive_scan_kernelIfLj63ELj7EENSt9enable_ifIXsr10test_utilsE35device_test_enabled_for_warp_size_vIXT1_EEEvE4typeEPT_S4_
	.globl	_Z26warp_inclusive_scan_kernelIfLj63ELj7EENSt9enable_ifIXsr10test_utilsE35device_test_enabled_for_warp_size_vIXT1_EEEvE4typeEPT_S4_
	.p2align	8
	.type	_Z26warp_inclusive_scan_kernelIfLj63ELj7EENSt9enable_ifIXsr10test_utilsE35device_test_enabled_for_warp_size_vIXT1_EEEvE4typeEPT_S4_,@function
_Z26warp_inclusive_scan_kernelIfLj63ELj7EENSt9enable_ifIXsr10test_utilsE35device_test_enabled_for_warp_size_vIXT1_EEEvE4typeEPT_S4_: ; @_Z26warp_inclusive_scan_kernelIfLj63ELj7EENSt9enable_ifIXsr10test_utilsE35device_test_enabled_for_warp_size_vIXT1_EEEvE4typeEPT_S4_
; %bb.0:
	s_clause 0x1
	s_load_b32 s4, s[0:1], 0x1c
	s_load_b128 s[0:3], s[0:1], 0x0
	s_waitcnt lgkmcnt(0)
	s_and_b32 s4, s4, 0xffff
	s_delay_alu instid0(SALU_CYCLE_1) | instskip(SKIP_2) | instid1(VALU_DEP_1)
	v_mad_u64_u32 v[1:2], null, s15, s4, v[0:1]
	v_mov_b32_e32 v2, 0
	v_mul_u32_u24_e32 v0, 0x2493, v0
	v_lshrrev_b32_e32 v0, 16, v0
	s_delay_alu instid0(VALU_DEP_3) | instskip(NEXT) | instid1(VALU_DEP_1)
	v_lshlrev_b64 v[1:2], 2, v[1:2]
	v_add_co_u32 v3, vcc_lo, s0, v1
	s_delay_alu instid0(VALU_DEP_2) | instskip(SKIP_2) | instid1(VALU_DEP_1)
	v_add_co_ci_u32_e32 v4, vcc_lo, s1, v2, vcc_lo
	global_load_b32 v3, v[3:4], off
	v_mbcnt_lo_u32_b32 v4, -1, 0
	v_mul_hi_u32 v5, 0x24924925, v4
	s_delay_alu instid0(VALU_DEP_1) | instskip(NEXT) | instid1(VALU_DEP_1)
	v_mul_u32_u24_e32 v5, 7, v5
	v_sub_nc_u32_e32 v4, v4, v5
	s_delay_alu instid0(VALU_DEP_1) | instskip(SKIP_1) | instid1(VALU_DEP_2)
	v_lshlrev_b32_e32 v5, 2, v4
	v_cmp_ne_u32_e32 vcc_lo, 0, v4
	v_mad_u32_u24 v0, v0, 28, v5
	s_waitcnt vmcnt(0)
	ds_store_b32 v0, v3
	; wave barrier
	s_and_saveexec_b32 s0, vcc_lo
	s_cbranch_execz .LBB7_2
; %bb.1:
	v_add_nc_u32_e32 v5, -4, v0
	ds_load_b32 v5, v5
	s_waitcnt lgkmcnt(0)
	v_add_f32_e32 v3, v3, v5
.LBB7_2:
	s_or_b32 exec_lo, exec_lo, s0
	; wave barrier
	s_and_saveexec_b32 s0, vcc_lo
	s_cbranch_execz .LBB7_4
; %bb.3:
	ds_store_b32 v0, v3
.LBB7_4:
	s_or_b32 exec_lo, exec_lo, s0
	v_cmp_lt_u32_e32 vcc_lo, 1, v4
	; wave barrier
	s_and_saveexec_b32 s0, vcc_lo
	s_cbranch_execz .LBB7_6
; %bb.5:
	v_add_nc_u32_e32 v5, -8, v0
	ds_load_b32 v5, v5
	s_waitcnt lgkmcnt(0)
	v_add_f32_e32 v3, v3, v5
.LBB7_6:
	s_or_b32 exec_lo, exec_lo, s0
	; wave barrier
	s_and_saveexec_b32 s0, vcc_lo
	s_cbranch_execz .LBB7_8
; %bb.7:
	ds_store_b32 v0, v3
.LBB7_8:
	s_or_b32 exec_lo, exec_lo, s0
	v_cmp_lt_u32_e32 vcc_lo, 3, v4
	; wave barrier
	s_and_saveexec_b32 s0, vcc_lo
	s_cbranch_execz .LBB7_10
; %bb.9:
	v_add_nc_u32_e32 v4, -16, v0
	ds_load_b32 v4, v4
	s_waitcnt lgkmcnt(0)
	v_add_f32_e32 v3, v3, v4
.LBB7_10:
	s_or_b32 exec_lo, exec_lo, s0
	; wave barrier
	s_and_saveexec_b32 s0, vcc_lo
	s_cbranch_execz .LBB7_12
; %bb.11:
	ds_store_b32 v0, v3
.LBB7_12:
	s_or_b32 exec_lo, exec_lo, s0
	v_add_co_u32 v0, vcc_lo, s2, v1
	v_add_co_ci_u32_e32 v1, vcc_lo, s3, v2, vcc_lo
	; wave barrier
	global_store_b32 v[0:1], v3, off
	s_nop 0
	s_sendmsg sendmsg(MSG_DEALLOC_VGPRS)
	s_endpgm
	.section	.rodata,"a",@progbits
	.p2align	6, 0x0
	.amdhsa_kernel _Z26warp_inclusive_scan_kernelIfLj63ELj7EENSt9enable_ifIXsr10test_utilsE35device_test_enabled_for_warp_size_vIXT1_EEEvE4typeEPT_S4_
		.amdhsa_group_segment_fixed_size 252
		.amdhsa_private_segment_fixed_size 0
		.amdhsa_kernarg_size 272
		.amdhsa_user_sgpr_count 15
		.amdhsa_user_sgpr_dispatch_ptr 0
		.amdhsa_user_sgpr_queue_ptr 0
		.amdhsa_user_sgpr_kernarg_segment_ptr 1
		.amdhsa_user_sgpr_dispatch_id 0
		.amdhsa_user_sgpr_private_segment_size 0
		.amdhsa_wavefront_size32 1
		.amdhsa_uses_dynamic_stack 0
		.amdhsa_enable_private_segment 0
		.amdhsa_system_sgpr_workgroup_id_x 1
		.amdhsa_system_sgpr_workgroup_id_y 0
		.amdhsa_system_sgpr_workgroup_id_z 0
		.amdhsa_system_sgpr_workgroup_info 0
		.amdhsa_system_vgpr_workitem_id 0
		.amdhsa_next_free_vgpr 6
		.amdhsa_next_free_sgpr 16
		.amdhsa_reserve_vcc 1
		.amdhsa_float_round_mode_32 0
		.amdhsa_float_round_mode_16_64 0
		.amdhsa_float_denorm_mode_32 3
		.amdhsa_float_denorm_mode_16_64 3
		.amdhsa_dx10_clamp 1
		.amdhsa_ieee_mode 1
		.amdhsa_fp16_overflow 0
		.amdhsa_workgroup_processor_mode 1
		.amdhsa_memory_ordered 1
		.amdhsa_forward_progress 0
		.amdhsa_shared_vgpr_count 0
		.amdhsa_exception_fp_ieee_invalid_op 0
		.amdhsa_exception_fp_denorm_src 0
		.amdhsa_exception_fp_ieee_div_zero 0
		.amdhsa_exception_fp_ieee_overflow 0
		.amdhsa_exception_fp_ieee_underflow 0
		.amdhsa_exception_fp_ieee_inexact 0
		.amdhsa_exception_int_div_zero 0
	.end_amdhsa_kernel
	.section	.text._Z26warp_inclusive_scan_kernelIfLj63ELj7EENSt9enable_ifIXsr10test_utilsE35device_test_enabled_for_warp_size_vIXT1_EEEvE4typeEPT_S4_,"axG",@progbits,_Z26warp_inclusive_scan_kernelIfLj63ELj7EENSt9enable_ifIXsr10test_utilsE35device_test_enabled_for_warp_size_vIXT1_EEEvE4typeEPT_S4_,comdat
.Lfunc_end7:
	.size	_Z26warp_inclusive_scan_kernelIfLj63ELj7EENSt9enable_ifIXsr10test_utilsE35device_test_enabled_for_warp_size_vIXT1_EEEvE4typeEPT_S4_, .Lfunc_end7-_Z26warp_inclusive_scan_kernelIfLj63ELj7EENSt9enable_ifIXsr10test_utilsE35device_test_enabled_for_warp_size_vIXT1_EEEvE4typeEPT_S4_
                                        ; -- End function
	.section	.AMDGPU.csdata,"",@progbits
; Kernel info:
; codeLenInByte = 356
; NumSgprs: 18
; NumVgprs: 6
; ScratchSize: 0
; MemoryBound: 0
; FloatMode: 240
; IeeeMode: 1
; LDSByteSize: 252 bytes/workgroup (compile time only)
; SGPRBlocks: 2
; VGPRBlocks: 0
; NumSGPRsForWavesPerEU: 18
; NumVGPRsForWavesPerEU: 6
; Occupancy: 16
; WaveLimiterHint : 0
; COMPUTE_PGM_RSRC2:SCRATCH_EN: 0
; COMPUTE_PGM_RSRC2:USER_SGPR: 15
; COMPUTE_PGM_RSRC2:TRAP_HANDLER: 0
; COMPUTE_PGM_RSRC2:TGID_X_EN: 1
; COMPUTE_PGM_RSRC2:TGID_Y_EN: 0
; COMPUTE_PGM_RSRC2:TGID_Z_EN: 0
; COMPUTE_PGM_RSRC2:TIDIG_COMP_CNT: 0
	.section	.text._Z26warp_inclusive_scan_kernelIfLj30ELj3EENSt9enable_ifIXsr10test_utilsE35device_test_enabled_for_warp_size_vIXT1_EEEvE4typeEPT_S4_,"axG",@progbits,_Z26warp_inclusive_scan_kernelIfLj30ELj3EENSt9enable_ifIXsr10test_utilsE35device_test_enabled_for_warp_size_vIXT1_EEEvE4typeEPT_S4_,comdat
	.protected	_Z26warp_inclusive_scan_kernelIfLj30ELj3EENSt9enable_ifIXsr10test_utilsE35device_test_enabled_for_warp_size_vIXT1_EEEvE4typeEPT_S4_ ; -- Begin function _Z26warp_inclusive_scan_kernelIfLj30ELj3EENSt9enable_ifIXsr10test_utilsE35device_test_enabled_for_warp_size_vIXT1_EEEvE4typeEPT_S4_
	.globl	_Z26warp_inclusive_scan_kernelIfLj30ELj3EENSt9enable_ifIXsr10test_utilsE35device_test_enabled_for_warp_size_vIXT1_EEEvE4typeEPT_S4_
	.p2align	8
	.type	_Z26warp_inclusive_scan_kernelIfLj30ELj3EENSt9enable_ifIXsr10test_utilsE35device_test_enabled_for_warp_size_vIXT1_EEEvE4typeEPT_S4_,@function
_Z26warp_inclusive_scan_kernelIfLj30ELj3EENSt9enable_ifIXsr10test_utilsE35device_test_enabled_for_warp_size_vIXT1_EEEvE4typeEPT_S4_: ; @_Z26warp_inclusive_scan_kernelIfLj30ELj3EENSt9enable_ifIXsr10test_utilsE35device_test_enabled_for_warp_size_vIXT1_EEEvE4typeEPT_S4_
; %bb.0:
	s_clause 0x1
	s_load_b32 s4, s[0:1], 0x1c
	s_load_b128 s[0:3], s[0:1], 0x0
	s_waitcnt lgkmcnt(0)
	s_and_b32 s4, s4, 0xffff
	s_delay_alu instid0(SALU_CYCLE_1) | instskip(SKIP_2) | instid1(VALU_DEP_1)
	v_mad_u64_u32 v[1:2], null, s15, s4, v[0:1]
	v_mov_b32_e32 v2, 0
	v_mul_u32_u24_e32 v0, 0x5556, v0
	v_lshrrev_b32_e32 v0, 16, v0
	s_delay_alu instid0(VALU_DEP_3) | instskip(NEXT) | instid1(VALU_DEP_1)
	v_lshlrev_b64 v[1:2], 2, v[1:2]
	v_add_co_u32 v3, vcc_lo, s0, v1
	s_delay_alu instid0(VALU_DEP_2) | instskip(SKIP_2) | instid1(VALU_DEP_1)
	v_add_co_ci_u32_e32 v4, vcc_lo, s1, v2, vcc_lo
	global_load_b32 v3, v[3:4], off
	v_mbcnt_lo_u32_b32 v4, -1, 0
	v_mul_hi_u32 v5, 0x55555556, v4
	s_delay_alu instid0(VALU_DEP_1) | instskip(NEXT) | instid1(VALU_DEP_1)
	v_mul_u32_u24_e32 v5, 3, v5
	v_sub_nc_u32_e32 v4, v4, v5
	s_delay_alu instid0(VALU_DEP_1) | instskip(SKIP_1) | instid1(VALU_DEP_2)
	v_lshlrev_b32_e32 v5, 2, v4
	v_cmp_ne_u32_e32 vcc_lo, 0, v4
	v_mad_u32_u24 v0, v0, 12, v5
	s_waitcnt vmcnt(0)
	ds_store_b32 v0, v3
	; wave barrier
	s_and_saveexec_b32 s0, vcc_lo
	s_cbranch_execz .LBB8_2
; %bb.1:
	v_add_nc_u32_e32 v5, -4, v0
	ds_load_b32 v5, v5
	s_waitcnt lgkmcnt(0)
	v_add_f32_e32 v3, v3, v5
.LBB8_2:
	s_or_b32 exec_lo, exec_lo, s0
	; wave barrier
	s_and_saveexec_b32 s0, vcc_lo
	s_cbranch_execz .LBB8_4
; %bb.3:
	ds_store_b32 v0, v3
.LBB8_4:
	s_or_b32 exec_lo, exec_lo, s0
	v_cmp_lt_u32_e32 vcc_lo, 1, v4
	; wave barrier
	s_and_saveexec_b32 s0, vcc_lo
	s_cbranch_execz .LBB8_6
; %bb.5:
	v_add_nc_u32_e32 v4, -8, v0
	ds_load_b32 v4, v4
	s_waitcnt lgkmcnt(0)
	v_add_f32_e32 v3, v3, v4
.LBB8_6:
	s_or_b32 exec_lo, exec_lo, s0
	; wave barrier
	s_and_saveexec_b32 s0, vcc_lo
	s_cbranch_execz .LBB8_8
; %bb.7:
	ds_store_b32 v0, v3
.LBB8_8:
	s_or_b32 exec_lo, exec_lo, s0
	v_add_co_u32 v0, vcc_lo, s2, v1
	v_add_co_ci_u32_e32 v1, vcc_lo, s3, v2, vcc_lo
	; wave barrier
	global_store_b32 v[0:1], v3, off
	s_nop 0
	s_sendmsg sendmsg(MSG_DEALLOC_VGPRS)
	s_endpgm
	.section	.rodata,"a",@progbits
	.p2align	6, 0x0
	.amdhsa_kernel _Z26warp_inclusive_scan_kernelIfLj30ELj3EENSt9enable_ifIXsr10test_utilsE35device_test_enabled_for_warp_size_vIXT1_EEEvE4typeEPT_S4_
		.amdhsa_group_segment_fixed_size 120
		.amdhsa_private_segment_fixed_size 0
		.amdhsa_kernarg_size 272
		.amdhsa_user_sgpr_count 15
		.amdhsa_user_sgpr_dispatch_ptr 0
		.amdhsa_user_sgpr_queue_ptr 0
		.amdhsa_user_sgpr_kernarg_segment_ptr 1
		.amdhsa_user_sgpr_dispatch_id 0
		.amdhsa_user_sgpr_private_segment_size 0
		.amdhsa_wavefront_size32 1
		.amdhsa_uses_dynamic_stack 0
		.amdhsa_enable_private_segment 0
		.amdhsa_system_sgpr_workgroup_id_x 1
		.amdhsa_system_sgpr_workgroup_id_y 0
		.amdhsa_system_sgpr_workgroup_id_z 0
		.amdhsa_system_sgpr_workgroup_info 0
		.amdhsa_system_vgpr_workitem_id 0
		.amdhsa_next_free_vgpr 6
		.amdhsa_next_free_sgpr 16
		.amdhsa_reserve_vcc 1
		.amdhsa_float_round_mode_32 0
		.amdhsa_float_round_mode_16_64 0
		.amdhsa_float_denorm_mode_32 3
		.amdhsa_float_denorm_mode_16_64 3
		.amdhsa_dx10_clamp 1
		.amdhsa_ieee_mode 1
		.amdhsa_fp16_overflow 0
		.amdhsa_workgroup_processor_mode 1
		.amdhsa_memory_ordered 1
		.amdhsa_forward_progress 0
		.amdhsa_shared_vgpr_count 0
		.amdhsa_exception_fp_ieee_invalid_op 0
		.amdhsa_exception_fp_denorm_src 0
		.amdhsa_exception_fp_ieee_div_zero 0
		.amdhsa_exception_fp_ieee_overflow 0
		.amdhsa_exception_fp_ieee_underflow 0
		.amdhsa_exception_fp_ieee_inexact 0
		.amdhsa_exception_int_div_zero 0
	.end_amdhsa_kernel
	.section	.text._Z26warp_inclusive_scan_kernelIfLj30ELj3EENSt9enable_ifIXsr10test_utilsE35device_test_enabled_for_warp_size_vIXT1_EEEvE4typeEPT_S4_,"axG",@progbits,_Z26warp_inclusive_scan_kernelIfLj30ELj3EENSt9enable_ifIXsr10test_utilsE35device_test_enabled_for_warp_size_vIXT1_EEEvE4typeEPT_S4_,comdat
.Lfunc_end8:
	.size	_Z26warp_inclusive_scan_kernelIfLj30ELj3EENSt9enable_ifIXsr10test_utilsE35device_test_enabled_for_warp_size_vIXT1_EEEvE4typeEPT_S4_, .Lfunc_end8-_Z26warp_inclusive_scan_kernelIfLj30ELj3EENSt9enable_ifIXsr10test_utilsE35device_test_enabled_for_warp_size_vIXT1_EEEvE4typeEPT_S4_
                                        ; -- End function
	.section	.AMDGPU.csdata,"",@progbits
; Kernel info:
; codeLenInByte = 300
; NumSgprs: 18
; NumVgprs: 6
; ScratchSize: 0
; MemoryBound: 0
; FloatMode: 240
; IeeeMode: 1
; LDSByteSize: 120 bytes/workgroup (compile time only)
; SGPRBlocks: 2
; VGPRBlocks: 0
; NumSGPRsForWavesPerEU: 18
; NumVGPRsForWavesPerEU: 6
; Occupancy: 16
; WaveLimiterHint : 0
; COMPUTE_PGM_RSRC2:SCRATCH_EN: 0
; COMPUTE_PGM_RSRC2:USER_SGPR: 15
; COMPUTE_PGM_RSRC2:TRAP_HANDLER: 0
; COMPUTE_PGM_RSRC2:TGID_X_EN: 1
; COMPUTE_PGM_RSRC2:TGID_Y_EN: 0
; COMPUTE_PGM_RSRC2:TGID_Z_EN: 0
; COMPUTE_PGM_RSRC2:TIDIG_COMP_CNT: 0
	.section	.text._Z26warp_inclusive_scan_kernelIfLj63ELj3EENSt9enable_ifIXsr10test_utilsE35device_test_enabled_for_warp_size_vIXT1_EEEvE4typeEPT_S4_,"axG",@progbits,_Z26warp_inclusive_scan_kernelIfLj63ELj3EENSt9enable_ifIXsr10test_utilsE35device_test_enabled_for_warp_size_vIXT1_EEEvE4typeEPT_S4_,comdat
	.protected	_Z26warp_inclusive_scan_kernelIfLj63ELj3EENSt9enable_ifIXsr10test_utilsE35device_test_enabled_for_warp_size_vIXT1_EEEvE4typeEPT_S4_ ; -- Begin function _Z26warp_inclusive_scan_kernelIfLj63ELj3EENSt9enable_ifIXsr10test_utilsE35device_test_enabled_for_warp_size_vIXT1_EEEvE4typeEPT_S4_
	.globl	_Z26warp_inclusive_scan_kernelIfLj63ELj3EENSt9enable_ifIXsr10test_utilsE35device_test_enabled_for_warp_size_vIXT1_EEEvE4typeEPT_S4_
	.p2align	8
	.type	_Z26warp_inclusive_scan_kernelIfLj63ELj3EENSt9enable_ifIXsr10test_utilsE35device_test_enabled_for_warp_size_vIXT1_EEEvE4typeEPT_S4_,@function
_Z26warp_inclusive_scan_kernelIfLj63ELj3EENSt9enable_ifIXsr10test_utilsE35device_test_enabled_for_warp_size_vIXT1_EEEvE4typeEPT_S4_: ; @_Z26warp_inclusive_scan_kernelIfLj63ELj3EENSt9enable_ifIXsr10test_utilsE35device_test_enabled_for_warp_size_vIXT1_EEEvE4typeEPT_S4_
; %bb.0:
	s_clause 0x1
	s_load_b32 s4, s[0:1], 0x1c
	s_load_b128 s[0:3], s[0:1], 0x0
	s_waitcnt lgkmcnt(0)
	s_and_b32 s4, s4, 0xffff
	s_delay_alu instid0(SALU_CYCLE_1) | instskip(SKIP_2) | instid1(VALU_DEP_1)
	v_mad_u64_u32 v[1:2], null, s15, s4, v[0:1]
	v_mov_b32_e32 v2, 0
	v_mul_u32_u24_e32 v0, 0x5556, v0
	v_lshrrev_b32_e32 v0, 16, v0
	s_delay_alu instid0(VALU_DEP_3) | instskip(NEXT) | instid1(VALU_DEP_1)
	v_lshlrev_b64 v[1:2], 2, v[1:2]
	v_add_co_u32 v3, vcc_lo, s0, v1
	s_delay_alu instid0(VALU_DEP_2) | instskip(SKIP_2) | instid1(VALU_DEP_1)
	v_add_co_ci_u32_e32 v4, vcc_lo, s1, v2, vcc_lo
	global_load_b32 v3, v[3:4], off
	v_mbcnt_lo_u32_b32 v4, -1, 0
	v_mul_hi_u32 v5, 0x55555556, v4
	s_delay_alu instid0(VALU_DEP_1) | instskip(NEXT) | instid1(VALU_DEP_1)
	v_mul_u32_u24_e32 v5, 3, v5
	v_sub_nc_u32_e32 v4, v4, v5
	s_delay_alu instid0(VALU_DEP_1) | instskip(SKIP_1) | instid1(VALU_DEP_2)
	v_lshlrev_b32_e32 v5, 2, v4
	v_cmp_ne_u32_e32 vcc_lo, 0, v4
	v_mad_u32_u24 v0, v0, 12, v5
	s_waitcnt vmcnt(0)
	ds_store_b32 v0, v3
	; wave barrier
	s_and_saveexec_b32 s0, vcc_lo
	s_cbranch_execz .LBB9_2
; %bb.1:
	v_add_nc_u32_e32 v5, -4, v0
	ds_load_b32 v5, v5
	s_waitcnt lgkmcnt(0)
	v_add_f32_e32 v3, v3, v5
.LBB9_2:
	s_or_b32 exec_lo, exec_lo, s0
	; wave barrier
	s_and_saveexec_b32 s0, vcc_lo
	s_cbranch_execz .LBB9_4
; %bb.3:
	ds_store_b32 v0, v3
.LBB9_4:
	s_or_b32 exec_lo, exec_lo, s0
	v_cmp_lt_u32_e32 vcc_lo, 1, v4
	; wave barrier
	s_and_saveexec_b32 s0, vcc_lo
	s_cbranch_execz .LBB9_6
; %bb.5:
	v_add_nc_u32_e32 v4, -8, v0
	ds_load_b32 v4, v4
	s_waitcnt lgkmcnt(0)
	v_add_f32_e32 v3, v3, v4
.LBB9_6:
	s_or_b32 exec_lo, exec_lo, s0
	; wave barrier
	s_and_saveexec_b32 s0, vcc_lo
	s_cbranch_execz .LBB9_8
; %bb.7:
	ds_store_b32 v0, v3
.LBB9_8:
	s_or_b32 exec_lo, exec_lo, s0
	v_add_co_u32 v0, vcc_lo, s2, v1
	v_add_co_ci_u32_e32 v1, vcc_lo, s3, v2, vcc_lo
	; wave barrier
	global_store_b32 v[0:1], v3, off
	s_nop 0
	s_sendmsg sendmsg(MSG_DEALLOC_VGPRS)
	s_endpgm
	.section	.rodata,"a",@progbits
	.p2align	6, 0x0
	.amdhsa_kernel _Z26warp_inclusive_scan_kernelIfLj63ELj3EENSt9enable_ifIXsr10test_utilsE35device_test_enabled_for_warp_size_vIXT1_EEEvE4typeEPT_S4_
		.amdhsa_group_segment_fixed_size 252
		.amdhsa_private_segment_fixed_size 0
		.amdhsa_kernarg_size 272
		.amdhsa_user_sgpr_count 15
		.amdhsa_user_sgpr_dispatch_ptr 0
		.amdhsa_user_sgpr_queue_ptr 0
		.amdhsa_user_sgpr_kernarg_segment_ptr 1
		.amdhsa_user_sgpr_dispatch_id 0
		.amdhsa_user_sgpr_private_segment_size 0
		.amdhsa_wavefront_size32 1
		.amdhsa_uses_dynamic_stack 0
		.amdhsa_enable_private_segment 0
		.amdhsa_system_sgpr_workgroup_id_x 1
		.amdhsa_system_sgpr_workgroup_id_y 0
		.amdhsa_system_sgpr_workgroup_id_z 0
		.amdhsa_system_sgpr_workgroup_info 0
		.amdhsa_system_vgpr_workitem_id 0
		.amdhsa_next_free_vgpr 6
		.amdhsa_next_free_sgpr 16
		.amdhsa_reserve_vcc 1
		.amdhsa_float_round_mode_32 0
		.amdhsa_float_round_mode_16_64 0
		.amdhsa_float_denorm_mode_32 3
		.amdhsa_float_denorm_mode_16_64 3
		.amdhsa_dx10_clamp 1
		.amdhsa_ieee_mode 1
		.amdhsa_fp16_overflow 0
		.amdhsa_workgroup_processor_mode 1
		.amdhsa_memory_ordered 1
		.amdhsa_forward_progress 0
		.amdhsa_shared_vgpr_count 0
		.amdhsa_exception_fp_ieee_invalid_op 0
		.amdhsa_exception_fp_denorm_src 0
		.amdhsa_exception_fp_ieee_div_zero 0
		.amdhsa_exception_fp_ieee_overflow 0
		.amdhsa_exception_fp_ieee_underflow 0
		.amdhsa_exception_fp_ieee_inexact 0
		.amdhsa_exception_int_div_zero 0
	.end_amdhsa_kernel
	.section	.text._Z26warp_inclusive_scan_kernelIfLj63ELj3EENSt9enable_ifIXsr10test_utilsE35device_test_enabled_for_warp_size_vIXT1_EEEvE4typeEPT_S4_,"axG",@progbits,_Z26warp_inclusive_scan_kernelIfLj63ELj3EENSt9enable_ifIXsr10test_utilsE35device_test_enabled_for_warp_size_vIXT1_EEEvE4typeEPT_S4_,comdat
.Lfunc_end9:
	.size	_Z26warp_inclusive_scan_kernelIfLj63ELj3EENSt9enable_ifIXsr10test_utilsE35device_test_enabled_for_warp_size_vIXT1_EEEvE4typeEPT_S4_, .Lfunc_end9-_Z26warp_inclusive_scan_kernelIfLj63ELj3EENSt9enable_ifIXsr10test_utilsE35device_test_enabled_for_warp_size_vIXT1_EEEvE4typeEPT_S4_
                                        ; -- End function
	.section	.AMDGPU.csdata,"",@progbits
; Kernel info:
; codeLenInByte = 300
; NumSgprs: 18
; NumVgprs: 6
; ScratchSize: 0
; MemoryBound: 0
; FloatMode: 240
; IeeeMode: 1
; LDSByteSize: 252 bytes/workgroup (compile time only)
; SGPRBlocks: 2
; VGPRBlocks: 0
; NumSGPRsForWavesPerEU: 18
; NumVGPRsForWavesPerEU: 6
; Occupancy: 16
; WaveLimiterHint : 0
; COMPUTE_PGM_RSRC2:SCRATCH_EN: 0
; COMPUTE_PGM_RSRC2:USER_SGPR: 15
; COMPUTE_PGM_RSRC2:TRAP_HANDLER: 0
; COMPUTE_PGM_RSRC2:TGID_X_EN: 1
; COMPUTE_PGM_RSRC2:TGID_Y_EN: 0
; COMPUTE_PGM_RSRC2:TGID_Z_EN: 0
; COMPUTE_PGM_RSRC2:TIDIG_COMP_CNT: 0
	.section	.text._Z26warp_inclusive_scan_kernelIiLj1ELj61EENSt9enable_ifIXntsr10test_utilsE35device_test_enabled_for_warp_size_vIXT1_EEEvE4typeEPT_S4_,"axG",@progbits,_Z26warp_inclusive_scan_kernelIiLj1ELj61EENSt9enable_ifIXntsr10test_utilsE35device_test_enabled_for_warp_size_vIXT1_EEEvE4typeEPT_S4_,comdat
	.protected	_Z26warp_inclusive_scan_kernelIiLj1ELj61EENSt9enable_ifIXntsr10test_utilsE35device_test_enabled_for_warp_size_vIXT1_EEEvE4typeEPT_S4_ ; -- Begin function _Z26warp_inclusive_scan_kernelIiLj1ELj61EENSt9enable_ifIXntsr10test_utilsE35device_test_enabled_for_warp_size_vIXT1_EEEvE4typeEPT_S4_
	.globl	_Z26warp_inclusive_scan_kernelIiLj1ELj61EENSt9enable_ifIXntsr10test_utilsE35device_test_enabled_for_warp_size_vIXT1_EEEvE4typeEPT_S4_
	.p2align	8
	.type	_Z26warp_inclusive_scan_kernelIiLj1ELj61EENSt9enable_ifIXntsr10test_utilsE35device_test_enabled_for_warp_size_vIXT1_EEEvE4typeEPT_S4_,@function
_Z26warp_inclusive_scan_kernelIiLj1ELj61EENSt9enable_ifIXntsr10test_utilsE35device_test_enabled_for_warp_size_vIXT1_EEEvE4typeEPT_S4_: ; @_Z26warp_inclusive_scan_kernelIiLj1ELj61EENSt9enable_ifIXntsr10test_utilsE35device_test_enabled_for_warp_size_vIXT1_EEEvE4typeEPT_S4_
; %bb.0:
	s_endpgm
	.section	.rodata,"a",@progbits
	.p2align	6, 0x0
	.amdhsa_kernel _Z26warp_inclusive_scan_kernelIiLj1ELj61EENSt9enable_ifIXntsr10test_utilsE35device_test_enabled_for_warp_size_vIXT1_EEEvE4typeEPT_S4_
		.amdhsa_group_segment_fixed_size 0
		.amdhsa_private_segment_fixed_size 0
		.amdhsa_kernarg_size 16
		.amdhsa_user_sgpr_count 15
		.amdhsa_user_sgpr_dispatch_ptr 0
		.amdhsa_user_sgpr_queue_ptr 0
		.amdhsa_user_sgpr_kernarg_segment_ptr 1
		.amdhsa_user_sgpr_dispatch_id 0
		.amdhsa_user_sgpr_private_segment_size 0
		.amdhsa_wavefront_size32 1
		.amdhsa_uses_dynamic_stack 0
		.amdhsa_enable_private_segment 0
		.amdhsa_system_sgpr_workgroup_id_x 1
		.amdhsa_system_sgpr_workgroup_id_y 0
		.amdhsa_system_sgpr_workgroup_id_z 0
		.amdhsa_system_sgpr_workgroup_info 0
		.amdhsa_system_vgpr_workitem_id 0
		.amdhsa_next_free_vgpr 1
		.amdhsa_next_free_sgpr 1
		.amdhsa_reserve_vcc 0
		.amdhsa_float_round_mode_32 0
		.amdhsa_float_round_mode_16_64 0
		.amdhsa_float_denorm_mode_32 3
		.amdhsa_float_denorm_mode_16_64 3
		.amdhsa_dx10_clamp 1
		.amdhsa_ieee_mode 1
		.amdhsa_fp16_overflow 0
		.amdhsa_workgroup_processor_mode 1
		.amdhsa_memory_ordered 1
		.amdhsa_forward_progress 0
		.amdhsa_shared_vgpr_count 0
		.amdhsa_exception_fp_ieee_invalid_op 0
		.amdhsa_exception_fp_denorm_src 0
		.amdhsa_exception_fp_ieee_div_zero 0
		.amdhsa_exception_fp_ieee_overflow 0
		.amdhsa_exception_fp_ieee_underflow 0
		.amdhsa_exception_fp_ieee_inexact 0
		.amdhsa_exception_int_div_zero 0
	.end_amdhsa_kernel
	.section	.text._Z26warp_inclusive_scan_kernelIiLj1ELj61EENSt9enable_ifIXntsr10test_utilsE35device_test_enabled_for_warp_size_vIXT1_EEEvE4typeEPT_S4_,"axG",@progbits,_Z26warp_inclusive_scan_kernelIiLj1ELj61EENSt9enable_ifIXntsr10test_utilsE35device_test_enabled_for_warp_size_vIXT1_EEEvE4typeEPT_S4_,comdat
.Lfunc_end10:
	.size	_Z26warp_inclusive_scan_kernelIiLj1ELj61EENSt9enable_ifIXntsr10test_utilsE35device_test_enabled_for_warp_size_vIXT1_EEEvE4typeEPT_S4_, .Lfunc_end10-_Z26warp_inclusive_scan_kernelIiLj1ELj61EENSt9enable_ifIXntsr10test_utilsE35device_test_enabled_for_warp_size_vIXT1_EEEvE4typeEPT_S4_
                                        ; -- End function
	.section	.AMDGPU.csdata,"",@progbits
; Kernel info:
; codeLenInByte = 4
; NumSgprs: 0
; NumVgprs: 0
; ScratchSize: 0
; MemoryBound: 0
; FloatMode: 240
; IeeeMode: 1
; LDSByteSize: 0 bytes/workgroup (compile time only)
; SGPRBlocks: 0
; VGPRBlocks: 0
; NumSGPRsForWavesPerEU: 1
; NumVGPRsForWavesPerEU: 1
; Occupancy: 16
; WaveLimiterHint : 0
; COMPUTE_PGM_RSRC2:SCRATCH_EN: 0
; COMPUTE_PGM_RSRC2:USER_SGPR: 15
; COMPUTE_PGM_RSRC2:TRAP_HANDLER: 0
; COMPUTE_PGM_RSRC2:TGID_X_EN: 1
; COMPUTE_PGM_RSRC2:TGID_Y_EN: 0
; COMPUTE_PGM_RSRC2:TGID_Z_EN: 0
; COMPUTE_PGM_RSRC2:TIDIG_COMP_CNT: 0
	.section	.text._Z26warp_inclusive_scan_kernelIiLj61ELj61EENSt9enable_ifIXntsr10test_utilsE35device_test_enabled_for_warp_size_vIXT1_EEEvE4typeEPT_S4_,"axG",@progbits,_Z26warp_inclusive_scan_kernelIiLj61ELj61EENSt9enable_ifIXntsr10test_utilsE35device_test_enabled_for_warp_size_vIXT1_EEEvE4typeEPT_S4_,comdat
	.protected	_Z26warp_inclusive_scan_kernelIiLj61ELj61EENSt9enable_ifIXntsr10test_utilsE35device_test_enabled_for_warp_size_vIXT1_EEEvE4typeEPT_S4_ ; -- Begin function _Z26warp_inclusive_scan_kernelIiLj61ELj61EENSt9enable_ifIXntsr10test_utilsE35device_test_enabled_for_warp_size_vIXT1_EEEvE4typeEPT_S4_
	.globl	_Z26warp_inclusive_scan_kernelIiLj61ELj61EENSt9enable_ifIXntsr10test_utilsE35device_test_enabled_for_warp_size_vIXT1_EEEvE4typeEPT_S4_
	.p2align	8
	.type	_Z26warp_inclusive_scan_kernelIiLj61ELj61EENSt9enable_ifIXntsr10test_utilsE35device_test_enabled_for_warp_size_vIXT1_EEEvE4typeEPT_S4_,@function
_Z26warp_inclusive_scan_kernelIiLj61ELj61EENSt9enable_ifIXntsr10test_utilsE35device_test_enabled_for_warp_size_vIXT1_EEEvE4typeEPT_S4_: ; @_Z26warp_inclusive_scan_kernelIiLj61ELj61EENSt9enable_ifIXntsr10test_utilsE35device_test_enabled_for_warp_size_vIXT1_EEEvE4typeEPT_S4_
; %bb.0:
	s_endpgm
	.section	.rodata,"a",@progbits
	.p2align	6, 0x0
	.amdhsa_kernel _Z26warp_inclusive_scan_kernelIiLj61ELj61EENSt9enable_ifIXntsr10test_utilsE35device_test_enabled_for_warp_size_vIXT1_EEEvE4typeEPT_S4_
		.amdhsa_group_segment_fixed_size 0
		.amdhsa_private_segment_fixed_size 0
		.amdhsa_kernarg_size 16
		.amdhsa_user_sgpr_count 15
		.amdhsa_user_sgpr_dispatch_ptr 0
		.amdhsa_user_sgpr_queue_ptr 0
		.amdhsa_user_sgpr_kernarg_segment_ptr 1
		.amdhsa_user_sgpr_dispatch_id 0
		.amdhsa_user_sgpr_private_segment_size 0
		.amdhsa_wavefront_size32 1
		.amdhsa_uses_dynamic_stack 0
		.amdhsa_enable_private_segment 0
		.amdhsa_system_sgpr_workgroup_id_x 1
		.amdhsa_system_sgpr_workgroup_id_y 0
		.amdhsa_system_sgpr_workgroup_id_z 0
		.amdhsa_system_sgpr_workgroup_info 0
		.amdhsa_system_vgpr_workitem_id 0
		.amdhsa_next_free_vgpr 1
		.amdhsa_next_free_sgpr 1
		.amdhsa_reserve_vcc 0
		.amdhsa_float_round_mode_32 0
		.amdhsa_float_round_mode_16_64 0
		.amdhsa_float_denorm_mode_32 3
		.amdhsa_float_denorm_mode_16_64 3
		.amdhsa_dx10_clamp 1
		.amdhsa_ieee_mode 1
		.amdhsa_fp16_overflow 0
		.amdhsa_workgroup_processor_mode 1
		.amdhsa_memory_ordered 1
		.amdhsa_forward_progress 0
		.amdhsa_shared_vgpr_count 0
		.amdhsa_exception_fp_ieee_invalid_op 0
		.amdhsa_exception_fp_denorm_src 0
		.amdhsa_exception_fp_ieee_div_zero 0
		.amdhsa_exception_fp_ieee_overflow 0
		.amdhsa_exception_fp_ieee_underflow 0
		.amdhsa_exception_fp_ieee_inexact 0
		.amdhsa_exception_int_div_zero 0
	.end_amdhsa_kernel
	.section	.text._Z26warp_inclusive_scan_kernelIiLj61ELj61EENSt9enable_ifIXntsr10test_utilsE35device_test_enabled_for_warp_size_vIXT1_EEEvE4typeEPT_S4_,"axG",@progbits,_Z26warp_inclusive_scan_kernelIiLj61ELj61EENSt9enable_ifIXntsr10test_utilsE35device_test_enabled_for_warp_size_vIXT1_EEEvE4typeEPT_S4_,comdat
.Lfunc_end11:
	.size	_Z26warp_inclusive_scan_kernelIiLj61ELj61EENSt9enable_ifIXntsr10test_utilsE35device_test_enabled_for_warp_size_vIXT1_EEEvE4typeEPT_S4_, .Lfunc_end11-_Z26warp_inclusive_scan_kernelIiLj61ELj61EENSt9enable_ifIXntsr10test_utilsE35device_test_enabled_for_warp_size_vIXT1_EEEvE4typeEPT_S4_
                                        ; -- End function
	.section	.AMDGPU.csdata,"",@progbits
; Kernel info:
; codeLenInByte = 4
; NumSgprs: 0
; NumVgprs: 0
; ScratchSize: 0
; MemoryBound: 0
; FloatMode: 240
; IeeeMode: 1
; LDSByteSize: 0 bytes/workgroup (compile time only)
; SGPRBlocks: 0
; VGPRBlocks: 0
; NumSGPRsForWavesPerEU: 1
; NumVGPRsForWavesPerEU: 1
; Occupancy: 16
; WaveLimiterHint : 0
; COMPUTE_PGM_RSRC2:SCRATCH_EN: 0
; COMPUTE_PGM_RSRC2:USER_SGPR: 15
; COMPUTE_PGM_RSRC2:TRAP_HANDLER: 0
; COMPUTE_PGM_RSRC2:TGID_X_EN: 1
; COMPUTE_PGM_RSRC2:TGID_Y_EN: 0
; COMPUTE_PGM_RSRC2:TGID_Z_EN: 0
; COMPUTE_PGM_RSRC2:TIDIG_COMP_CNT: 0
	.section	.text._Z26warp_inclusive_scan_kernelIiLj1ELj37EENSt9enable_ifIXntsr10test_utilsE35device_test_enabled_for_warp_size_vIXT1_EEEvE4typeEPT_S4_,"axG",@progbits,_Z26warp_inclusive_scan_kernelIiLj1ELj37EENSt9enable_ifIXntsr10test_utilsE35device_test_enabled_for_warp_size_vIXT1_EEEvE4typeEPT_S4_,comdat
	.protected	_Z26warp_inclusive_scan_kernelIiLj1ELj37EENSt9enable_ifIXntsr10test_utilsE35device_test_enabled_for_warp_size_vIXT1_EEEvE4typeEPT_S4_ ; -- Begin function _Z26warp_inclusive_scan_kernelIiLj1ELj37EENSt9enable_ifIXntsr10test_utilsE35device_test_enabled_for_warp_size_vIXT1_EEEvE4typeEPT_S4_
	.globl	_Z26warp_inclusive_scan_kernelIiLj1ELj37EENSt9enable_ifIXntsr10test_utilsE35device_test_enabled_for_warp_size_vIXT1_EEEvE4typeEPT_S4_
	.p2align	8
	.type	_Z26warp_inclusive_scan_kernelIiLj1ELj37EENSt9enable_ifIXntsr10test_utilsE35device_test_enabled_for_warp_size_vIXT1_EEEvE4typeEPT_S4_,@function
_Z26warp_inclusive_scan_kernelIiLj1ELj37EENSt9enable_ifIXntsr10test_utilsE35device_test_enabled_for_warp_size_vIXT1_EEEvE4typeEPT_S4_: ; @_Z26warp_inclusive_scan_kernelIiLj1ELj37EENSt9enable_ifIXntsr10test_utilsE35device_test_enabled_for_warp_size_vIXT1_EEEvE4typeEPT_S4_
; %bb.0:
	s_endpgm
	.section	.rodata,"a",@progbits
	.p2align	6, 0x0
	.amdhsa_kernel _Z26warp_inclusive_scan_kernelIiLj1ELj37EENSt9enable_ifIXntsr10test_utilsE35device_test_enabled_for_warp_size_vIXT1_EEEvE4typeEPT_S4_
		.amdhsa_group_segment_fixed_size 0
		.amdhsa_private_segment_fixed_size 0
		.amdhsa_kernarg_size 16
		.amdhsa_user_sgpr_count 15
		.amdhsa_user_sgpr_dispatch_ptr 0
		.amdhsa_user_sgpr_queue_ptr 0
		.amdhsa_user_sgpr_kernarg_segment_ptr 1
		.amdhsa_user_sgpr_dispatch_id 0
		.amdhsa_user_sgpr_private_segment_size 0
		.amdhsa_wavefront_size32 1
		.amdhsa_uses_dynamic_stack 0
		.amdhsa_enable_private_segment 0
		.amdhsa_system_sgpr_workgroup_id_x 1
		.amdhsa_system_sgpr_workgroup_id_y 0
		.amdhsa_system_sgpr_workgroup_id_z 0
		.amdhsa_system_sgpr_workgroup_info 0
		.amdhsa_system_vgpr_workitem_id 0
		.amdhsa_next_free_vgpr 1
		.amdhsa_next_free_sgpr 1
		.amdhsa_reserve_vcc 0
		.amdhsa_float_round_mode_32 0
		.amdhsa_float_round_mode_16_64 0
		.amdhsa_float_denorm_mode_32 3
		.amdhsa_float_denorm_mode_16_64 3
		.amdhsa_dx10_clamp 1
		.amdhsa_ieee_mode 1
		.amdhsa_fp16_overflow 0
		.amdhsa_workgroup_processor_mode 1
		.amdhsa_memory_ordered 1
		.amdhsa_forward_progress 0
		.amdhsa_shared_vgpr_count 0
		.amdhsa_exception_fp_ieee_invalid_op 0
		.amdhsa_exception_fp_denorm_src 0
		.amdhsa_exception_fp_ieee_div_zero 0
		.amdhsa_exception_fp_ieee_overflow 0
		.amdhsa_exception_fp_ieee_underflow 0
		.amdhsa_exception_fp_ieee_inexact 0
		.amdhsa_exception_int_div_zero 0
	.end_amdhsa_kernel
	.section	.text._Z26warp_inclusive_scan_kernelIiLj1ELj37EENSt9enable_ifIXntsr10test_utilsE35device_test_enabled_for_warp_size_vIXT1_EEEvE4typeEPT_S4_,"axG",@progbits,_Z26warp_inclusive_scan_kernelIiLj1ELj37EENSt9enable_ifIXntsr10test_utilsE35device_test_enabled_for_warp_size_vIXT1_EEEvE4typeEPT_S4_,comdat
.Lfunc_end12:
	.size	_Z26warp_inclusive_scan_kernelIiLj1ELj37EENSt9enable_ifIXntsr10test_utilsE35device_test_enabled_for_warp_size_vIXT1_EEEvE4typeEPT_S4_, .Lfunc_end12-_Z26warp_inclusive_scan_kernelIiLj1ELj37EENSt9enable_ifIXntsr10test_utilsE35device_test_enabled_for_warp_size_vIXT1_EEEvE4typeEPT_S4_
                                        ; -- End function
	.section	.AMDGPU.csdata,"",@progbits
; Kernel info:
; codeLenInByte = 4
; NumSgprs: 0
; NumVgprs: 0
; ScratchSize: 0
; MemoryBound: 0
; FloatMode: 240
; IeeeMode: 1
; LDSByteSize: 0 bytes/workgroup (compile time only)
; SGPRBlocks: 0
; VGPRBlocks: 0
; NumSGPRsForWavesPerEU: 1
; NumVGPRsForWavesPerEU: 1
; Occupancy: 16
; WaveLimiterHint : 0
; COMPUTE_PGM_RSRC2:SCRATCH_EN: 0
; COMPUTE_PGM_RSRC2:USER_SGPR: 15
; COMPUTE_PGM_RSRC2:TRAP_HANDLER: 0
; COMPUTE_PGM_RSRC2:TGID_X_EN: 1
; COMPUTE_PGM_RSRC2:TGID_Y_EN: 0
; COMPUTE_PGM_RSRC2:TGID_Z_EN: 0
; COMPUTE_PGM_RSRC2:TIDIG_COMP_CNT: 0
	.section	.text._Z26warp_inclusive_scan_kernelIiLj37ELj37EENSt9enable_ifIXntsr10test_utilsE35device_test_enabled_for_warp_size_vIXT1_EEEvE4typeEPT_S4_,"axG",@progbits,_Z26warp_inclusive_scan_kernelIiLj37ELj37EENSt9enable_ifIXntsr10test_utilsE35device_test_enabled_for_warp_size_vIXT1_EEEvE4typeEPT_S4_,comdat
	.protected	_Z26warp_inclusive_scan_kernelIiLj37ELj37EENSt9enable_ifIXntsr10test_utilsE35device_test_enabled_for_warp_size_vIXT1_EEEvE4typeEPT_S4_ ; -- Begin function _Z26warp_inclusive_scan_kernelIiLj37ELj37EENSt9enable_ifIXntsr10test_utilsE35device_test_enabled_for_warp_size_vIXT1_EEEvE4typeEPT_S4_
	.globl	_Z26warp_inclusive_scan_kernelIiLj37ELj37EENSt9enable_ifIXntsr10test_utilsE35device_test_enabled_for_warp_size_vIXT1_EEEvE4typeEPT_S4_
	.p2align	8
	.type	_Z26warp_inclusive_scan_kernelIiLj37ELj37EENSt9enable_ifIXntsr10test_utilsE35device_test_enabled_for_warp_size_vIXT1_EEEvE4typeEPT_S4_,@function
_Z26warp_inclusive_scan_kernelIiLj37ELj37EENSt9enable_ifIXntsr10test_utilsE35device_test_enabled_for_warp_size_vIXT1_EEEvE4typeEPT_S4_: ; @_Z26warp_inclusive_scan_kernelIiLj37ELj37EENSt9enable_ifIXntsr10test_utilsE35device_test_enabled_for_warp_size_vIXT1_EEEvE4typeEPT_S4_
; %bb.0:
	s_endpgm
	.section	.rodata,"a",@progbits
	.p2align	6, 0x0
	.amdhsa_kernel _Z26warp_inclusive_scan_kernelIiLj37ELj37EENSt9enable_ifIXntsr10test_utilsE35device_test_enabled_for_warp_size_vIXT1_EEEvE4typeEPT_S4_
		.amdhsa_group_segment_fixed_size 0
		.amdhsa_private_segment_fixed_size 0
		.amdhsa_kernarg_size 16
		.amdhsa_user_sgpr_count 15
		.amdhsa_user_sgpr_dispatch_ptr 0
		.amdhsa_user_sgpr_queue_ptr 0
		.amdhsa_user_sgpr_kernarg_segment_ptr 1
		.amdhsa_user_sgpr_dispatch_id 0
		.amdhsa_user_sgpr_private_segment_size 0
		.amdhsa_wavefront_size32 1
		.amdhsa_uses_dynamic_stack 0
		.amdhsa_enable_private_segment 0
		.amdhsa_system_sgpr_workgroup_id_x 1
		.amdhsa_system_sgpr_workgroup_id_y 0
		.amdhsa_system_sgpr_workgroup_id_z 0
		.amdhsa_system_sgpr_workgroup_info 0
		.amdhsa_system_vgpr_workitem_id 0
		.amdhsa_next_free_vgpr 1
		.amdhsa_next_free_sgpr 1
		.amdhsa_reserve_vcc 0
		.amdhsa_float_round_mode_32 0
		.amdhsa_float_round_mode_16_64 0
		.amdhsa_float_denorm_mode_32 3
		.amdhsa_float_denorm_mode_16_64 3
		.amdhsa_dx10_clamp 1
		.amdhsa_ieee_mode 1
		.amdhsa_fp16_overflow 0
		.amdhsa_workgroup_processor_mode 1
		.amdhsa_memory_ordered 1
		.amdhsa_forward_progress 0
		.amdhsa_shared_vgpr_count 0
		.amdhsa_exception_fp_ieee_invalid_op 0
		.amdhsa_exception_fp_denorm_src 0
		.amdhsa_exception_fp_ieee_div_zero 0
		.amdhsa_exception_fp_ieee_overflow 0
		.amdhsa_exception_fp_ieee_underflow 0
		.amdhsa_exception_fp_ieee_inexact 0
		.amdhsa_exception_int_div_zero 0
	.end_amdhsa_kernel
	.section	.text._Z26warp_inclusive_scan_kernelIiLj37ELj37EENSt9enable_ifIXntsr10test_utilsE35device_test_enabled_for_warp_size_vIXT1_EEEvE4typeEPT_S4_,"axG",@progbits,_Z26warp_inclusive_scan_kernelIiLj37ELj37EENSt9enable_ifIXntsr10test_utilsE35device_test_enabled_for_warp_size_vIXT1_EEEvE4typeEPT_S4_,comdat
.Lfunc_end13:
	.size	_Z26warp_inclusive_scan_kernelIiLj37ELj37EENSt9enable_ifIXntsr10test_utilsE35device_test_enabled_for_warp_size_vIXT1_EEEvE4typeEPT_S4_, .Lfunc_end13-_Z26warp_inclusive_scan_kernelIiLj37ELj37EENSt9enable_ifIXntsr10test_utilsE35device_test_enabled_for_warp_size_vIXT1_EEEvE4typeEPT_S4_
                                        ; -- End function
	.section	.AMDGPU.csdata,"",@progbits
; Kernel info:
; codeLenInByte = 4
; NumSgprs: 0
; NumVgprs: 0
; ScratchSize: 0
; MemoryBound: 0
; FloatMode: 240
; IeeeMode: 1
; LDSByteSize: 0 bytes/workgroup (compile time only)
; SGPRBlocks: 0
; VGPRBlocks: 0
; NumSGPRsForWavesPerEU: 1
; NumVGPRsForWavesPerEU: 1
; Occupancy: 16
; WaveLimiterHint : 0
; COMPUTE_PGM_RSRC2:SCRATCH_EN: 0
; COMPUTE_PGM_RSRC2:USER_SGPR: 15
; COMPUTE_PGM_RSRC2:TRAP_HANDLER: 0
; COMPUTE_PGM_RSRC2:TGID_X_EN: 1
; COMPUTE_PGM_RSRC2:TGID_Y_EN: 0
; COMPUTE_PGM_RSRC2:TGID_Z_EN: 0
; COMPUTE_PGM_RSRC2:TIDIG_COMP_CNT: 0
	.section	.text._Z26warp_inclusive_scan_kernelIiLj30ELj15EENSt9enable_ifIXsr10test_utilsE35device_test_enabled_for_warp_size_vIXT1_EEEvE4typeEPT_S4_,"axG",@progbits,_Z26warp_inclusive_scan_kernelIiLj30ELj15EENSt9enable_ifIXsr10test_utilsE35device_test_enabled_for_warp_size_vIXT1_EEEvE4typeEPT_S4_,comdat
	.protected	_Z26warp_inclusive_scan_kernelIiLj30ELj15EENSt9enable_ifIXsr10test_utilsE35device_test_enabled_for_warp_size_vIXT1_EEEvE4typeEPT_S4_ ; -- Begin function _Z26warp_inclusive_scan_kernelIiLj30ELj15EENSt9enable_ifIXsr10test_utilsE35device_test_enabled_for_warp_size_vIXT1_EEEvE4typeEPT_S4_
	.globl	_Z26warp_inclusive_scan_kernelIiLj30ELj15EENSt9enable_ifIXsr10test_utilsE35device_test_enabled_for_warp_size_vIXT1_EEEvE4typeEPT_S4_
	.p2align	8
	.type	_Z26warp_inclusive_scan_kernelIiLj30ELj15EENSt9enable_ifIXsr10test_utilsE35device_test_enabled_for_warp_size_vIXT1_EEEvE4typeEPT_S4_,@function
_Z26warp_inclusive_scan_kernelIiLj30ELj15EENSt9enable_ifIXsr10test_utilsE35device_test_enabled_for_warp_size_vIXT1_EEEvE4typeEPT_S4_: ; @_Z26warp_inclusive_scan_kernelIiLj30ELj15EENSt9enable_ifIXsr10test_utilsE35device_test_enabled_for_warp_size_vIXT1_EEEvE4typeEPT_S4_
; %bb.0:
	s_clause 0x1
	s_load_b32 s4, s[0:1], 0x1c
	s_load_b128 s[0:3], s[0:1], 0x0
	s_waitcnt lgkmcnt(0)
	s_and_b32 s4, s4, 0xffff
	s_delay_alu instid0(SALU_CYCLE_1) | instskip(SKIP_2) | instid1(VALU_DEP_1)
	v_mad_u64_u32 v[1:2], null, s15, s4, v[0:1]
	v_mov_b32_e32 v2, 0
	v_mul_u32_u24_e32 v0, 0x1112, v0
	v_lshrrev_b32_e32 v0, 16, v0
	s_delay_alu instid0(VALU_DEP_3) | instskip(NEXT) | instid1(VALU_DEP_1)
	v_lshlrev_b64 v[1:2], 2, v[1:2]
	v_add_co_u32 v3, vcc_lo, s0, v1
	s_delay_alu instid0(VALU_DEP_2) | instskip(SKIP_2) | instid1(VALU_DEP_1)
	v_add_co_ci_u32_e32 v4, vcc_lo, s1, v2, vcc_lo
	global_load_b32 v3, v[3:4], off
	v_mbcnt_lo_u32_b32 v4, -1, 0
	v_mul_hi_u32 v5, 0x11111112, v4
	s_delay_alu instid0(VALU_DEP_1) | instskip(NEXT) | instid1(VALU_DEP_1)
	v_mul_u32_u24_e32 v5, 15, v5
	v_sub_nc_u32_e32 v4, v4, v5
	s_delay_alu instid0(VALU_DEP_1) | instskip(SKIP_1) | instid1(VALU_DEP_2)
	v_lshlrev_b32_e32 v5, 2, v4
	v_cmp_ne_u32_e32 vcc_lo, 0, v4
	v_mad_u32_u24 v0, v0, 60, v5
	s_waitcnt vmcnt(0)
	ds_store_b32 v0, v3
	; wave barrier
	s_and_saveexec_b32 s0, vcc_lo
	s_cbranch_execz .LBB14_2
; %bb.1:
	v_add_nc_u32_e32 v5, -4, v0
	ds_load_b32 v5, v5
	s_waitcnt lgkmcnt(0)
	v_add_nc_u32_e32 v3, v5, v3
.LBB14_2:
	s_or_b32 exec_lo, exec_lo, s0
	; wave barrier
	s_and_saveexec_b32 s0, vcc_lo
	s_cbranch_execz .LBB14_4
; %bb.3:
	ds_store_b32 v0, v3
.LBB14_4:
	s_or_b32 exec_lo, exec_lo, s0
	v_cmp_lt_u32_e32 vcc_lo, 1, v4
	; wave barrier
	s_and_saveexec_b32 s0, vcc_lo
	s_cbranch_execz .LBB14_6
; %bb.5:
	v_add_nc_u32_e32 v5, -8, v0
	ds_load_b32 v5, v5
	s_waitcnt lgkmcnt(0)
	v_add_nc_u32_e32 v3, v5, v3
.LBB14_6:
	s_or_b32 exec_lo, exec_lo, s0
	; wave barrier
	s_and_saveexec_b32 s0, vcc_lo
	s_cbranch_execz .LBB14_8
; %bb.7:
	ds_store_b32 v0, v3
.LBB14_8:
	s_or_b32 exec_lo, exec_lo, s0
	v_cmp_lt_u32_e32 vcc_lo, 3, v4
	;; [unrolled: 18-line block ×3, first 2 shown]
	; wave barrier
	s_and_saveexec_b32 s0, vcc_lo
	s_cbranch_execz .LBB14_14
; %bb.13:
	v_subrev_nc_u32_e32 v4, 32, v0
	ds_load_b32 v4, v4
	s_waitcnt lgkmcnt(0)
	v_add_nc_u32_e32 v3, v4, v3
.LBB14_14:
	s_or_b32 exec_lo, exec_lo, s0
	; wave barrier
	s_and_saveexec_b32 s0, vcc_lo
	s_cbranch_execz .LBB14_16
; %bb.15:
	ds_store_b32 v0, v3
.LBB14_16:
	s_or_b32 exec_lo, exec_lo, s0
	v_add_co_u32 v0, vcc_lo, s2, v1
	v_add_co_ci_u32_e32 v1, vcc_lo, s3, v2, vcc_lo
	; wave barrier
	global_store_b32 v[0:1], v3, off
	s_nop 0
	s_sendmsg sendmsg(MSG_DEALLOC_VGPRS)
	s_endpgm
	.section	.rodata,"a",@progbits
	.p2align	6, 0x0
	.amdhsa_kernel _Z26warp_inclusive_scan_kernelIiLj30ELj15EENSt9enable_ifIXsr10test_utilsE35device_test_enabled_for_warp_size_vIXT1_EEEvE4typeEPT_S4_
		.amdhsa_group_segment_fixed_size 120
		.amdhsa_private_segment_fixed_size 0
		.amdhsa_kernarg_size 272
		.amdhsa_user_sgpr_count 15
		.amdhsa_user_sgpr_dispatch_ptr 0
		.amdhsa_user_sgpr_queue_ptr 0
		.amdhsa_user_sgpr_kernarg_segment_ptr 1
		.amdhsa_user_sgpr_dispatch_id 0
		.amdhsa_user_sgpr_private_segment_size 0
		.amdhsa_wavefront_size32 1
		.amdhsa_uses_dynamic_stack 0
		.amdhsa_enable_private_segment 0
		.amdhsa_system_sgpr_workgroup_id_x 1
		.amdhsa_system_sgpr_workgroup_id_y 0
		.amdhsa_system_sgpr_workgroup_id_z 0
		.amdhsa_system_sgpr_workgroup_info 0
		.amdhsa_system_vgpr_workitem_id 0
		.amdhsa_next_free_vgpr 6
		.amdhsa_next_free_sgpr 16
		.amdhsa_reserve_vcc 1
		.amdhsa_float_round_mode_32 0
		.amdhsa_float_round_mode_16_64 0
		.amdhsa_float_denorm_mode_32 3
		.amdhsa_float_denorm_mode_16_64 3
		.amdhsa_dx10_clamp 1
		.amdhsa_ieee_mode 1
		.amdhsa_fp16_overflow 0
		.amdhsa_workgroup_processor_mode 1
		.amdhsa_memory_ordered 1
		.amdhsa_forward_progress 0
		.amdhsa_shared_vgpr_count 0
		.amdhsa_exception_fp_ieee_invalid_op 0
		.amdhsa_exception_fp_denorm_src 0
		.amdhsa_exception_fp_ieee_div_zero 0
		.amdhsa_exception_fp_ieee_overflow 0
		.amdhsa_exception_fp_ieee_underflow 0
		.amdhsa_exception_fp_ieee_inexact 0
		.amdhsa_exception_int_div_zero 0
	.end_amdhsa_kernel
	.section	.text._Z26warp_inclusive_scan_kernelIiLj30ELj15EENSt9enable_ifIXsr10test_utilsE35device_test_enabled_for_warp_size_vIXT1_EEEvE4typeEPT_S4_,"axG",@progbits,_Z26warp_inclusive_scan_kernelIiLj30ELj15EENSt9enable_ifIXsr10test_utilsE35device_test_enabled_for_warp_size_vIXT1_EEEvE4typeEPT_S4_,comdat
.Lfunc_end14:
	.size	_Z26warp_inclusive_scan_kernelIiLj30ELj15EENSt9enable_ifIXsr10test_utilsE35device_test_enabled_for_warp_size_vIXT1_EEEvE4typeEPT_S4_, .Lfunc_end14-_Z26warp_inclusive_scan_kernelIiLj30ELj15EENSt9enable_ifIXsr10test_utilsE35device_test_enabled_for_warp_size_vIXT1_EEEvE4typeEPT_S4_
                                        ; -- End function
	.section	.AMDGPU.csdata,"",@progbits
; Kernel info:
; codeLenInByte = 412
; NumSgprs: 18
; NumVgprs: 6
; ScratchSize: 0
; MemoryBound: 0
; FloatMode: 240
; IeeeMode: 1
; LDSByteSize: 120 bytes/workgroup (compile time only)
; SGPRBlocks: 2
; VGPRBlocks: 0
; NumSGPRsForWavesPerEU: 18
; NumVGPRsForWavesPerEU: 6
; Occupancy: 16
; WaveLimiterHint : 0
; COMPUTE_PGM_RSRC2:SCRATCH_EN: 0
; COMPUTE_PGM_RSRC2:USER_SGPR: 15
; COMPUTE_PGM_RSRC2:TRAP_HANDLER: 0
; COMPUTE_PGM_RSRC2:TGID_X_EN: 1
; COMPUTE_PGM_RSRC2:TGID_Y_EN: 0
; COMPUTE_PGM_RSRC2:TGID_Z_EN: 0
; COMPUTE_PGM_RSRC2:TIDIG_COMP_CNT: 0
	.section	.text._Z26warp_inclusive_scan_kernelIiLj60ELj15EENSt9enable_ifIXsr10test_utilsE35device_test_enabled_for_warp_size_vIXT1_EEEvE4typeEPT_S4_,"axG",@progbits,_Z26warp_inclusive_scan_kernelIiLj60ELj15EENSt9enable_ifIXsr10test_utilsE35device_test_enabled_for_warp_size_vIXT1_EEEvE4typeEPT_S4_,comdat
	.protected	_Z26warp_inclusive_scan_kernelIiLj60ELj15EENSt9enable_ifIXsr10test_utilsE35device_test_enabled_for_warp_size_vIXT1_EEEvE4typeEPT_S4_ ; -- Begin function _Z26warp_inclusive_scan_kernelIiLj60ELj15EENSt9enable_ifIXsr10test_utilsE35device_test_enabled_for_warp_size_vIXT1_EEEvE4typeEPT_S4_
	.globl	_Z26warp_inclusive_scan_kernelIiLj60ELj15EENSt9enable_ifIXsr10test_utilsE35device_test_enabled_for_warp_size_vIXT1_EEEvE4typeEPT_S4_
	.p2align	8
	.type	_Z26warp_inclusive_scan_kernelIiLj60ELj15EENSt9enable_ifIXsr10test_utilsE35device_test_enabled_for_warp_size_vIXT1_EEEvE4typeEPT_S4_,@function
_Z26warp_inclusive_scan_kernelIiLj60ELj15EENSt9enable_ifIXsr10test_utilsE35device_test_enabled_for_warp_size_vIXT1_EEEvE4typeEPT_S4_: ; @_Z26warp_inclusive_scan_kernelIiLj60ELj15EENSt9enable_ifIXsr10test_utilsE35device_test_enabled_for_warp_size_vIXT1_EEEvE4typeEPT_S4_
; %bb.0:
	s_clause 0x1
	s_load_b32 s4, s[0:1], 0x1c
	s_load_b128 s[0:3], s[0:1], 0x0
	s_waitcnt lgkmcnt(0)
	s_and_b32 s4, s4, 0xffff
	s_delay_alu instid0(SALU_CYCLE_1) | instskip(SKIP_2) | instid1(VALU_DEP_1)
	v_mad_u64_u32 v[1:2], null, s15, s4, v[0:1]
	v_mov_b32_e32 v2, 0
	v_mul_u32_u24_e32 v0, 0x1112, v0
	v_lshrrev_b32_e32 v0, 16, v0
	s_delay_alu instid0(VALU_DEP_3) | instskip(NEXT) | instid1(VALU_DEP_1)
	v_lshlrev_b64 v[1:2], 2, v[1:2]
	v_add_co_u32 v3, vcc_lo, s0, v1
	s_delay_alu instid0(VALU_DEP_2) | instskip(SKIP_2) | instid1(VALU_DEP_1)
	v_add_co_ci_u32_e32 v4, vcc_lo, s1, v2, vcc_lo
	global_load_b32 v3, v[3:4], off
	v_mbcnt_lo_u32_b32 v4, -1, 0
	v_mul_hi_u32 v5, 0x11111112, v4
	s_delay_alu instid0(VALU_DEP_1) | instskip(NEXT) | instid1(VALU_DEP_1)
	v_mul_u32_u24_e32 v5, 15, v5
	v_sub_nc_u32_e32 v4, v4, v5
	s_delay_alu instid0(VALU_DEP_1) | instskip(SKIP_1) | instid1(VALU_DEP_2)
	v_lshlrev_b32_e32 v5, 2, v4
	v_cmp_ne_u32_e32 vcc_lo, 0, v4
	v_mad_u32_u24 v0, v0, 60, v5
	s_waitcnt vmcnt(0)
	ds_store_b32 v0, v3
	; wave barrier
	s_and_saveexec_b32 s0, vcc_lo
	s_cbranch_execz .LBB15_2
; %bb.1:
	v_add_nc_u32_e32 v5, -4, v0
	ds_load_b32 v5, v5
	s_waitcnt lgkmcnt(0)
	v_add_nc_u32_e32 v3, v5, v3
.LBB15_2:
	s_or_b32 exec_lo, exec_lo, s0
	; wave barrier
	s_and_saveexec_b32 s0, vcc_lo
	s_cbranch_execz .LBB15_4
; %bb.3:
	ds_store_b32 v0, v3
.LBB15_4:
	s_or_b32 exec_lo, exec_lo, s0
	v_cmp_lt_u32_e32 vcc_lo, 1, v4
	; wave barrier
	s_and_saveexec_b32 s0, vcc_lo
	s_cbranch_execz .LBB15_6
; %bb.5:
	v_add_nc_u32_e32 v5, -8, v0
	ds_load_b32 v5, v5
	s_waitcnt lgkmcnt(0)
	v_add_nc_u32_e32 v3, v5, v3
.LBB15_6:
	s_or_b32 exec_lo, exec_lo, s0
	; wave barrier
	s_and_saveexec_b32 s0, vcc_lo
	s_cbranch_execz .LBB15_8
; %bb.7:
	ds_store_b32 v0, v3
.LBB15_8:
	s_or_b32 exec_lo, exec_lo, s0
	v_cmp_lt_u32_e32 vcc_lo, 3, v4
	;; [unrolled: 18-line block ×3, first 2 shown]
	; wave barrier
	s_and_saveexec_b32 s0, vcc_lo
	s_cbranch_execz .LBB15_14
; %bb.13:
	v_subrev_nc_u32_e32 v4, 32, v0
	ds_load_b32 v4, v4
	s_waitcnt lgkmcnt(0)
	v_add_nc_u32_e32 v3, v4, v3
.LBB15_14:
	s_or_b32 exec_lo, exec_lo, s0
	; wave barrier
	s_and_saveexec_b32 s0, vcc_lo
	s_cbranch_execz .LBB15_16
; %bb.15:
	ds_store_b32 v0, v3
.LBB15_16:
	s_or_b32 exec_lo, exec_lo, s0
	v_add_co_u32 v0, vcc_lo, s2, v1
	v_add_co_ci_u32_e32 v1, vcc_lo, s3, v2, vcc_lo
	; wave barrier
	global_store_b32 v[0:1], v3, off
	s_nop 0
	s_sendmsg sendmsg(MSG_DEALLOC_VGPRS)
	s_endpgm
	.section	.rodata,"a",@progbits
	.p2align	6, 0x0
	.amdhsa_kernel _Z26warp_inclusive_scan_kernelIiLj60ELj15EENSt9enable_ifIXsr10test_utilsE35device_test_enabled_for_warp_size_vIXT1_EEEvE4typeEPT_S4_
		.amdhsa_group_segment_fixed_size 240
		.amdhsa_private_segment_fixed_size 0
		.amdhsa_kernarg_size 272
		.amdhsa_user_sgpr_count 15
		.amdhsa_user_sgpr_dispatch_ptr 0
		.amdhsa_user_sgpr_queue_ptr 0
		.amdhsa_user_sgpr_kernarg_segment_ptr 1
		.amdhsa_user_sgpr_dispatch_id 0
		.amdhsa_user_sgpr_private_segment_size 0
		.amdhsa_wavefront_size32 1
		.amdhsa_uses_dynamic_stack 0
		.amdhsa_enable_private_segment 0
		.amdhsa_system_sgpr_workgroup_id_x 1
		.amdhsa_system_sgpr_workgroup_id_y 0
		.amdhsa_system_sgpr_workgroup_id_z 0
		.amdhsa_system_sgpr_workgroup_info 0
		.amdhsa_system_vgpr_workitem_id 0
		.amdhsa_next_free_vgpr 6
		.amdhsa_next_free_sgpr 16
		.amdhsa_reserve_vcc 1
		.amdhsa_float_round_mode_32 0
		.amdhsa_float_round_mode_16_64 0
		.amdhsa_float_denorm_mode_32 3
		.amdhsa_float_denorm_mode_16_64 3
		.amdhsa_dx10_clamp 1
		.amdhsa_ieee_mode 1
		.amdhsa_fp16_overflow 0
		.amdhsa_workgroup_processor_mode 1
		.amdhsa_memory_ordered 1
		.amdhsa_forward_progress 0
		.amdhsa_shared_vgpr_count 0
		.amdhsa_exception_fp_ieee_invalid_op 0
		.amdhsa_exception_fp_denorm_src 0
		.amdhsa_exception_fp_ieee_div_zero 0
		.amdhsa_exception_fp_ieee_overflow 0
		.amdhsa_exception_fp_ieee_underflow 0
		.amdhsa_exception_fp_ieee_inexact 0
		.amdhsa_exception_int_div_zero 0
	.end_amdhsa_kernel
	.section	.text._Z26warp_inclusive_scan_kernelIiLj60ELj15EENSt9enable_ifIXsr10test_utilsE35device_test_enabled_for_warp_size_vIXT1_EEEvE4typeEPT_S4_,"axG",@progbits,_Z26warp_inclusive_scan_kernelIiLj60ELj15EENSt9enable_ifIXsr10test_utilsE35device_test_enabled_for_warp_size_vIXT1_EEEvE4typeEPT_S4_,comdat
.Lfunc_end15:
	.size	_Z26warp_inclusive_scan_kernelIiLj60ELj15EENSt9enable_ifIXsr10test_utilsE35device_test_enabled_for_warp_size_vIXT1_EEEvE4typeEPT_S4_, .Lfunc_end15-_Z26warp_inclusive_scan_kernelIiLj60ELj15EENSt9enable_ifIXsr10test_utilsE35device_test_enabled_for_warp_size_vIXT1_EEEvE4typeEPT_S4_
                                        ; -- End function
	.section	.AMDGPU.csdata,"",@progbits
; Kernel info:
; codeLenInByte = 412
; NumSgprs: 18
; NumVgprs: 6
; ScratchSize: 0
; MemoryBound: 0
; FloatMode: 240
; IeeeMode: 1
; LDSByteSize: 240 bytes/workgroup (compile time only)
; SGPRBlocks: 2
; VGPRBlocks: 0
; NumSGPRsForWavesPerEU: 18
; NumVGPRsForWavesPerEU: 6
; Occupancy: 16
; WaveLimiterHint : 0
; COMPUTE_PGM_RSRC2:SCRATCH_EN: 0
; COMPUTE_PGM_RSRC2:USER_SGPR: 15
; COMPUTE_PGM_RSRC2:TRAP_HANDLER: 0
; COMPUTE_PGM_RSRC2:TGID_X_EN: 1
; COMPUTE_PGM_RSRC2:TGID_Y_EN: 0
; COMPUTE_PGM_RSRC2:TGID_Z_EN: 0
; COMPUTE_PGM_RSRC2:TIDIG_COMP_CNT: 0
	.section	.text._Z26warp_inclusive_scan_kernelIiLj28ELj7EENSt9enable_ifIXsr10test_utilsE35device_test_enabled_for_warp_size_vIXT1_EEEvE4typeEPT_S4_,"axG",@progbits,_Z26warp_inclusive_scan_kernelIiLj28ELj7EENSt9enable_ifIXsr10test_utilsE35device_test_enabled_for_warp_size_vIXT1_EEEvE4typeEPT_S4_,comdat
	.protected	_Z26warp_inclusive_scan_kernelIiLj28ELj7EENSt9enable_ifIXsr10test_utilsE35device_test_enabled_for_warp_size_vIXT1_EEEvE4typeEPT_S4_ ; -- Begin function _Z26warp_inclusive_scan_kernelIiLj28ELj7EENSt9enable_ifIXsr10test_utilsE35device_test_enabled_for_warp_size_vIXT1_EEEvE4typeEPT_S4_
	.globl	_Z26warp_inclusive_scan_kernelIiLj28ELj7EENSt9enable_ifIXsr10test_utilsE35device_test_enabled_for_warp_size_vIXT1_EEEvE4typeEPT_S4_
	.p2align	8
	.type	_Z26warp_inclusive_scan_kernelIiLj28ELj7EENSt9enable_ifIXsr10test_utilsE35device_test_enabled_for_warp_size_vIXT1_EEEvE4typeEPT_S4_,@function
_Z26warp_inclusive_scan_kernelIiLj28ELj7EENSt9enable_ifIXsr10test_utilsE35device_test_enabled_for_warp_size_vIXT1_EEEvE4typeEPT_S4_: ; @_Z26warp_inclusive_scan_kernelIiLj28ELj7EENSt9enable_ifIXsr10test_utilsE35device_test_enabled_for_warp_size_vIXT1_EEEvE4typeEPT_S4_
; %bb.0:
	s_clause 0x1
	s_load_b32 s4, s[0:1], 0x1c
	s_load_b128 s[0:3], s[0:1], 0x0
	s_waitcnt lgkmcnt(0)
	s_and_b32 s4, s4, 0xffff
	s_delay_alu instid0(SALU_CYCLE_1) | instskip(SKIP_2) | instid1(VALU_DEP_1)
	v_mad_u64_u32 v[1:2], null, s15, s4, v[0:1]
	v_mov_b32_e32 v2, 0
	v_mul_u32_u24_e32 v0, 0x2493, v0
	v_lshrrev_b32_e32 v0, 16, v0
	s_delay_alu instid0(VALU_DEP_3) | instskip(NEXT) | instid1(VALU_DEP_1)
	v_lshlrev_b64 v[1:2], 2, v[1:2]
	v_add_co_u32 v3, vcc_lo, s0, v1
	s_delay_alu instid0(VALU_DEP_2) | instskip(SKIP_2) | instid1(VALU_DEP_1)
	v_add_co_ci_u32_e32 v4, vcc_lo, s1, v2, vcc_lo
	global_load_b32 v3, v[3:4], off
	v_mbcnt_lo_u32_b32 v4, -1, 0
	v_mul_hi_u32 v5, 0x24924925, v4
	s_delay_alu instid0(VALU_DEP_1) | instskip(NEXT) | instid1(VALU_DEP_1)
	v_mul_u32_u24_e32 v5, 7, v5
	v_sub_nc_u32_e32 v4, v4, v5
	s_delay_alu instid0(VALU_DEP_1) | instskip(SKIP_1) | instid1(VALU_DEP_2)
	v_lshlrev_b32_e32 v5, 2, v4
	v_cmp_ne_u32_e32 vcc_lo, 0, v4
	v_mad_u32_u24 v0, v0, 28, v5
	s_waitcnt vmcnt(0)
	ds_store_b32 v0, v3
	; wave barrier
	s_and_saveexec_b32 s0, vcc_lo
	s_cbranch_execz .LBB16_2
; %bb.1:
	v_add_nc_u32_e32 v5, -4, v0
	ds_load_b32 v5, v5
	s_waitcnt lgkmcnt(0)
	v_add_nc_u32_e32 v3, v5, v3
.LBB16_2:
	s_or_b32 exec_lo, exec_lo, s0
	; wave barrier
	s_and_saveexec_b32 s0, vcc_lo
	s_cbranch_execz .LBB16_4
; %bb.3:
	ds_store_b32 v0, v3
.LBB16_4:
	s_or_b32 exec_lo, exec_lo, s0
	v_cmp_lt_u32_e32 vcc_lo, 1, v4
	; wave barrier
	s_and_saveexec_b32 s0, vcc_lo
	s_cbranch_execz .LBB16_6
; %bb.5:
	v_add_nc_u32_e32 v5, -8, v0
	ds_load_b32 v5, v5
	s_waitcnt lgkmcnt(0)
	v_add_nc_u32_e32 v3, v5, v3
.LBB16_6:
	s_or_b32 exec_lo, exec_lo, s0
	; wave barrier
	s_and_saveexec_b32 s0, vcc_lo
	s_cbranch_execz .LBB16_8
; %bb.7:
	ds_store_b32 v0, v3
.LBB16_8:
	s_or_b32 exec_lo, exec_lo, s0
	v_cmp_lt_u32_e32 vcc_lo, 3, v4
	; wave barrier
	s_and_saveexec_b32 s0, vcc_lo
	s_cbranch_execz .LBB16_10
; %bb.9:
	v_add_nc_u32_e32 v4, -16, v0
	ds_load_b32 v4, v4
	s_waitcnt lgkmcnt(0)
	v_add_nc_u32_e32 v3, v4, v3
.LBB16_10:
	s_or_b32 exec_lo, exec_lo, s0
	; wave barrier
	s_and_saveexec_b32 s0, vcc_lo
	s_cbranch_execz .LBB16_12
; %bb.11:
	ds_store_b32 v0, v3
.LBB16_12:
	s_or_b32 exec_lo, exec_lo, s0
	v_add_co_u32 v0, vcc_lo, s2, v1
	v_add_co_ci_u32_e32 v1, vcc_lo, s3, v2, vcc_lo
	; wave barrier
	global_store_b32 v[0:1], v3, off
	s_nop 0
	s_sendmsg sendmsg(MSG_DEALLOC_VGPRS)
	s_endpgm
	.section	.rodata,"a",@progbits
	.p2align	6, 0x0
	.amdhsa_kernel _Z26warp_inclusive_scan_kernelIiLj28ELj7EENSt9enable_ifIXsr10test_utilsE35device_test_enabled_for_warp_size_vIXT1_EEEvE4typeEPT_S4_
		.amdhsa_group_segment_fixed_size 112
		.amdhsa_private_segment_fixed_size 0
		.amdhsa_kernarg_size 272
		.amdhsa_user_sgpr_count 15
		.amdhsa_user_sgpr_dispatch_ptr 0
		.amdhsa_user_sgpr_queue_ptr 0
		.amdhsa_user_sgpr_kernarg_segment_ptr 1
		.amdhsa_user_sgpr_dispatch_id 0
		.amdhsa_user_sgpr_private_segment_size 0
		.amdhsa_wavefront_size32 1
		.amdhsa_uses_dynamic_stack 0
		.amdhsa_enable_private_segment 0
		.amdhsa_system_sgpr_workgroup_id_x 1
		.amdhsa_system_sgpr_workgroup_id_y 0
		.amdhsa_system_sgpr_workgroup_id_z 0
		.amdhsa_system_sgpr_workgroup_info 0
		.amdhsa_system_vgpr_workitem_id 0
		.amdhsa_next_free_vgpr 6
		.amdhsa_next_free_sgpr 16
		.amdhsa_reserve_vcc 1
		.amdhsa_float_round_mode_32 0
		.amdhsa_float_round_mode_16_64 0
		.amdhsa_float_denorm_mode_32 3
		.amdhsa_float_denorm_mode_16_64 3
		.amdhsa_dx10_clamp 1
		.amdhsa_ieee_mode 1
		.amdhsa_fp16_overflow 0
		.amdhsa_workgroup_processor_mode 1
		.amdhsa_memory_ordered 1
		.amdhsa_forward_progress 0
		.amdhsa_shared_vgpr_count 0
		.amdhsa_exception_fp_ieee_invalid_op 0
		.amdhsa_exception_fp_denorm_src 0
		.amdhsa_exception_fp_ieee_div_zero 0
		.amdhsa_exception_fp_ieee_overflow 0
		.amdhsa_exception_fp_ieee_underflow 0
		.amdhsa_exception_fp_ieee_inexact 0
		.amdhsa_exception_int_div_zero 0
	.end_amdhsa_kernel
	.section	.text._Z26warp_inclusive_scan_kernelIiLj28ELj7EENSt9enable_ifIXsr10test_utilsE35device_test_enabled_for_warp_size_vIXT1_EEEvE4typeEPT_S4_,"axG",@progbits,_Z26warp_inclusive_scan_kernelIiLj28ELj7EENSt9enable_ifIXsr10test_utilsE35device_test_enabled_for_warp_size_vIXT1_EEEvE4typeEPT_S4_,comdat
.Lfunc_end16:
	.size	_Z26warp_inclusive_scan_kernelIiLj28ELj7EENSt9enable_ifIXsr10test_utilsE35device_test_enabled_for_warp_size_vIXT1_EEEvE4typeEPT_S4_, .Lfunc_end16-_Z26warp_inclusive_scan_kernelIiLj28ELj7EENSt9enable_ifIXsr10test_utilsE35device_test_enabled_for_warp_size_vIXT1_EEEvE4typeEPT_S4_
                                        ; -- End function
	.section	.AMDGPU.csdata,"",@progbits
; Kernel info:
; codeLenInByte = 356
; NumSgprs: 18
; NumVgprs: 6
; ScratchSize: 0
; MemoryBound: 0
; FloatMode: 240
; IeeeMode: 1
; LDSByteSize: 112 bytes/workgroup (compile time only)
; SGPRBlocks: 2
; VGPRBlocks: 0
; NumSGPRsForWavesPerEU: 18
; NumVGPRsForWavesPerEU: 6
; Occupancy: 16
; WaveLimiterHint : 0
; COMPUTE_PGM_RSRC2:SCRATCH_EN: 0
; COMPUTE_PGM_RSRC2:USER_SGPR: 15
; COMPUTE_PGM_RSRC2:TRAP_HANDLER: 0
; COMPUTE_PGM_RSRC2:TGID_X_EN: 1
; COMPUTE_PGM_RSRC2:TGID_Y_EN: 0
; COMPUTE_PGM_RSRC2:TGID_Z_EN: 0
; COMPUTE_PGM_RSRC2:TIDIG_COMP_CNT: 0
	.section	.text._Z26warp_inclusive_scan_kernelIiLj63ELj7EENSt9enable_ifIXsr10test_utilsE35device_test_enabled_for_warp_size_vIXT1_EEEvE4typeEPT_S4_,"axG",@progbits,_Z26warp_inclusive_scan_kernelIiLj63ELj7EENSt9enable_ifIXsr10test_utilsE35device_test_enabled_for_warp_size_vIXT1_EEEvE4typeEPT_S4_,comdat
	.protected	_Z26warp_inclusive_scan_kernelIiLj63ELj7EENSt9enable_ifIXsr10test_utilsE35device_test_enabled_for_warp_size_vIXT1_EEEvE4typeEPT_S4_ ; -- Begin function _Z26warp_inclusive_scan_kernelIiLj63ELj7EENSt9enable_ifIXsr10test_utilsE35device_test_enabled_for_warp_size_vIXT1_EEEvE4typeEPT_S4_
	.globl	_Z26warp_inclusive_scan_kernelIiLj63ELj7EENSt9enable_ifIXsr10test_utilsE35device_test_enabled_for_warp_size_vIXT1_EEEvE4typeEPT_S4_
	.p2align	8
	.type	_Z26warp_inclusive_scan_kernelIiLj63ELj7EENSt9enable_ifIXsr10test_utilsE35device_test_enabled_for_warp_size_vIXT1_EEEvE4typeEPT_S4_,@function
_Z26warp_inclusive_scan_kernelIiLj63ELj7EENSt9enable_ifIXsr10test_utilsE35device_test_enabled_for_warp_size_vIXT1_EEEvE4typeEPT_S4_: ; @_Z26warp_inclusive_scan_kernelIiLj63ELj7EENSt9enable_ifIXsr10test_utilsE35device_test_enabled_for_warp_size_vIXT1_EEEvE4typeEPT_S4_
; %bb.0:
	s_clause 0x1
	s_load_b32 s4, s[0:1], 0x1c
	s_load_b128 s[0:3], s[0:1], 0x0
	s_waitcnt lgkmcnt(0)
	s_and_b32 s4, s4, 0xffff
	s_delay_alu instid0(SALU_CYCLE_1) | instskip(SKIP_2) | instid1(VALU_DEP_1)
	v_mad_u64_u32 v[1:2], null, s15, s4, v[0:1]
	v_mov_b32_e32 v2, 0
	v_mul_u32_u24_e32 v0, 0x2493, v0
	v_lshrrev_b32_e32 v0, 16, v0
	s_delay_alu instid0(VALU_DEP_3) | instskip(NEXT) | instid1(VALU_DEP_1)
	v_lshlrev_b64 v[1:2], 2, v[1:2]
	v_add_co_u32 v3, vcc_lo, s0, v1
	s_delay_alu instid0(VALU_DEP_2) | instskip(SKIP_2) | instid1(VALU_DEP_1)
	v_add_co_ci_u32_e32 v4, vcc_lo, s1, v2, vcc_lo
	global_load_b32 v3, v[3:4], off
	v_mbcnt_lo_u32_b32 v4, -1, 0
	v_mul_hi_u32 v5, 0x24924925, v4
	s_delay_alu instid0(VALU_DEP_1) | instskip(NEXT) | instid1(VALU_DEP_1)
	v_mul_u32_u24_e32 v5, 7, v5
	v_sub_nc_u32_e32 v4, v4, v5
	s_delay_alu instid0(VALU_DEP_1) | instskip(SKIP_1) | instid1(VALU_DEP_2)
	v_lshlrev_b32_e32 v5, 2, v4
	v_cmp_ne_u32_e32 vcc_lo, 0, v4
	v_mad_u32_u24 v0, v0, 28, v5
	s_waitcnt vmcnt(0)
	ds_store_b32 v0, v3
	; wave barrier
	s_and_saveexec_b32 s0, vcc_lo
	s_cbranch_execz .LBB17_2
; %bb.1:
	v_add_nc_u32_e32 v5, -4, v0
	ds_load_b32 v5, v5
	s_waitcnt lgkmcnt(0)
	v_add_nc_u32_e32 v3, v5, v3
.LBB17_2:
	s_or_b32 exec_lo, exec_lo, s0
	; wave barrier
	s_and_saveexec_b32 s0, vcc_lo
	s_cbranch_execz .LBB17_4
; %bb.3:
	ds_store_b32 v0, v3
.LBB17_4:
	s_or_b32 exec_lo, exec_lo, s0
	v_cmp_lt_u32_e32 vcc_lo, 1, v4
	; wave barrier
	s_and_saveexec_b32 s0, vcc_lo
	s_cbranch_execz .LBB17_6
; %bb.5:
	v_add_nc_u32_e32 v5, -8, v0
	ds_load_b32 v5, v5
	s_waitcnt lgkmcnt(0)
	v_add_nc_u32_e32 v3, v5, v3
.LBB17_6:
	s_or_b32 exec_lo, exec_lo, s0
	; wave barrier
	s_and_saveexec_b32 s0, vcc_lo
	s_cbranch_execz .LBB17_8
; %bb.7:
	ds_store_b32 v0, v3
.LBB17_8:
	s_or_b32 exec_lo, exec_lo, s0
	v_cmp_lt_u32_e32 vcc_lo, 3, v4
	; wave barrier
	s_and_saveexec_b32 s0, vcc_lo
	s_cbranch_execz .LBB17_10
; %bb.9:
	v_add_nc_u32_e32 v4, -16, v0
	ds_load_b32 v4, v4
	s_waitcnt lgkmcnt(0)
	v_add_nc_u32_e32 v3, v4, v3
.LBB17_10:
	s_or_b32 exec_lo, exec_lo, s0
	; wave barrier
	s_and_saveexec_b32 s0, vcc_lo
	s_cbranch_execz .LBB17_12
; %bb.11:
	ds_store_b32 v0, v3
.LBB17_12:
	s_or_b32 exec_lo, exec_lo, s0
	v_add_co_u32 v0, vcc_lo, s2, v1
	v_add_co_ci_u32_e32 v1, vcc_lo, s3, v2, vcc_lo
	; wave barrier
	global_store_b32 v[0:1], v3, off
	s_nop 0
	s_sendmsg sendmsg(MSG_DEALLOC_VGPRS)
	s_endpgm
	.section	.rodata,"a",@progbits
	.p2align	6, 0x0
	.amdhsa_kernel _Z26warp_inclusive_scan_kernelIiLj63ELj7EENSt9enable_ifIXsr10test_utilsE35device_test_enabled_for_warp_size_vIXT1_EEEvE4typeEPT_S4_
		.amdhsa_group_segment_fixed_size 252
		.amdhsa_private_segment_fixed_size 0
		.amdhsa_kernarg_size 272
		.amdhsa_user_sgpr_count 15
		.amdhsa_user_sgpr_dispatch_ptr 0
		.amdhsa_user_sgpr_queue_ptr 0
		.amdhsa_user_sgpr_kernarg_segment_ptr 1
		.amdhsa_user_sgpr_dispatch_id 0
		.amdhsa_user_sgpr_private_segment_size 0
		.amdhsa_wavefront_size32 1
		.amdhsa_uses_dynamic_stack 0
		.amdhsa_enable_private_segment 0
		.amdhsa_system_sgpr_workgroup_id_x 1
		.amdhsa_system_sgpr_workgroup_id_y 0
		.amdhsa_system_sgpr_workgroup_id_z 0
		.amdhsa_system_sgpr_workgroup_info 0
		.amdhsa_system_vgpr_workitem_id 0
		.amdhsa_next_free_vgpr 6
		.amdhsa_next_free_sgpr 16
		.amdhsa_reserve_vcc 1
		.amdhsa_float_round_mode_32 0
		.amdhsa_float_round_mode_16_64 0
		.amdhsa_float_denorm_mode_32 3
		.amdhsa_float_denorm_mode_16_64 3
		.amdhsa_dx10_clamp 1
		.amdhsa_ieee_mode 1
		.amdhsa_fp16_overflow 0
		.amdhsa_workgroup_processor_mode 1
		.amdhsa_memory_ordered 1
		.amdhsa_forward_progress 0
		.amdhsa_shared_vgpr_count 0
		.amdhsa_exception_fp_ieee_invalid_op 0
		.amdhsa_exception_fp_denorm_src 0
		.amdhsa_exception_fp_ieee_div_zero 0
		.amdhsa_exception_fp_ieee_overflow 0
		.amdhsa_exception_fp_ieee_underflow 0
		.amdhsa_exception_fp_ieee_inexact 0
		.amdhsa_exception_int_div_zero 0
	.end_amdhsa_kernel
	.section	.text._Z26warp_inclusive_scan_kernelIiLj63ELj7EENSt9enable_ifIXsr10test_utilsE35device_test_enabled_for_warp_size_vIXT1_EEEvE4typeEPT_S4_,"axG",@progbits,_Z26warp_inclusive_scan_kernelIiLj63ELj7EENSt9enable_ifIXsr10test_utilsE35device_test_enabled_for_warp_size_vIXT1_EEEvE4typeEPT_S4_,comdat
.Lfunc_end17:
	.size	_Z26warp_inclusive_scan_kernelIiLj63ELj7EENSt9enable_ifIXsr10test_utilsE35device_test_enabled_for_warp_size_vIXT1_EEEvE4typeEPT_S4_, .Lfunc_end17-_Z26warp_inclusive_scan_kernelIiLj63ELj7EENSt9enable_ifIXsr10test_utilsE35device_test_enabled_for_warp_size_vIXT1_EEEvE4typeEPT_S4_
                                        ; -- End function
	.section	.AMDGPU.csdata,"",@progbits
; Kernel info:
; codeLenInByte = 356
; NumSgprs: 18
; NumVgprs: 6
; ScratchSize: 0
; MemoryBound: 0
; FloatMode: 240
; IeeeMode: 1
; LDSByteSize: 252 bytes/workgroup (compile time only)
; SGPRBlocks: 2
; VGPRBlocks: 0
; NumSGPRsForWavesPerEU: 18
; NumVGPRsForWavesPerEU: 6
; Occupancy: 16
; WaveLimiterHint : 0
; COMPUTE_PGM_RSRC2:SCRATCH_EN: 0
; COMPUTE_PGM_RSRC2:USER_SGPR: 15
; COMPUTE_PGM_RSRC2:TRAP_HANDLER: 0
; COMPUTE_PGM_RSRC2:TGID_X_EN: 1
; COMPUTE_PGM_RSRC2:TGID_Y_EN: 0
; COMPUTE_PGM_RSRC2:TGID_Z_EN: 0
; COMPUTE_PGM_RSRC2:TIDIG_COMP_CNT: 0
	.section	.text._Z26warp_inclusive_scan_kernelIiLj30ELj3EENSt9enable_ifIXsr10test_utilsE35device_test_enabled_for_warp_size_vIXT1_EEEvE4typeEPT_S4_,"axG",@progbits,_Z26warp_inclusive_scan_kernelIiLj30ELj3EENSt9enable_ifIXsr10test_utilsE35device_test_enabled_for_warp_size_vIXT1_EEEvE4typeEPT_S4_,comdat
	.protected	_Z26warp_inclusive_scan_kernelIiLj30ELj3EENSt9enable_ifIXsr10test_utilsE35device_test_enabled_for_warp_size_vIXT1_EEEvE4typeEPT_S4_ ; -- Begin function _Z26warp_inclusive_scan_kernelIiLj30ELj3EENSt9enable_ifIXsr10test_utilsE35device_test_enabled_for_warp_size_vIXT1_EEEvE4typeEPT_S4_
	.globl	_Z26warp_inclusive_scan_kernelIiLj30ELj3EENSt9enable_ifIXsr10test_utilsE35device_test_enabled_for_warp_size_vIXT1_EEEvE4typeEPT_S4_
	.p2align	8
	.type	_Z26warp_inclusive_scan_kernelIiLj30ELj3EENSt9enable_ifIXsr10test_utilsE35device_test_enabled_for_warp_size_vIXT1_EEEvE4typeEPT_S4_,@function
_Z26warp_inclusive_scan_kernelIiLj30ELj3EENSt9enable_ifIXsr10test_utilsE35device_test_enabled_for_warp_size_vIXT1_EEEvE4typeEPT_S4_: ; @_Z26warp_inclusive_scan_kernelIiLj30ELj3EENSt9enable_ifIXsr10test_utilsE35device_test_enabled_for_warp_size_vIXT1_EEEvE4typeEPT_S4_
; %bb.0:
	s_clause 0x1
	s_load_b32 s4, s[0:1], 0x1c
	s_load_b128 s[0:3], s[0:1], 0x0
	s_waitcnt lgkmcnt(0)
	s_and_b32 s4, s4, 0xffff
	s_delay_alu instid0(SALU_CYCLE_1) | instskip(SKIP_2) | instid1(VALU_DEP_1)
	v_mad_u64_u32 v[1:2], null, s15, s4, v[0:1]
	v_mov_b32_e32 v2, 0
	v_mul_u32_u24_e32 v0, 0x5556, v0
	v_lshrrev_b32_e32 v0, 16, v0
	s_delay_alu instid0(VALU_DEP_3) | instskip(NEXT) | instid1(VALU_DEP_1)
	v_lshlrev_b64 v[1:2], 2, v[1:2]
	v_add_co_u32 v3, vcc_lo, s0, v1
	s_delay_alu instid0(VALU_DEP_2) | instskip(SKIP_2) | instid1(VALU_DEP_1)
	v_add_co_ci_u32_e32 v4, vcc_lo, s1, v2, vcc_lo
	global_load_b32 v3, v[3:4], off
	v_mbcnt_lo_u32_b32 v4, -1, 0
	v_mul_hi_u32 v5, 0x55555556, v4
	s_delay_alu instid0(VALU_DEP_1) | instskip(NEXT) | instid1(VALU_DEP_1)
	v_mul_u32_u24_e32 v5, 3, v5
	v_sub_nc_u32_e32 v4, v4, v5
	s_delay_alu instid0(VALU_DEP_1) | instskip(SKIP_1) | instid1(VALU_DEP_2)
	v_lshlrev_b32_e32 v5, 2, v4
	v_cmp_ne_u32_e32 vcc_lo, 0, v4
	v_mad_u32_u24 v0, v0, 12, v5
	s_waitcnt vmcnt(0)
	ds_store_b32 v0, v3
	; wave barrier
	s_and_saveexec_b32 s0, vcc_lo
	s_cbranch_execz .LBB18_2
; %bb.1:
	v_add_nc_u32_e32 v5, -4, v0
	ds_load_b32 v5, v5
	s_waitcnt lgkmcnt(0)
	v_add_nc_u32_e32 v3, v5, v3
.LBB18_2:
	s_or_b32 exec_lo, exec_lo, s0
	; wave barrier
	s_and_saveexec_b32 s0, vcc_lo
	s_cbranch_execz .LBB18_4
; %bb.3:
	ds_store_b32 v0, v3
.LBB18_4:
	s_or_b32 exec_lo, exec_lo, s0
	v_cmp_lt_u32_e32 vcc_lo, 1, v4
	; wave barrier
	s_and_saveexec_b32 s0, vcc_lo
	s_cbranch_execz .LBB18_6
; %bb.5:
	v_add_nc_u32_e32 v4, -8, v0
	ds_load_b32 v4, v4
	s_waitcnt lgkmcnt(0)
	v_add_nc_u32_e32 v3, v4, v3
.LBB18_6:
	s_or_b32 exec_lo, exec_lo, s0
	; wave barrier
	s_and_saveexec_b32 s0, vcc_lo
	s_cbranch_execz .LBB18_8
; %bb.7:
	ds_store_b32 v0, v3
.LBB18_8:
	s_or_b32 exec_lo, exec_lo, s0
	v_add_co_u32 v0, vcc_lo, s2, v1
	v_add_co_ci_u32_e32 v1, vcc_lo, s3, v2, vcc_lo
	; wave barrier
	global_store_b32 v[0:1], v3, off
	s_nop 0
	s_sendmsg sendmsg(MSG_DEALLOC_VGPRS)
	s_endpgm
	.section	.rodata,"a",@progbits
	.p2align	6, 0x0
	.amdhsa_kernel _Z26warp_inclusive_scan_kernelIiLj30ELj3EENSt9enable_ifIXsr10test_utilsE35device_test_enabled_for_warp_size_vIXT1_EEEvE4typeEPT_S4_
		.amdhsa_group_segment_fixed_size 120
		.amdhsa_private_segment_fixed_size 0
		.amdhsa_kernarg_size 272
		.amdhsa_user_sgpr_count 15
		.amdhsa_user_sgpr_dispatch_ptr 0
		.amdhsa_user_sgpr_queue_ptr 0
		.amdhsa_user_sgpr_kernarg_segment_ptr 1
		.amdhsa_user_sgpr_dispatch_id 0
		.amdhsa_user_sgpr_private_segment_size 0
		.amdhsa_wavefront_size32 1
		.amdhsa_uses_dynamic_stack 0
		.amdhsa_enable_private_segment 0
		.amdhsa_system_sgpr_workgroup_id_x 1
		.amdhsa_system_sgpr_workgroup_id_y 0
		.amdhsa_system_sgpr_workgroup_id_z 0
		.amdhsa_system_sgpr_workgroup_info 0
		.amdhsa_system_vgpr_workitem_id 0
		.amdhsa_next_free_vgpr 6
		.amdhsa_next_free_sgpr 16
		.amdhsa_reserve_vcc 1
		.amdhsa_float_round_mode_32 0
		.amdhsa_float_round_mode_16_64 0
		.amdhsa_float_denorm_mode_32 3
		.amdhsa_float_denorm_mode_16_64 3
		.amdhsa_dx10_clamp 1
		.amdhsa_ieee_mode 1
		.amdhsa_fp16_overflow 0
		.amdhsa_workgroup_processor_mode 1
		.amdhsa_memory_ordered 1
		.amdhsa_forward_progress 0
		.amdhsa_shared_vgpr_count 0
		.amdhsa_exception_fp_ieee_invalid_op 0
		.amdhsa_exception_fp_denorm_src 0
		.amdhsa_exception_fp_ieee_div_zero 0
		.amdhsa_exception_fp_ieee_overflow 0
		.amdhsa_exception_fp_ieee_underflow 0
		.amdhsa_exception_fp_ieee_inexact 0
		.amdhsa_exception_int_div_zero 0
	.end_amdhsa_kernel
	.section	.text._Z26warp_inclusive_scan_kernelIiLj30ELj3EENSt9enable_ifIXsr10test_utilsE35device_test_enabled_for_warp_size_vIXT1_EEEvE4typeEPT_S4_,"axG",@progbits,_Z26warp_inclusive_scan_kernelIiLj30ELj3EENSt9enable_ifIXsr10test_utilsE35device_test_enabled_for_warp_size_vIXT1_EEEvE4typeEPT_S4_,comdat
.Lfunc_end18:
	.size	_Z26warp_inclusive_scan_kernelIiLj30ELj3EENSt9enable_ifIXsr10test_utilsE35device_test_enabled_for_warp_size_vIXT1_EEEvE4typeEPT_S4_, .Lfunc_end18-_Z26warp_inclusive_scan_kernelIiLj30ELj3EENSt9enable_ifIXsr10test_utilsE35device_test_enabled_for_warp_size_vIXT1_EEEvE4typeEPT_S4_
                                        ; -- End function
	.section	.AMDGPU.csdata,"",@progbits
; Kernel info:
; codeLenInByte = 300
; NumSgprs: 18
; NumVgprs: 6
; ScratchSize: 0
; MemoryBound: 0
; FloatMode: 240
; IeeeMode: 1
; LDSByteSize: 120 bytes/workgroup (compile time only)
; SGPRBlocks: 2
; VGPRBlocks: 0
; NumSGPRsForWavesPerEU: 18
; NumVGPRsForWavesPerEU: 6
; Occupancy: 16
; WaveLimiterHint : 0
; COMPUTE_PGM_RSRC2:SCRATCH_EN: 0
; COMPUTE_PGM_RSRC2:USER_SGPR: 15
; COMPUTE_PGM_RSRC2:TRAP_HANDLER: 0
; COMPUTE_PGM_RSRC2:TGID_X_EN: 1
; COMPUTE_PGM_RSRC2:TGID_Y_EN: 0
; COMPUTE_PGM_RSRC2:TGID_Z_EN: 0
; COMPUTE_PGM_RSRC2:TIDIG_COMP_CNT: 0
	.section	.text._Z26warp_inclusive_scan_kernelIiLj63ELj3EENSt9enable_ifIXsr10test_utilsE35device_test_enabled_for_warp_size_vIXT1_EEEvE4typeEPT_S4_,"axG",@progbits,_Z26warp_inclusive_scan_kernelIiLj63ELj3EENSt9enable_ifIXsr10test_utilsE35device_test_enabled_for_warp_size_vIXT1_EEEvE4typeEPT_S4_,comdat
	.protected	_Z26warp_inclusive_scan_kernelIiLj63ELj3EENSt9enable_ifIXsr10test_utilsE35device_test_enabled_for_warp_size_vIXT1_EEEvE4typeEPT_S4_ ; -- Begin function _Z26warp_inclusive_scan_kernelIiLj63ELj3EENSt9enable_ifIXsr10test_utilsE35device_test_enabled_for_warp_size_vIXT1_EEEvE4typeEPT_S4_
	.globl	_Z26warp_inclusive_scan_kernelIiLj63ELj3EENSt9enable_ifIXsr10test_utilsE35device_test_enabled_for_warp_size_vIXT1_EEEvE4typeEPT_S4_
	.p2align	8
	.type	_Z26warp_inclusive_scan_kernelIiLj63ELj3EENSt9enable_ifIXsr10test_utilsE35device_test_enabled_for_warp_size_vIXT1_EEEvE4typeEPT_S4_,@function
_Z26warp_inclusive_scan_kernelIiLj63ELj3EENSt9enable_ifIXsr10test_utilsE35device_test_enabled_for_warp_size_vIXT1_EEEvE4typeEPT_S4_: ; @_Z26warp_inclusive_scan_kernelIiLj63ELj3EENSt9enable_ifIXsr10test_utilsE35device_test_enabled_for_warp_size_vIXT1_EEEvE4typeEPT_S4_
; %bb.0:
	s_clause 0x1
	s_load_b32 s4, s[0:1], 0x1c
	s_load_b128 s[0:3], s[0:1], 0x0
	s_waitcnt lgkmcnt(0)
	s_and_b32 s4, s4, 0xffff
	s_delay_alu instid0(SALU_CYCLE_1) | instskip(SKIP_2) | instid1(VALU_DEP_1)
	v_mad_u64_u32 v[1:2], null, s15, s4, v[0:1]
	v_mov_b32_e32 v2, 0
	v_mul_u32_u24_e32 v0, 0x5556, v0
	v_lshrrev_b32_e32 v0, 16, v0
	s_delay_alu instid0(VALU_DEP_3) | instskip(NEXT) | instid1(VALU_DEP_1)
	v_lshlrev_b64 v[1:2], 2, v[1:2]
	v_add_co_u32 v3, vcc_lo, s0, v1
	s_delay_alu instid0(VALU_DEP_2) | instskip(SKIP_2) | instid1(VALU_DEP_1)
	v_add_co_ci_u32_e32 v4, vcc_lo, s1, v2, vcc_lo
	global_load_b32 v3, v[3:4], off
	v_mbcnt_lo_u32_b32 v4, -1, 0
	v_mul_hi_u32 v5, 0x55555556, v4
	s_delay_alu instid0(VALU_DEP_1) | instskip(NEXT) | instid1(VALU_DEP_1)
	v_mul_u32_u24_e32 v5, 3, v5
	v_sub_nc_u32_e32 v4, v4, v5
	s_delay_alu instid0(VALU_DEP_1) | instskip(SKIP_1) | instid1(VALU_DEP_2)
	v_lshlrev_b32_e32 v5, 2, v4
	v_cmp_ne_u32_e32 vcc_lo, 0, v4
	v_mad_u32_u24 v0, v0, 12, v5
	s_waitcnt vmcnt(0)
	ds_store_b32 v0, v3
	; wave barrier
	s_and_saveexec_b32 s0, vcc_lo
	s_cbranch_execz .LBB19_2
; %bb.1:
	v_add_nc_u32_e32 v5, -4, v0
	ds_load_b32 v5, v5
	s_waitcnt lgkmcnt(0)
	v_add_nc_u32_e32 v3, v5, v3
.LBB19_2:
	s_or_b32 exec_lo, exec_lo, s0
	; wave barrier
	s_and_saveexec_b32 s0, vcc_lo
	s_cbranch_execz .LBB19_4
; %bb.3:
	ds_store_b32 v0, v3
.LBB19_4:
	s_or_b32 exec_lo, exec_lo, s0
	v_cmp_lt_u32_e32 vcc_lo, 1, v4
	; wave barrier
	s_and_saveexec_b32 s0, vcc_lo
	s_cbranch_execz .LBB19_6
; %bb.5:
	v_add_nc_u32_e32 v4, -8, v0
	ds_load_b32 v4, v4
	s_waitcnt lgkmcnt(0)
	v_add_nc_u32_e32 v3, v4, v3
.LBB19_6:
	s_or_b32 exec_lo, exec_lo, s0
	; wave barrier
	s_and_saveexec_b32 s0, vcc_lo
	s_cbranch_execz .LBB19_8
; %bb.7:
	ds_store_b32 v0, v3
.LBB19_8:
	s_or_b32 exec_lo, exec_lo, s0
	v_add_co_u32 v0, vcc_lo, s2, v1
	v_add_co_ci_u32_e32 v1, vcc_lo, s3, v2, vcc_lo
	; wave barrier
	global_store_b32 v[0:1], v3, off
	s_nop 0
	s_sendmsg sendmsg(MSG_DEALLOC_VGPRS)
	s_endpgm
	.section	.rodata,"a",@progbits
	.p2align	6, 0x0
	.amdhsa_kernel _Z26warp_inclusive_scan_kernelIiLj63ELj3EENSt9enable_ifIXsr10test_utilsE35device_test_enabled_for_warp_size_vIXT1_EEEvE4typeEPT_S4_
		.amdhsa_group_segment_fixed_size 252
		.amdhsa_private_segment_fixed_size 0
		.amdhsa_kernarg_size 272
		.amdhsa_user_sgpr_count 15
		.amdhsa_user_sgpr_dispatch_ptr 0
		.amdhsa_user_sgpr_queue_ptr 0
		.amdhsa_user_sgpr_kernarg_segment_ptr 1
		.amdhsa_user_sgpr_dispatch_id 0
		.amdhsa_user_sgpr_private_segment_size 0
		.amdhsa_wavefront_size32 1
		.amdhsa_uses_dynamic_stack 0
		.amdhsa_enable_private_segment 0
		.amdhsa_system_sgpr_workgroup_id_x 1
		.amdhsa_system_sgpr_workgroup_id_y 0
		.amdhsa_system_sgpr_workgroup_id_z 0
		.amdhsa_system_sgpr_workgroup_info 0
		.amdhsa_system_vgpr_workitem_id 0
		.amdhsa_next_free_vgpr 6
		.amdhsa_next_free_sgpr 16
		.amdhsa_reserve_vcc 1
		.amdhsa_float_round_mode_32 0
		.amdhsa_float_round_mode_16_64 0
		.amdhsa_float_denorm_mode_32 3
		.amdhsa_float_denorm_mode_16_64 3
		.amdhsa_dx10_clamp 1
		.amdhsa_ieee_mode 1
		.amdhsa_fp16_overflow 0
		.amdhsa_workgroup_processor_mode 1
		.amdhsa_memory_ordered 1
		.amdhsa_forward_progress 0
		.amdhsa_shared_vgpr_count 0
		.amdhsa_exception_fp_ieee_invalid_op 0
		.amdhsa_exception_fp_denorm_src 0
		.amdhsa_exception_fp_ieee_div_zero 0
		.amdhsa_exception_fp_ieee_overflow 0
		.amdhsa_exception_fp_ieee_underflow 0
		.amdhsa_exception_fp_ieee_inexact 0
		.amdhsa_exception_int_div_zero 0
	.end_amdhsa_kernel
	.section	.text._Z26warp_inclusive_scan_kernelIiLj63ELj3EENSt9enable_ifIXsr10test_utilsE35device_test_enabled_for_warp_size_vIXT1_EEEvE4typeEPT_S4_,"axG",@progbits,_Z26warp_inclusive_scan_kernelIiLj63ELj3EENSt9enable_ifIXsr10test_utilsE35device_test_enabled_for_warp_size_vIXT1_EEEvE4typeEPT_S4_,comdat
.Lfunc_end19:
	.size	_Z26warp_inclusive_scan_kernelIiLj63ELj3EENSt9enable_ifIXsr10test_utilsE35device_test_enabled_for_warp_size_vIXT1_EEEvE4typeEPT_S4_, .Lfunc_end19-_Z26warp_inclusive_scan_kernelIiLj63ELj3EENSt9enable_ifIXsr10test_utilsE35device_test_enabled_for_warp_size_vIXT1_EEEvE4typeEPT_S4_
                                        ; -- End function
	.section	.AMDGPU.csdata,"",@progbits
; Kernel info:
; codeLenInByte = 300
; NumSgprs: 18
; NumVgprs: 6
; ScratchSize: 0
; MemoryBound: 0
; FloatMode: 240
; IeeeMode: 1
; LDSByteSize: 252 bytes/workgroup (compile time only)
; SGPRBlocks: 2
; VGPRBlocks: 0
; NumSGPRsForWavesPerEU: 18
; NumVGPRsForWavesPerEU: 6
; Occupancy: 16
; WaveLimiterHint : 0
; COMPUTE_PGM_RSRC2:SCRATCH_EN: 0
; COMPUTE_PGM_RSRC2:USER_SGPR: 15
; COMPUTE_PGM_RSRC2:TRAP_HANDLER: 0
; COMPUTE_PGM_RSRC2:TGID_X_EN: 1
; COMPUTE_PGM_RSRC2:TGID_Y_EN: 0
; COMPUTE_PGM_RSRC2:TGID_Z_EN: 0
; COMPUTE_PGM_RSRC2:TIDIG_COMP_CNT: 0
	.section	.text._Z26warp_inclusive_scan_kernelI12hip_bfloat16Lj256ELj64EENSt9enable_ifIXntsr10test_utilsE35device_test_enabled_for_warp_size_vIXT1_EEEvE4typeEPT_S5_,"axG",@progbits,_Z26warp_inclusive_scan_kernelI12hip_bfloat16Lj256ELj64EENSt9enable_ifIXntsr10test_utilsE35device_test_enabled_for_warp_size_vIXT1_EEEvE4typeEPT_S5_,comdat
	.protected	_Z26warp_inclusive_scan_kernelI12hip_bfloat16Lj256ELj64EENSt9enable_ifIXntsr10test_utilsE35device_test_enabled_for_warp_size_vIXT1_EEEvE4typeEPT_S5_ ; -- Begin function _Z26warp_inclusive_scan_kernelI12hip_bfloat16Lj256ELj64EENSt9enable_ifIXntsr10test_utilsE35device_test_enabled_for_warp_size_vIXT1_EEEvE4typeEPT_S5_
	.globl	_Z26warp_inclusive_scan_kernelI12hip_bfloat16Lj256ELj64EENSt9enable_ifIXntsr10test_utilsE35device_test_enabled_for_warp_size_vIXT1_EEEvE4typeEPT_S5_
	.p2align	8
	.type	_Z26warp_inclusive_scan_kernelI12hip_bfloat16Lj256ELj64EENSt9enable_ifIXntsr10test_utilsE35device_test_enabled_for_warp_size_vIXT1_EEEvE4typeEPT_S5_,@function
_Z26warp_inclusive_scan_kernelI12hip_bfloat16Lj256ELj64EENSt9enable_ifIXntsr10test_utilsE35device_test_enabled_for_warp_size_vIXT1_EEEvE4typeEPT_S5_: ; @_Z26warp_inclusive_scan_kernelI12hip_bfloat16Lj256ELj64EENSt9enable_ifIXntsr10test_utilsE35device_test_enabled_for_warp_size_vIXT1_EEEvE4typeEPT_S5_
; %bb.0:
	s_endpgm
	.section	.rodata,"a",@progbits
	.p2align	6, 0x0
	.amdhsa_kernel _Z26warp_inclusive_scan_kernelI12hip_bfloat16Lj256ELj64EENSt9enable_ifIXntsr10test_utilsE35device_test_enabled_for_warp_size_vIXT1_EEEvE4typeEPT_S5_
		.amdhsa_group_segment_fixed_size 0
		.amdhsa_private_segment_fixed_size 0
		.amdhsa_kernarg_size 16
		.amdhsa_user_sgpr_count 15
		.amdhsa_user_sgpr_dispatch_ptr 0
		.amdhsa_user_sgpr_queue_ptr 0
		.amdhsa_user_sgpr_kernarg_segment_ptr 1
		.amdhsa_user_sgpr_dispatch_id 0
		.amdhsa_user_sgpr_private_segment_size 0
		.amdhsa_wavefront_size32 1
		.amdhsa_uses_dynamic_stack 0
		.amdhsa_enable_private_segment 0
		.amdhsa_system_sgpr_workgroup_id_x 1
		.amdhsa_system_sgpr_workgroup_id_y 0
		.amdhsa_system_sgpr_workgroup_id_z 0
		.amdhsa_system_sgpr_workgroup_info 0
		.amdhsa_system_vgpr_workitem_id 0
		.amdhsa_next_free_vgpr 1
		.amdhsa_next_free_sgpr 1
		.amdhsa_reserve_vcc 0
		.amdhsa_float_round_mode_32 0
		.amdhsa_float_round_mode_16_64 0
		.amdhsa_float_denorm_mode_32 3
		.amdhsa_float_denorm_mode_16_64 3
		.amdhsa_dx10_clamp 1
		.amdhsa_ieee_mode 1
		.amdhsa_fp16_overflow 0
		.amdhsa_workgroup_processor_mode 1
		.amdhsa_memory_ordered 1
		.amdhsa_forward_progress 0
		.amdhsa_shared_vgpr_count 0
		.amdhsa_exception_fp_ieee_invalid_op 0
		.amdhsa_exception_fp_denorm_src 0
		.amdhsa_exception_fp_ieee_div_zero 0
		.amdhsa_exception_fp_ieee_overflow 0
		.amdhsa_exception_fp_ieee_underflow 0
		.amdhsa_exception_fp_ieee_inexact 0
		.amdhsa_exception_int_div_zero 0
	.end_amdhsa_kernel
	.section	.text._Z26warp_inclusive_scan_kernelI12hip_bfloat16Lj256ELj64EENSt9enable_ifIXntsr10test_utilsE35device_test_enabled_for_warp_size_vIXT1_EEEvE4typeEPT_S5_,"axG",@progbits,_Z26warp_inclusive_scan_kernelI12hip_bfloat16Lj256ELj64EENSt9enable_ifIXntsr10test_utilsE35device_test_enabled_for_warp_size_vIXT1_EEEvE4typeEPT_S5_,comdat
.Lfunc_end20:
	.size	_Z26warp_inclusive_scan_kernelI12hip_bfloat16Lj256ELj64EENSt9enable_ifIXntsr10test_utilsE35device_test_enabled_for_warp_size_vIXT1_EEEvE4typeEPT_S5_, .Lfunc_end20-_Z26warp_inclusive_scan_kernelI12hip_bfloat16Lj256ELj64EENSt9enable_ifIXntsr10test_utilsE35device_test_enabled_for_warp_size_vIXT1_EEEvE4typeEPT_S5_
                                        ; -- End function
	.section	.AMDGPU.csdata,"",@progbits
; Kernel info:
; codeLenInByte = 4
; NumSgprs: 0
; NumVgprs: 0
; ScratchSize: 0
; MemoryBound: 0
; FloatMode: 240
; IeeeMode: 1
; LDSByteSize: 0 bytes/workgroup (compile time only)
; SGPRBlocks: 0
; VGPRBlocks: 0
; NumSGPRsForWavesPerEU: 1
; NumVGPRsForWavesPerEU: 1
; Occupancy: 16
; WaveLimiterHint : 0
; COMPUTE_PGM_RSRC2:SCRATCH_EN: 0
; COMPUTE_PGM_RSRC2:USER_SGPR: 15
; COMPUTE_PGM_RSRC2:TRAP_HANDLER: 0
; COMPUTE_PGM_RSRC2:TGID_X_EN: 1
; COMPUTE_PGM_RSRC2:TGID_Y_EN: 0
; COMPUTE_PGM_RSRC2:TGID_Z_EN: 0
; COMPUTE_PGM_RSRC2:TIDIG_COMP_CNT: 0
	.section	.text._Z26warp_inclusive_scan_kernelI12hip_bfloat16Lj128ELj32EENSt9enable_ifIXsr10test_utilsE35device_test_enabled_for_warp_size_vIXT1_EEEvE4typeEPT_S5_,"axG",@progbits,_Z26warp_inclusive_scan_kernelI12hip_bfloat16Lj128ELj32EENSt9enable_ifIXsr10test_utilsE35device_test_enabled_for_warp_size_vIXT1_EEEvE4typeEPT_S5_,comdat
	.protected	_Z26warp_inclusive_scan_kernelI12hip_bfloat16Lj128ELj32EENSt9enable_ifIXsr10test_utilsE35device_test_enabled_for_warp_size_vIXT1_EEEvE4typeEPT_S5_ ; -- Begin function _Z26warp_inclusive_scan_kernelI12hip_bfloat16Lj128ELj32EENSt9enable_ifIXsr10test_utilsE35device_test_enabled_for_warp_size_vIXT1_EEEvE4typeEPT_S5_
	.globl	_Z26warp_inclusive_scan_kernelI12hip_bfloat16Lj128ELj32EENSt9enable_ifIXsr10test_utilsE35device_test_enabled_for_warp_size_vIXT1_EEEvE4typeEPT_S5_
	.p2align	8
	.type	_Z26warp_inclusive_scan_kernelI12hip_bfloat16Lj128ELj32EENSt9enable_ifIXsr10test_utilsE35device_test_enabled_for_warp_size_vIXT1_EEEvE4typeEPT_S5_,@function
_Z26warp_inclusive_scan_kernelI12hip_bfloat16Lj128ELj32EENSt9enable_ifIXsr10test_utilsE35device_test_enabled_for_warp_size_vIXT1_EEEvE4typeEPT_S5_: ; @_Z26warp_inclusive_scan_kernelI12hip_bfloat16Lj128ELj32EENSt9enable_ifIXsr10test_utilsE35device_test_enabled_for_warp_size_vIXT1_EEEvE4typeEPT_S5_
; %bb.0:
	s_clause 0x1
	s_load_b32 s4, s[0:1], 0x1c
	s_load_b128 s[0:3], s[0:1], 0x0
                                        ; implicit-def: $vgpr6
	s_waitcnt lgkmcnt(0)
	s_and_b32 s4, s4, 0xffff
	s_delay_alu instid0(SALU_CYCLE_1) | instskip(SKIP_1) | instid1(VALU_DEP_1)
	v_mad_u64_u32 v[1:2], null, s15, s4, v[0:1]
	v_mov_b32_e32 v2, 0
	v_lshlrev_b64 v[0:1], 1, v[1:2]
	s_delay_alu instid0(VALU_DEP_1) | instskip(NEXT) | instid1(VALU_DEP_2)
	v_add_co_u32 v2, vcc_lo, s0, v0
	v_add_co_ci_u32_e32 v3, vcc_lo, s1, v1, vcc_lo
	s_mov_b32 s0, exec_lo
	global_load_u16 v4, v[2:3], off
	s_waitcnt vmcnt(0)
	v_lshlrev_b32_e32 v5, 16, v4
	v_mov_b32_dpp v2, v4 row_shr:1 row_mask:0xf bank_mask:0xf
	s_delay_alu instid0(VALU_DEP_1) | instskip(NEXT) | instid1(VALU_DEP_1)
	v_lshlrev_b32_e32 v2, 16, v2
	v_add_f32_e32 v2, v5, v2
	s_delay_alu instid0(VALU_DEP_1) | instskip(NEXT) | instid1(VALU_DEP_1)
	v_and_b32_e32 v3, 0x7f800000, v2
	v_cmpx_ne_u32_e32 0x7f800000, v3
	s_xor_b32 s0, exec_lo, s0
; %bb.1:
	v_bfe_u32 v3, v2, 16, 1
	s_delay_alu instid0(VALU_DEP_1)
	v_add3_u32 v6, v2, v3, 0x7fff
                                        ; implicit-def: $vgpr2
; %bb.2:
	s_and_not1_saveexec_b32 s0, s0
; %bb.3:
	v_and_b32_e32 v3, 0xffff, v2
	v_or_b32_e32 v6, 0x10000, v2
	s_delay_alu instid0(VALU_DEP_2) | instskip(NEXT) | instid1(VALU_DEP_2)
	v_cmp_eq_u32_e32 vcc_lo, 0, v3
	v_cndmask_b32_e32 v6, v6, v2, vcc_lo
; %bb.4:
	s_or_b32 exec_lo, exec_lo, s0
	v_mbcnt_lo_u32_b32 v2, -1, 0
	s_delay_alu instid0(VALU_DEP_2) | instskip(SKIP_1) | instid1(VALU_DEP_3)
	v_and_b32_e32 v7, 0xffff0000, v6
	v_lshrrev_b32_e32 v6, 16, v6
	v_and_b32_e32 v3, 15, v2
	s_delay_alu instid0(VALU_DEP_1) | instskip(NEXT) | instid1(VALU_DEP_3)
	v_cmp_eq_u32_e32 vcc_lo, 0, v3
	v_cndmask_b32_e32 v4, v6, v4, vcc_lo
	s_delay_alu instid0(VALU_DEP_1) | instskip(NEXT) | instid1(VALU_DEP_1)
	v_mov_b32_dpp v6, v4 row_shr:2 row_mask:0xf bank_mask:0xf
	v_dual_cndmask_b32 v5, v7, v5 :: v_dual_lshlrev_b32 v6, 16, v6
	s_delay_alu instid0(VALU_DEP_1) | instskip(NEXT) | instid1(VALU_DEP_1)
	v_add_f32_e32 v6, v5, v6
	v_and_b32_e32 v7, 0x7f800000, v6
	s_delay_alu instid0(VALU_DEP_1) | instskip(SKIP_1) | instid1(SALU_CYCLE_1)
	v_cmp_ne_u32_e32 vcc_lo, 0x7f800000, v7
                                        ; implicit-def: $vgpr7
	s_and_saveexec_b32 s0, vcc_lo
	s_xor_b32 s0, exec_lo, s0
; %bb.5:
	v_bfe_u32 v7, v6, 16, 1
	s_delay_alu instid0(VALU_DEP_1)
	v_add3_u32 v7, v6, v7, 0x7fff
                                        ; implicit-def: $vgpr6
; %bb.6:
	s_and_not1_saveexec_b32 s0, s0
; %bb.7:
	v_and_b32_e32 v7, 0xffff, v6
	v_or_b32_e32 v8, 0x10000, v6
	s_delay_alu instid0(VALU_DEP_2) | instskip(NEXT) | instid1(VALU_DEP_2)
	v_cmp_eq_u32_e32 vcc_lo, 0, v7
	v_cndmask_b32_e32 v7, v8, v6, vcc_lo
; %bb.8:
	s_or_b32 exec_lo, exec_lo, s0
	s_delay_alu instid0(VALU_DEP_1) | instskip(SKIP_2) | instid1(VALU_DEP_2)
	v_and_b32_e32 v6, 0xffff0000, v7
	v_lshrrev_b32_e32 v7, 16, v7
	v_cmp_lt_u32_e32 vcc_lo, 1, v3
	v_dual_cndmask_b32 v5, v5, v6 :: v_dual_cndmask_b32 v4, v4, v7
	s_delay_alu instid0(VALU_DEP_1) | instskip(NEXT) | instid1(VALU_DEP_1)
	v_mov_b32_dpp v6, v4 row_shr:4 row_mask:0xf bank_mask:0xf
	v_lshlrev_b32_e32 v6, 16, v6
	s_delay_alu instid0(VALU_DEP_1) | instskip(NEXT) | instid1(VALU_DEP_1)
	v_add_f32_e32 v6, v5, v6
	v_and_b32_e32 v7, 0x7f800000, v6
	s_delay_alu instid0(VALU_DEP_1) | instskip(SKIP_1) | instid1(SALU_CYCLE_1)
	v_cmp_ne_u32_e32 vcc_lo, 0x7f800000, v7
                                        ; implicit-def: $vgpr7
	s_and_saveexec_b32 s0, vcc_lo
	s_xor_b32 s0, exec_lo, s0
; %bb.9:
	v_bfe_u32 v7, v6, 16, 1
	s_delay_alu instid0(VALU_DEP_1)
	v_add3_u32 v7, v6, v7, 0x7fff
                                        ; implicit-def: $vgpr6
; %bb.10:
	s_and_not1_saveexec_b32 s0, s0
; %bb.11:
	v_and_b32_e32 v7, 0xffff, v6
	v_or_b32_e32 v8, 0x10000, v6
	s_delay_alu instid0(VALU_DEP_2) | instskip(NEXT) | instid1(VALU_DEP_2)
	v_cmp_eq_u32_e32 vcc_lo, 0, v7
	v_cndmask_b32_e32 v7, v8, v6, vcc_lo
; %bb.12:
	s_or_b32 exec_lo, exec_lo, s0
	s_delay_alu instid0(VALU_DEP_1) | instskip(SKIP_2) | instid1(VALU_DEP_2)
	v_and_b32_e32 v6, 0xffff0000, v7
	v_lshrrev_b32_e32 v7, 16, v7
	v_cmp_lt_u32_e32 vcc_lo, 3, v3
	v_dual_cndmask_b32 v5, v5, v6 :: v_dual_cndmask_b32 v4, v4, v7
	s_delay_alu instid0(VALU_DEP_1) | instskip(NEXT) | instid1(VALU_DEP_1)
	v_mov_b32_dpp v6, v4 row_shr:8 row_mask:0xf bank_mask:0xf
	v_lshlrev_b32_e32 v6, 16, v6
	s_delay_alu instid0(VALU_DEP_1) | instskip(NEXT) | instid1(VALU_DEP_1)
	v_add_f32_e32 v6, v5, v6
	v_and_b32_e32 v7, 0x7f800000, v6
	s_delay_alu instid0(VALU_DEP_1) | instskip(SKIP_1) | instid1(SALU_CYCLE_1)
	v_cmp_ne_u32_e32 vcc_lo, 0x7f800000, v7
                                        ; implicit-def: $vgpr7
	s_and_saveexec_b32 s0, vcc_lo
	s_xor_b32 s0, exec_lo, s0
; %bb.13:
	v_bfe_u32 v7, v6, 16, 1
	s_delay_alu instid0(VALU_DEP_1)
	v_add3_u32 v7, v6, v7, 0x7fff
                                        ; implicit-def: $vgpr6
; %bb.14:
	s_and_not1_saveexec_b32 s0, s0
; %bb.15:
	v_and_b32_e32 v7, 0xffff, v6
	v_or_b32_e32 v8, 0x10000, v6
	s_delay_alu instid0(VALU_DEP_2) | instskip(NEXT) | instid1(VALU_DEP_2)
	v_cmp_eq_u32_e32 vcc_lo, 0, v7
	v_cndmask_b32_e32 v7, v8, v6, vcc_lo
; %bb.16:
	s_or_b32 exec_lo, exec_lo, s0
	s_delay_alu instid0(VALU_DEP_1) | instskip(SKIP_2) | instid1(VALU_DEP_2)
	v_and_b32_e32 v6, 0xffff0000, v7
	v_lshrrev_b32_e32 v7, 16, v7
	v_cmp_lt_u32_e32 vcc_lo, 7, v3
	v_cndmask_b32_e32 v3, v4, v7, vcc_lo
	ds_swizzle_b32 v4, v3 offset:swizzle(BROADCAST,32,15)
	s_waitcnt lgkmcnt(0)
	v_dual_cndmask_b32 v5, v5, v6 :: v_dual_lshlrev_b32 v4, 16, v4
	s_delay_alu instid0(VALU_DEP_1) | instskip(NEXT) | instid1(VALU_DEP_1)
	v_add_f32_e32 v4, v5, v4
	v_and_b32_e32 v5, 0x7f800000, v4
	s_delay_alu instid0(VALU_DEP_1) | instskip(SKIP_1) | instid1(SALU_CYCLE_1)
	v_cmp_ne_u32_e32 vcc_lo, 0x7f800000, v5
                                        ; implicit-def: $vgpr5
	s_and_saveexec_b32 s0, vcc_lo
	s_xor_b32 s0, exec_lo, s0
; %bb.17:
	v_bfe_u32 v5, v4, 16, 1
	s_delay_alu instid0(VALU_DEP_1)
	v_add3_u32 v5, v4, v5, 0x7fff
                                        ; implicit-def: $vgpr4
; %bb.18:
	s_and_not1_saveexec_b32 s0, s0
; %bb.19:
	v_and_b32_e32 v5, 0xffff, v4
	v_or_b32_e32 v6, 0x10000, v4
	s_delay_alu instid0(VALU_DEP_2) | instskip(NEXT) | instid1(VALU_DEP_2)
	v_cmp_eq_u32_e32 vcc_lo, 0, v5
	v_cndmask_b32_e32 v5, v6, v4, vcc_lo
; %bb.20:
	s_or_b32 exec_lo, exec_lo, s0
	v_and_b32_e32 v2, 16, v2
	s_delay_alu instid0(VALU_DEP_2) | instskip(NEXT) | instid1(VALU_DEP_2)
	v_lshrrev_b32_e32 v4, 16, v5
	v_cmp_eq_u32_e32 vcc_lo, 0, v2
	s_delay_alu instid0(VALU_DEP_2)
	v_cndmask_b32_e32 v2, v4, v3, vcc_lo
	v_add_co_u32 v0, vcc_lo, s2, v0
	v_add_co_ci_u32_e32 v1, vcc_lo, s3, v1, vcc_lo
	global_store_b16 v[0:1], v2, off
	s_nop 0
	s_sendmsg sendmsg(MSG_DEALLOC_VGPRS)
	s_endpgm
	.section	.rodata,"a",@progbits
	.p2align	6, 0x0
	.amdhsa_kernel _Z26warp_inclusive_scan_kernelI12hip_bfloat16Lj128ELj32EENSt9enable_ifIXsr10test_utilsE35device_test_enabled_for_warp_size_vIXT1_EEEvE4typeEPT_S5_
		.amdhsa_group_segment_fixed_size 0
		.amdhsa_private_segment_fixed_size 0
		.amdhsa_kernarg_size 272
		.amdhsa_user_sgpr_count 15
		.amdhsa_user_sgpr_dispatch_ptr 0
		.amdhsa_user_sgpr_queue_ptr 0
		.amdhsa_user_sgpr_kernarg_segment_ptr 1
		.amdhsa_user_sgpr_dispatch_id 0
		.amdhsa_user_sgpr_private_segment_size 0
		.amdhsa_wavefront_size32 1
		.amdhsa_uses_dynamic_stack 0
		.amdhsa_enable_private_segment 0
		.amdhsa_system_sgpr_workgroup_id_x 1
		.amdhsa_system_sgpr_workgroup_id_y 0
		.amdhsa_system_sgpr_workgroup_id_z 0
		.amdhsa_system_sgpr_workgroup_info 0
		.amdhsa_system_vgpr_workitem_id 0
		.amdhsa_next_free_vgpr 9
		.amdhsa_next_free_sgpr 16
		.amdhsa_reserve_vcc 1
		.amdhsa_float_round_mode_32 0
		.amdhsa_float_round_mode_16_64 0
		.amdhsa_float_denorm_mode_32 3
		.amdhsa_float_denorm_mode_16_64 3
		.amdhsa_dx10_clamp 1
		.amdhsa_ieee_mode 1
		.amdhsa_fp16_overflow 0
		.amdhsa_workgroup_processor_mode 1
		.amdhsa_memory_ordered 1
		.amdhsa_forward_progress 0
		.amdhsa_shared_vgpr_count 0
		.amdhsa_exception_fp_ieee_invalid_op 0
		.amdhsa_exception_fp_denorm_src 0
		.amdhsa_exception_fp_ieee_div_zero 0
		.amdhsa_exception_fp_ieee_overflow 0
		.amdhsa_exception_fp_ieee_underflow 0
		.amdhsa_exception_fp_ieee_inexact 0
		.amdhsa_exception_int_div_zero 0
	.end_amdhsa_kernel
	.section	.text._Z26warp_inclusive_scan_kernelI12hip_bfloat16Lj128ELj32EENSt9enable_ifIXsr10test_utilsE35device_test_enabled_for_warp_size_vIXT1_EEEvE4typeEPT_S5_,"axG",@progbits,_Z26warp_inclusive_scan_kernelI12hip_bfloat16Lj128ELj32EENSt9enable_ifIXsr10test_utilsE35device_test_enabled_for_warp_size_vIXT1_EEEvE4typeEPT_S5_,comdat
.Lfunc_end21:
	.size	_Z26warp_inclusive_scan_kernelI12hip_bfloat16Lj128ELj32EENSt9enable_ifIXsr10test_utilsE35device_test_enabled_for_warp_size_vIXT1_EEEvE4typeEPT_S5_, .Lfunc_end21-_Z26warp_inclusive_scan_kernelI12hip_bfloat16Lj128ELj32EENSt9enable_ifIXsr10test_utilsE35device_test_enabled_for_warp_size_vIXT1_EEEvE4typeEPT_S5_
                                        ; -- End function
	.section	.AMDGPU.csdata,"",@progbits
; Kernel info:
; codeLenInByte = 828
; NumSgprs: 18
; NumVgprs: 9
; ScratchSize: 0
; MemoryBound: 0
; FloatMode: 240
; IeeeMode: 1
; LDSByteSize: 0 bytes/workgroup (compile time only)
; SGPRBlocks: 2
; VGPRBlocks: 1
; NumSGPRsForWavesPerEU: 18
; NumVGPRsForWavesPerEU: 9
; Occupancy: 16
; WaveLimiterHint : 0
; COMPUTE_PGM_RSRC2:SCRATCH_EN: 0
; COMPUTE_PGM_RSRC2:USER_SGPR: 15
; COMPUTE_PGM_RSRC2:TRAP_HANDLER: 0
; COMPUTE_PGM_RSRC2:TGID_X_EN: 1
; COMPUTE_PGM_RSRC2:TGID_Y_EN: 0
; COMPUTE_PGM_RSRC2:TGID_Z_EN: 0
; COMPUTE_PGM_RSRC2:TIDIG_COMP_CNT: 0
	.section	.text._Z26warp_inclusive_scan_kernelI12hip_bfloat16Lj64ELj16EENSt9enable_ifIXsr10test_utilsE35device_test_enabled_for_warp_size_vIXT1_EEEvE4typeEPT_S5_,"axG",@progbits,_Z26warp_inclusive_scan_kernelI12hip_bfloat16Lj64ELj16EENSt9enable_ifIXsr10test_utilsE35device_test_enabled_for_warp_size_vIXT1_EEEvE4typeEPT_S5_,comdat
	.protected	_Z26warp_inclusive_scan_kernelI12hip_bfloat16Lj64ELj16EENSt9enable_ifIXsr10test_utilsE35device_test_enabled_for_warp_size_vIXT1_EEEvE4typeEPT_S5_ ; -- Begin function _Z26warp_inclusive_scan_kernelI12hip_bfloat16Lj64ELj16EENSt9enable_ifIXsr10test_utilsE35device_test_enabled_for_warp_size_vIXT1_EEEvE4typeEPT_S5_
	.globl	_Z26warp_inclusive_scan_kernelI12hip_bfloat16Lj64ELj16EENSt9enable_ifIXsr10test_utilsE35device_test_enabled_for_warp_size_vIXT1_EEEvE4typeEPT_S5_
	.p2align	8
	.type	_Z26warp_inclusive_scan_kernelI12hip_bfloat16Lj64ELj16EENSt9enable_ifIXsr10test_utilsE35device_test_enabled_for_warp_size_vIXT1_EEEvE4typeEPT_S5_,@function
_Z26warp_inclusive_scan_kernelI12hip_bfloat16Lj64ELj16EENSt9enable_ifIXsr10test_utilsE35device_test_enabled_for_warp_size_vIXT1_EEEvE4typeEPT_S5_: ; @_Z26warp_inclusive_scan_kernelI12hip_bfloat16Lj64ELj16EENSt9enable_ifIXsr10test_utilsE35device_test_enabled_for_warp_size_vIXT1_EEEvE4typeEPT_S5_
; %bb.0:
	s_clause 0x1
	s_load_b32 s4, s[0:1], 0x1c
	s_load_b128 s[0:3], s[0:1], 0x0
	s_waitcnt lgkmcnt(0)
	s_and_b32 s4, s4, 0xffff
	s_delay_alu instid0(SALU_CYCLE_1) | instskip(SKIP_1) | instid1(VALU_DEP_1)
	v_mad_u64_u32 v[1:2], null, s15, s4, v[0:1]
	v_mov_b32_e32 v2, 0
	v_lshlrev_b64 v[0:1], 1, v[1:2]
	s_delay_alu instid0(VALU_DEP_1) | instskip(NEXT) | instid1(VALU_DEP_2)
	v_add_co_u32 v2, vcc_lo, s0, v0
	v_add_co_ci_u32_e32 v3, vcc_lo, s1, v1, vcc_lo
	global_load_u16 v3, v[2:3], off
	s_waitcnt vmcnt(0)
	v_mov_b32_dpp v2, v3 row_shr:1 row_mask:0xf bank_mask:0xf
	v_lshlrev_b32_e32 v4, 16, v3
	s_delay_alu instid0(VALU_DEP_2) | instskip(NEXT) | instid1(VALU_DEP_1)
	v_lshlrev_b32_e32 v2, 16, v2
	v_add_f32_e32 v2, v4, v2
	s_delay_alu instid0(VALU_DEP_1) | instskip(NEXT) | instid1(VALU_DEP_1)
	v_and_b32_e32 v5, 0x7f800000, v2
	v_cmp_ne_u32_e32 vcc_lo, 0x7f800000, v5
                                        ; implicit-def: $vgpr5
	s_and_saveexec_b32 s0, vcc_lo
	s_delay_alu instid0(SALU_CYCLE_1)
	s_xor_b32 s0, exec_lo, s0
; %bb.1:
	v_bfe_u32 v5, v2, 16, 1
	s_delay_alu instid0(VALU_DEP_1)
	v_add3_u32 v5, v2, v5, 0x7fff
                                        ; implicit-def: $vgpr2
; %bb.2:
	s_and_not1_saveexec_b32 s0, s0
; %bb.3:
	v_and_b32_e32 v5, 0xffff, v2
	v_or_b32_e32 v6, 0x10000, v2
	s_delay_alu instid0(VALU_DEP_2) | instskip(NEXT) | instid1(VALU_DEP_2)
	v_cmp_eq_u32_e32 vcc_lo, 0, v5
	v_cndmask_b32_e32 v5, v6, v2, vcc_lo
; %bb.4:
	s_or_b32 exec_lo, exec_lo, s0
	v_mbcnt_lo_u32_b32 v2, -1, 0
	s_delay_alu instid0(VALU_DEP_2) | instskip(SKIP_1) | instid1(VALU_DEP_3)
	v_and_b32_e32 v6, 0xffff0000, v5
	v_lshrrev_b32_e32 v5, 16, v5
	v_and_b32_e32 v2, 15, v2
	s_delay_alu instid0(VALU_DEP_1) | instskip(NEXT) | instid1(VALU_DEP_3)
	v_cmp_eq_u32_e32 vcc_lo, 0, v2
	v_cndmask_b32_e32 v3, v5, v3, vcc_lo
	s_delay_alu instid0(VALU_DEP_1) | instskip(NEXT) | instid1(VALU_DEP_1)
	v_mov_b32_dpp v5, v3 row_shr:2 row_mask:0xf bank_mask:0xf
	v_dual_cndmask_b32 v4, v6, v4 :: v_dual_lshlrev_b32 v5, 16, v5
	s_delay_alu instid0(VALU_DEP_1) | instskip(NEXT) | instid1(VALU_DEP_1)
	v_add_f32_e32 v5, v4, v5
	v_and_b32_e32 v6, 0x7f800000, v5
	s_delay_alu instid0(VALU_DEP_1) | instskip(SKIP_1) | instid1(SALU_CYCLE_1)
	v_cmp_ne_u32_e32 vcc_lo, 0x7f800000, v6
                                        ; implicit-def: $vgpr6
	s_and_saveexec_b32 s0, vcc_lo
	s_xor_b32 s0, exec_lo, s0
; %bb.5:
	v_bfe_u32 v6, v5, 16, 1
	s_delay_alu instid0(VALU_DEP_1)
	v_add3_u32 v6, v5, v6, 0x7fff
                                        ; implicit-def: $vgpr5
; %bb.6:
	s_and_not1_saveexec_b32 s0, s0
; %bb.7:
	v_and_b32_e32 v6, 0xffff, v5
	v_or_b32_e32 v7, 0x10000, v5
	s_delay_alu instid0(VALU_DEP_2) | instskip(NEXT) | instid1(VALU_DEP_2)
	v_cmp_eq_u32_e32 vcc_lo, 0, v6
	v_cndmask_b32_e32 v6, v7, v5, vcc_lo
; %bb.8:
	s_or_b32 exec_lo, exec_lo, s0
	s_delay_alu instid0(VALU_DEP_1) | instskip(SKIP_2) | instid1(VALU_DEP_2)
	v_and_b32_e32 v5, 0xffff0000, v6
	v_lshrrev_b32_e32 v6, 16, v6
	v_cmp_lt_u32_e32 vcc_lo, 1, v2
	v_dual_cndmask_b32 v4, v4, v5 :: v_dual_cndmask_b32 v3, v3, v6
	s_delay_alu instid0(VALU_DEP_1) | instskip(NEXT) | instid1(VALU_DEP_1)
	v_mov_b32_dpp v5, v3 row_shr:4 row_mask:0xf bank_mask:0xf
	v_lshlrev_b32_e32 v5, 16, v5
	s_delay_alu instid0(VALU_DEP_1) | instskip(NEXT) | instid1(VALU_DEP_1)
	v_add_f32_e32 v5, v4, v5
	v_and_b32_e32 v6, 0x7f800000, v5
	s_delay_alu instid0(VALU_DEP_1) | instskip(SKIP_1) | instid1(SALU_CYCLE_1)
	v_cmp_ne_u32_e32 vcc_lo, 0x7f800000, v6
                                        ; implicit-def: $vgpr6
	s_and_saveexec_b32 s0, vcc_lo
	s_xor_b32 s0, exec_lo, s0
; %bb.9:
	v_bfe_u32 v6, v5, 16, 1
	s_delay_alu instid0(VALU_DEP_1)
	v_add3_u32 v6, v5, v6, 0x7fff
                                        ; implicit-def: $vgpr5
; %bb.10:
	s_and_not1_saveexec_b32 s0, s0
; %bb.11:
	v_and_b32_e32 v6, 0xffff, v5
	v_or_b32_e32 v7, 0x10000, v5
	s_delay_alu instid0(VALU_DEP_2) | instskip(NEXT) | instid1(VALU_DEP_2)
	v_cmp_eq_u32_e32 vcc_lo, 0, v6
	v_cndmask_b32_e32 v6, v7, v5, vcc_lo
; %bb.12:
	s_or_b32 exec_lo, exec_lo, s0
	s_delay_alu instid0(VALU_DEP_1) | instskip(SKIP_2) | instid1(VALU_DEP_2)
	v_and_b32_e32 v5, 0xffff0000, v6
	v_lshrrev_b32_e32 v6, 16, v6
	v_cmp_lt_u32_e32 vcc_lo, 3, v2
	v_dual_cndmask_b32 v4, v4, v5 :: v_dual_cndmask_b32 v3, v3, v6
	s_delay_alu instid0(VALU_DEP_1) | instskip(NEXT) | instid1(VALU_DEP_1)
	v_mov_b32_dpp v5, v3 row_shr:8 row_mask:0xf bank_mask:0xf
	v_lshlrev_b32_e32 v5, 16, v5
	s_delay_alu instid0(VALU_DEP_1) | instskip(NEXT) | instid1(VALU_DEP_1)
	v_add_f32_e32 v4, v4, v5
	v_and_b32_e32 v5, 0x7f800000, v4
	s_delay_alu instid0(VALU_DEP_1) | instskip(SKIP_1) | instid1(SALU_CYCLE_1)
	v_cmp_ne_u32_e32 vcc_lo, 0x7f800000, v5
                                        ; implicit-def: $vgpr5
	s_and_saveexec_b32 s0, vcc_lo
	s_xor_b32 s0, exec_lo, s0
; %bb.13:
	v_bfe_u32 v5, v4, 16, 1
	s_delay_alu instid0(VALU_DEP_1)
	v_add3_u32 v5, v4, v5, 0x7fff
                                        ; implicit-def: $vgpr4
; %bb.14:
	s_and_not1_saveexec_b32 s0, s0
; %bb.15:
	v_and_b32_e32 v5, 0xffff, v4
	v_or_b32_e32 v6, 0x10000, v4
	s_delay_alu instid0(VALU_DEP_2) | instskip(NEXT) | instid1(VALU_DEP_2)
	v_cmp_eq_u32_e32 vcc_lo, 0, v5
	v_cndmask_b32_e32 v5, v6, v4, vcc_lo
; %bb.16:
	s_or_b32 exec_lo, exec_lo, s0
	s_delay_alu instid0(VALU_DEP_1) | instskip(SKIP_1) | instid1(VALU_DEP_2)
	v_lshrrev_b32_e32 v4, 16, v5
	v_cmp_lt_u32_e32 vcc_lo, 7, v2
	v_cndmask_b32_e32 v2, v3, v4, vcc_lo
	v_add_co_u32 v0, vcc_lo, s2, v0
	v_add_co_ci_u32_e32 v1, vcc_lo, s3, v1, vcc_lo
	global_store_b16 v[0:1], v2, off
	s_nop 0
	s_sendmsg sendmsg(MSG_DEALLOC_VGPRS)
	s_endpgm
	.section	.rodata,"a",@progbits
	.p2align	6, 0x0
	.amdhsa_kernel _Z26warp_inclusive_scan_kernelI12hip_bfloat16Lj64ELj16EENSt9enable_ifIXsr10test_utilsE35device_test_enabled_for_warp_size_vIXT1_EEEvE4typeEPT_S5_
		.amdhsa_group_segment_fixed_size 0
		.amdhsa_private_segment_fixed_size 0
		.amdhsa_kernarg_size 272
		.amdhsa_user_sgpr_count 15
		.amdhsa_user_sgpr_dispatch_ptr 0
		.amdhsa_user_sgpr_queue_ptr 0
		.amdhsa_user_sgpr_kernarg_segment_ptr 1
		.amdhsa_user_sgpr_dispatch_id 0
		.amdhsa_user_sgpr_private_segment_size 0
		.amdhsa_wavefront_size32 1
		.amdhsa_uses_dynamic_stack 0
		.amdhsa_enable_private_segment 0
		.amdhsa_system_sgpr_workgroup_id_x 1
		.amdhsa_system_sgpr_workgroup_id_y 0
		.amdhsa_system_sgpr_workgroup_id_z 0
		.amdhsa_system_sgpr_workgroup_info 0
		.amdhsa_system_vgpr_workitem_id 0
		.amdhsa_next_free_vgpr 8
		.amdhsa_next_free_sgpr 16
		.amdhsa_reserve_vcc 1
		.amdhsa_float_round_mode_32 0
		.amdhsa_float_round_mode_16_64 0
		.amdhsa_float_denorm_mode_32 3
		.amdhsa_float_denorm_mode_16_64 3
		.amdhsa_dx10_clamp 1
		.amdhsa_ieee_mode 1
		.amdhsa_fp16_overflow 0
		.amdhsa_workgroup_processor_mode 1
		.amdhsa_memory_ordered 1
		.amdhsa_forward_progress 0
		.amdhsa_shared_vgpr_count 0
		.amdhsa_exception_fp_ieee_invalid_op 0
		.amdhsa_exception_fp_denorm_src 0
		.amdhsa_exception_fp_ieee_div_zero 0
		.amdhsa_exception_fp_ieee_overflow 0
		.amdhsa_exception_fp_ieee_underflow 0
		.amdhsa_exception_fp_ieee_inexact 0
		.amdhsa_exception_int_div_zero 0
	.end_amdhsa_kernel
	.section	.text._Z26warp_inclusive_scan_kernelI12hip_bfloat16Lj64ELj16EENSt9enable_ifIXsr10test_utilsE35device_test_enabled_for_warp_size_vIXT1_EEEvE4typeEPT_S5_,"axG",@progbits,_Z26warp_inclusive_scan_kernelI12hip_bfloat16Lj64ELj16EENSt9enable_ifIXsr10test_utilsE35device_test_enabled_for_warp_size_vIXT1_EEEvE4typeEPT_S5_,comdat
.Lfunc_end22:
	.size	_Z26warp_inclusive_scan_kernelI12hip_bfloat16Lj64ELj16EENSt9enable_ifIXsr10test_utilsE35device_test_enabled_for_warp_size_vIXT1_EEEvE4typeEPT_S5_, .Lfunc_end22-_Z26warp_inclusive_scan_kernelI12hip_bfloat16Lj64ELj16EENSt9enable_ifIXsr10test_utilsE35device_test_enabled_for_warp_size_vIXT1_EEEvE4typeEPT_S5_
                                        ; -- End function
	.section	.AMDGPU.csdata,"",@progbits
; Kernel info:
; codeLenInByte = 684
; NumSgprs: 18
; NumVgprs: 8
; ScratchSize: 0
; MemoryBound: 0
; FloatMode: 240
; IeeeMode: 1
; LDSByteSize: 0 bytes/workgroup (compile time only)
; SGPRBlocks: 2
; VGPRBlocks: 0
; NumSGPRsForWavesPerEU: 18
; NumVGPRsForWavesPerEU: 8
; Occupancy: 16
; WaveLimiterHint : 0
; COMPUTE_PGM_RSRC2:SCRATCH_EN: 0
; COMPUTE_PGM_RSRC2:USER_SGPR: 15
; COMPUTE_PGM_RSRC2:TRAP_HANDLER: 0
; COMPUTE_PGM_RSRC2:TGID_X_EN: 1
; COMPUTE_PGM_RSRC2:TGID_Y_EN: 0
; COMPUTE_PGM_RSRC2:TGID_Z_EN: 0
; COMPUTE_PGM_RSRC2:TIDIG_COMP_CNT: 0
	.section	.text._Z26warp_inclusive_scan_kernelI12hip_bfloat16Lj32ELj8EENSt9enable_ifIXsr10test_utilsE35device_test_enabled_for_warp_size_vIXT1_EEEvE4typeEPT_S5_,"axG",@progbits,_Z26warp_inclusive_scan_kernelI12hip_bfloat16Lj32ELj8EENSt9enable_ifIXsr10test_utilsE35device_test_enabled_for_warp_size_vIXT1_EEEvE4typeEPT_S5_,comdat
	.protected	_Z26warp_inclusive_scan_kernelI12hip_bfloat16Lj32ELj8EENSt9enable_ifIXsr10test_utilsE35device_test_enabled_for_warp_size_vIXT1_EEEvE4typeEPT_S5_ ; -- Begin function _Z26warp_inclusive_scan_kernelI12hip_bfloat16Lj32ELj8EENSt9enable_ifIXsr10test_utilsE35device_test_enabled_for_warp_size_vIXT1_EEEvE4typeEPT_S5_
	.globl	_Z26warp_inclusive_scan_kernelI12hip_bfloat16Lj32ELj8EENSt9enable_ifIXsr10test_utilsE35device_test_enabled_for_warp_size_vIXT1_EEEvE4typeEPT_S5_
	.p2align	8
	.type	_Z26warp_inclusive_scan_kernelI12hip_bfloat16Lj32ELj8EENSt9enable_ifIXsr10test_utilsE35device_test_enabled_for_warp_size_vIXT1_EEEvE4typeEPT_S5_,@function
_Z26warp_inclusive_scan_kernelI12hip_bfloat16Lj32ELj8EENSt9enable_ifIXsr10test_utilsE35device_test_enabled_for_warp_size_vIXT1_EEEvE4typeEPT_S5_: ; @_Z26warp_inclusive_scan_kernelI12hip_bfloat16Lj32ELj8EENSt9enable_ifIXsr10test_utilsE35device_test_enabled_for_warp_size_vIXT1_EEEvE4typeEPT_S5_
; %bb.0:
	s_clause 0x1
	s_load_b32 s4, s[0:1], 0x1c
	s_load_b128 s[0:3], s[0:1], 0x0
	s_waitcnt lgkmcnt(0)
	s_and_b32 s4, s4, 0xffff
	s_delay_alu instid0(SALU_CYCLE_1) | instskip(SKIP_1) | instid1(VALU_DEP_1)
	v_mad_u64_u32 v[1:2], null, s15, s4, v[0:1]
	v_mov_b32_e32 v2, 0
	v_lshlrev_b64 v[0:1], 1, v[1:2]
	s_delay_alu instid0(VALU_DEP_1) | instskip(NEXT) | instid1(VALU_DEP_2)
	v_add_co_u32 v2, vcc_lo, s0, v0
	v_add_co_ci_u32_e32 v3, vcc_lo, s1, v1, vcc_lo
	global_load_u16 v3, v[2:3], off
	s_waitcnt vmcnt(0)
	v_mov_b32_dpp v2, v3 row_shr:1 row_mask:0xf bank_mask:0xf
	v_lshlrev_b32_e32 v4, 16, v3
	s_delay_alu instid0(VALU_DEP_2) | instskip(NEXT) | instid1(VALU_DEP_1)
	v_lshlrev_b32_e32 v2, 16, v2
	v_add_f32_e32 v2, v4, v2
	s_delay_alu instid0(VALU_DEP_1) | instskip(NEXT) | instid1(VALU_DEP_1)
	v_and_b32_e32 v5, 0x7f800000, v2
	v_cmp_ne_u32_e32 vcc_lo, 0x7f800000, v5
                                        ; implicit-def: $vgpr5
	s_and_saveexec_b32 s0, vcc_lo
	s_delay_alu instid0(SALU_CYCLE_1)
	s_xor_b32 s0, exec_lo, s0
; %bb.1:
	v_bfe_u32 v5, v2, 16, 1
	s_delay_alu instid0(VALU_DEP_1)
	v_add3_u32 v5, v2, v5, 0x7fff
                                        ; implicit-def: $vgpr2
; %bb.2:
	s_and_not1_saveexec_b32 s0, s0
; %bb.3:
	v_and_b32_e32 v5, 0xffff, v2
	v_or_b32_e32 v6, 0x10000, v2
	s_delay_alu instid0(VALU_DEP_2) | instskip(NEXT) | instid1(VALU_DEP_2)
	v_cmp_eq_u32_e32 vcc_lo, 0, v5
	v_cndmask_b32_e32 v5, v6, v2, vcc_lo
; %bb.4:
	s_or_b32 exec_lo, exec_lo, s0
	v_mbcnt_lo_u32_b32 v2, -1, 0
	s_delay_alu instid0(VALU_DEP_2) | instskip(SKIP_1) | instid1(VALU_DEP_3)
	v_and_b32_e32 v6, 0xffff0000, v5
	v_lshrrev_b32_e32 v5, 16, v5
	v_and_b32_e32 v2, 7, v2
	s_delay_alu instid0(VALU_DEP_1) | instskip(NEXT) | instid1(VALU_DEP_3)
	v_cmp_eq_u32_e32 vcc_lo, 0, v2
	v_cndmask_b32_e32 v3, v5, v3, vcc_lo
	s_delay_alu instid0(VALU_DEP_1) | instskip(NEXT) | instid1(VALU_DEP_1)
	v_mov_b32_dpp v5, v3 row_shr:2 row_mask:0xf bank_mask:0xf
	v_dual_cndmask_b32 v4, v6, v4 :: v_dual_lshlrev_b32 v5, 16, v5
	s_delay_alu instid0(VALU_DEP_1) | instskip(NEXT) | instid1(VALU_DEP_1)
	v_add_f32_e32 v5, v4, v5
	v_and_b32_e32 v6, 0x7f800000, v5
	s_delay_alu instid0(VALU_DEP_1) | instskip(SKIP_1) | instid1(SALU_CYCLE_1)
	v_cmp_ne_u32_e32 vcc_lo, 0x7f800000, v6
                                        ; implicit-def: $vgpr6
	s_and_saveexec_b32 s0, vcc_lo
	s_xor_b32 s0, exec_lo, s0
; %bb.5:
	v_bfe_u32 v6, v5, 16, 1
	s_delay_alu instid0(VALU_DEP_1)
	v_add3_u32 v6, v5, v6, 0x7fff
                                        ; implicit-def: $vgpr5
; %bb.6:
	s_and_not1_saveexec_b32 s0, s0
; %bb.7:
	v_and_b32_e32 v6, 0xffff, v5
	v_or_b32_e32 v7, 0x10000, v5
	s_delay_alu instid0(VALU_DEP_2) | instskip(NEXT) | instid1(VALU_DEP_2)
	v_cmp_eq_u32_e32 vcc_lo, 0, v6
	v_cndmask_b32_e32 v6, v7, v5, vcc_lo
; %bb.8:
	s_or_b32 exec_lo, exec_lo, s0
	s_delay_alu instid0(VALU_DEP_1) | instskip(SKIP_2) | instid1(VALU_DEP_2)
	v_and_b32_e32 v5, 0xffff0000, v6
	v_lshrrev_b32_e32 v6, 16, v6
	v_cmp_lt_u32_e32 vcc_lo, 1, v2
	v_dual_cndmask_b32 v4, v4, v5 :: v_dual_cndmask_b32 v3, v3, v6
	s_delay_alu instid0(VALU_DEP_1) | instskip(NEXT) | instid1(VALU_DEP_1)
	v_mov_b32_dpp v5, v3 row_shr:4 row_mask:0xf bank_mask:0xf
	v_lshlrev_b32_e32 v5, 16, v5
	s_delay_alu instid0(VALU_DEP_1) | instskip(NEXT) | instid1(VALU_DEP_1)
	v_add_f32_e32 v4, v4, v5
	v_and_b32_e32 v5, 0x7f800000, v4
	s_delay_alu instid0(VALU_DEP_1) | instskip(SKIP_1) | instid1(SALU_CYCLE_1)
	v_cmp_ne_u32_e32 vcc_lo, 0x7f800000, v5
                                        ; implicit-def: $vgpr5
	s_and_saveexec_b32 s0, vcc_lo
	s_xor_b32 s0, exec_lo, s0
; %bb.9:
	v_bfe_u32 v5, v4, 16, 1
	s_delay_alu instid0(VALU_DEP_1)
	v_add3_u32 v5, v4, v5, 0x7fff
                                        ; implicit-def: $vgpr4
; %bb.10:
	s_and_not1_saveexec_b32 s0, s0
; %bb.11:
	v_and_b32_e32 v5, 0xffff, v4
	v_or_b32_e32 v6, 0x10000, v4
	s_delay_alu instid0(VALU_DEP_2) | instskip(NEXT) | instid1(VALU_DEP_2)
	v_cmp_eq_u32_e32 vcc_lo, 0, v5
	v_cndmask_b32_e32 v5, v6, v4, vcc_lo
; %bb.12:
	s_or_b32 exec_lo, exec_lo, s0
	s_delay_alu instid0(VALU_DEP_1) | instskip(SKIP_1) | instid1(VALU_DEP_2)
	v_lshrrev_b32_e32 v4, 16, v5
	v_cmp_lt_u32_e32 vcc_lo, 3, v2
	v_cndmask_b32_e32 v2, v3, v4, vcc_lo
	v_add_co_u32 v0, vcc_lo, s2, v0
	v_add_co_ci_u32_e32 v1, vcc_lo, s3, v1, vcc_lo
	global_store_b16 v[0:1], v2, off
	s_nop 0
	s_sendmsg sendmsg(MSG_DEALLOC_VGPRS)
	s_endpgm
	.section	.rodata,"a",@progbits
	.p2align	6, 0x0
	.amdhsa_kernel _Z26warp_inclusive_scan_kernelI12hip_bfloat16Lj32ELj8EENSt9enable_ifIXsr10test_utilsE35device_test_enabled_for_warp_size_vIXT1_EEEvE4typeEPT_S5_
		.amdhsa_group_segment_fixed_size 0
		.amdhsa_private_segment_fixed_size 0
		.amdhsa_kernarg_size 272
		.amdhsa_user_sgpr_count 15
		.amdhsa_user_sgpr_dispatch_ptr 0
		.amdhsa_user_sgpr_queue_ptr 0
		.amdhsa_user_sgpr_kernarg_segment_ptr 1
		.amdhsa_user_sgpr_dispatch_id 0
		.amdhsa_user_sgpr_private_segment_size 0
		.amdhsa_wavefront_size32 1
		.amdhsa_uses_dynamic_stack 0
		.amdhsa_enable_private_segment 0
		.amdhsa_system_sgpr_workgroup_id_x 1
		.amdhsa_system_sgpr_workgroup_id_y 0
		.amdhsa_system_sgpr_workgroup_id_z 0
		.amdhsa_system_sgpr_workgroup_info 0
		.amdhsa_system_vgpr_workitem_id 0
		.amdhsa_next_free_vgpr 8
		.amdhsa_next_free_sgpr 16
		.amdhsa_reserve_vcc 1
		.amdhsa_float_round_mode_32 0
		.amdhsa_float_round_mode_16_64 0
		.amdhsa_float_denorm_mode_32 3
		.amdhsa_float_denorm_mode_16_64 3
		.amdhsa_dx10_clamp 1
		.amdhsa_ieee_mode 1
		.amdhsa_fp16_overflow 0
		.amdhsa_workgroup_processor_mode 1
		.amdhsa_memory_ordered 1
		.amdhsa_forward_progress 0
		.amdhsa_shared_vgpr_count 0
		.amdhsa_exception_fp_ieee_invalid_op 0
		.amdhsa_exception_fp_denorm_src 0
		.amdhsa_exception_fp_ieee_div_zero 0
		.amdhsa_exception_fp_ieee_overflow 0
		.amdhsa_exception_fp_ieee_underflow 0
		.amdhsa_exception_fp_ieee_inexact 0
		.amdhsa_exception_int_div_zero 0
	.end_amdhsa_kernel
	.section	.text._Z26warp_inclusive_scan_kernelI12hip_bfloat16Lj32ELj8EENSt9enable_ifIXsr10test_utilsE35device_test_enabled_for_warp_size_vIXT1_EEEvE4typeEPT_S5_,"axG",@progbits,_Z26warp_inclusive_scan_kernelI12hip_bfloat16Lj32ELj8EENSt9enable_ifIXsr10test_utilsE35device_test_enabled_for_warp_size_vIXT1_EEEvE4typeEPT_S5_,comdat
.Lfunc_end23:
	.size	_Z26warp_inclusive_scan_kernelI12hip_bfloat16Lj32ELj8EENSt9enable_ifIXsr10test_utilsE35device_test_enabled_for_warp_size_vIXT1_EEEvE4typeEPT_S5_, .Lfunc_end23-_Z26warp_inclusive_scan_kernelI12hip_bfloat16Lj32ELj8EENSt9enable_ifIXsr10test_utilsE35device_test_enabled_for_warp_size_vIXT1_EEEvE4typeEPT_S5_
                                        ; -- End function
	.section	.AMDGPU.csdata,"",@progbits
; Kernel info:
; codeLenInByte = 544
; NumSgprs: 18
; NumVgprs: 8
; ScratchSize: 0
; MemoryBound: 0
; FloatMode: 240
; IeeeMode: 1
; LDSByteSize: 0 bytes/workgroup (compile time only)
; SGPRBlocks: 2
; VGPRBlocks: 0
; NumSGPRsForWavesPerEU: 18
; NumVGPRsForWavesPerEU: 8
; Occupancy: 16
; WaveLimiterHint : 0
; COMPUTE_PGM_RSRC2:SCRATCH_EN: 0
; COMPUTE_PGM_RSRC2:USER_SGPR: 15
; COMPUTE_PGM_RSRC2:TRAP_HANDLER: 0
; COMPUTE_PGM_RSRC2:TGID_X_EN: 1
; COMPUTE_PGM_RSRC2:TGID_Y_EN: 0
; COMPUTE_PGM_RSRC2:TGID_Z_EN: 0
; COMPUTE_PGM_RSRC2:TIDIG_COMP_CNT: 0
	.section	.text._Z26warp_inclusive_scan_kernelI12hip_bfloat16Lj64ELj8EENSt9enable_ifIXsr10test_utilsE35device_test_enabled_for_warp_size_vIXT1_EEEvE4typeEPT_S5_,"axG",@progbits,_Z26warp_inclusive_scan_kernelI12hip_bfloat16Lj64ELj8EENSt9enable_ifIXsr10test_utilsE35device_test_enabled_for_warp_size_vIXT1_EEEvE4typeEPT_S5_,comdat
	.protected	_Z26warp_inclusive_scan_kernelI12hip_bfloat16Lj64ELj8EENSt9enable_ifIXsr10test_utilsE35device_test_enabled_for_warp_size_vIXT1_EEEvE4typeEPT_S5_ ; -- Begin function _Z26warp_inclusive_scan_kernelI12hip_bfloat16Lj64ELj8EENSt9enable_ifIXsr10test_utilsE35device_test_enabled_for_warp_size_vIXT1_EEEvE4typeEPT_S5_
	.globl	_Z26warp_inclusive_scan_kernelI12hip_bfloat16Lj64ELj8EENSt9enable_ifIXsr10test_utilsE35device_test_enabled_for_warp_size_vIXT1_EEEvE4typeEPT_S5_
	.p2align	8
	.type	_Z26warp_inclusive_scan_kernelI12hip_bfloat16Lj64ELj8EENSt9enable_ifIXsr10test_utilsE35device_test_enabled_for_warp_size_vIXT1_EEEvE4typeEPT_S5_,@function
_Z26warp_inclusive_scan_kernelI12hip_bfloat16Lj64ELj8EENSt9enable_ifIXsr10test_utilsE35device_test_enabled_for_warp_size_vIXT1_EEEvE4typeEPT_S5_: ; @_Z26warp_inclusive_scan_kernelI12hip_bfloat16Lj64ELj8EENSt9enable_ifIXsr10test_utilsE35device_test_enabled_for_warp_size_vIXT1_EEEvE4typeEPT_S5_
; %bb.0:
	s_clause 0x1
	s_load_b32 s4, s[0:1], 0x1c
	s_load_b128 s[0:3], s[0:1], 0x0
	s_waitcnt lgkmcnt(0)
	s_and_b32 s4, s4, 0xffff
	s_delay_alu instid0(SALU_CYCLE_1) | instskip(SKIP_1) | instid1(VALU_DEP_1)
	v_mad_u64_u32 v[1:2], null, s15, s4, v[0:1]
	v_mov_b32_e32 v2, 0
	v_lshlrev_b64 v[0:1], 1, v[1:2]
	s_delay_alu instid0(VALU_DEP_1) | instskip(NEXT) | instid1(VALU_DEP_2)
	v_add_co_u32 v2, vcc_lo, s0, v0
	v_add_co_ci_u32_e32 v3, vcc_lo, s1, v1, vcc_lo
	global_load_u16 v3, v[2:3], off
	s_waitcnt vmcnt(0)
	v_mov_b32_dpp v2, v3 row_shr:1 row_mask:0xf bank_mask:0xf
	v_lshlrev_b32_e32 v4, 16, v3
	s_delay_alu instid0(VALU_DEP_2) | instskip(NEXT) | instid1(VALU_DEP_1)
	v_lshlrev_b32_e32 v2, 16, v2
	v_add_f32_e32 v2, v4, v2
	s_delay_alu instid0(VALU_DEP_1) | instskip(NEXT) | instid1(VALU_DEP_1)
	v_and_b32_e32 v5, 0x7f800000, v2
	v_cmp_ne_u32_e32 vcc_lo, 0x7f800000, v5
                                        ; implicit-def: $vgpr5
	s_and_saveexec_b32 s0, vcc_lo
	s_delay_alu instid0(SALU_CYCLE_1)
	s_xor_b32 s0, exec_lo, s0
; %bb.1:
	v_bfe_u32 v5, v2, 16, 1
	s_delay_alu instid0(VALU_DEP_1)
	v_add3_u32 v5, v2, v5, 0x7fff
                                        ; implicit-def: $vgpr2
; %bb.2:
	s_and_not1_saveexec_b32 s0, s0
; %bb.3:
	v_and_b32_e32 v5, 0xffff, v2
	v_or_b32_e32 v6, 0x10000, v2
	s_delay_alu instid0(VALU_DEP_2) | instskip(NEXT) | instid1(VALU_DEP_2)
	v_cmp_eq_u32_e32 vcc_lo, 0, v5
	v_cndmask_b32_e32 v5, v6, v2, vcc_lo
; %bb.4:
	s_or_b32 exec_lo, exec_lo, s0
	v_mbcnt_lo_u32_b32 v2, -1, 0
	s_delay_alu instid0(VALU_DEP_2) | instskip(SKIP_1) | instid1(VALU_DEP_3)
	v_and_b32_e32 v6, 0xffff0000, v5
	v_lshrrev_b32_e32 v5, 16, v5
	v_and_b32_e32 v2, 7, v2
	s_delay_alu instid0(VALU_DEP_1) | instskip(NEXT) | instid1(VALU_DEP_3)
	v_cmp_eq_u32_e32 vcc_lo, 0, v2
	v_cndmask_b32_e32 v3, v5, v3, vcc_lo
	s_delay_alu instid0(VALU_DEP_1) | instskip(NEXT) | instid1(VALU_DEP_1)
	v_mov_b32_dpp v5, v3 row_shr:2 row_mask:0xf bank_mask:0xf
	v_dual_cndmask_b32 v4, v6, v4 :: v_dual_lshlrev_b32 v5, 16, v5
	s_delay_alu instid0(VALU_DEP_1) | instskip(NEXT) | instid1(VALU_DEP_1)
	v_add_f32_e32 v5, v4, v5
	v_and_b32_e32 v6, 0x7f800000, v5
	s_delay_alu instid0(VALU_DEP_1) | instskip(SKIP_1) | instid1(SALU_CYCLE_1)
	v_cmp_ne_u32_e32 vcc_lo, 0x7f800000, v6
                                        ; implicit-def: $vgpr6
	s_and_saveexec_b32 s0, vcc_lo
	s_xor_b32 s0, exec_lo, s0
; %bb.5:
	v_bfe_u32 v6, v5, 16, 1
	s_delay_alu instid0(VALU_DEP_1)
	v_add3_u32 v6, v5, v6, 0x7fff
                                        ; implicit-def: $vgpr5
; %bb.6:
	s_and_not1_saveexec_b32 s0, s0
; %bb.7:
	v_and_b32_e32 v6, 0xffff, v5
	v_or_b32_e32 v7, 0x10000, v5
	s_delay_alu instid0(VALU_DEP_2) | instskip(NEXT) | instid1(VALU_DEP_2)
	v_cmp_eq_u32_e32 vcc_lo, 0, v6
	v_cndmask_b32_e32 v6, v7, v5, vcc_lo
; %bb.8:
	s_or_b32 exec_lo, exec_lo, s0
	s_delay_alu instid0(VALU_DEP_1) | instskip(SKIP_2) | instid1(VALU_DEP_2)
	v_and_b32_e32 v5, 0xffff0000, v6
	v_lshrrev_b32_e32 v6, 16, v6
	v_cmp_lt_u32_e32 vcc_lo, 1, v2
	v_dual_cndmask_b32 v4, v4, v5 :: v_dual_cndmask_b32 v3, v3, v6
	s_delay_alu instid0(VALU_DEP_1) | instskip(NEXT) | instid1(VALU_DEP_1)
	v_mov_b32_dpp v5, v3 row_shr:4 row_mask:0xf bank_mask:0xf
	v_lshlrev_b32_e32 v5, 16, v5
	s_delay_alu instid0(VALU_DEP_1) | instskip(NEXT) | instid1(VALU_DEP_1)
	v_add_f32_e32 v4, v4, v5
	v_and_b32_e32 v5, 0x7f800000, v4
	s_delay_alu instid0(VALU_DEP_1) | instskip(SKIP_1) | instid1(SALU_CYCLE_1)
	v_cmp_ne_u32_e32 vcc_lo, 0x7f800000, v5
                                        ; implicit-def: $vgpr5
	s_and_saveexec_b32 s0, vcc_lo
	s_xor_b32 s0, exec_lo, s0
; %bb.9:
	v_bfe_u32 v5, v4, 16, 1
	s_delay_alu instid0(VALU_DEP_1)
	v_add3_u32 v5, v4, v5, 0x7fff
                                        ; implicit-def: $vgpr4
; %bb.10:
	s_and_not1_saveexec_b32 s0, s0
; %bb.11:
	v_and_b32_e32 v5, 0xffff, v4
	v_or_b32_e32 v6, 0x10000, v4
	s_delay_alu instid0(VALU_DEP_2) | instskip(NEXT) | instid1(VALU_DEP_2)
	v_cmp_eq_u32_e32 vcc_lo, 0, v5
	v_cndmask_b32_e32 v5, v6, v4, vcc_lo
; %bb.12:
	s_or_b32 exec_lo, exec_lo, s0
	s_delay_alu instid0(VALU_DEP_1) | instskip(SKIP_1) | instid1(VALU_DEP_2)
	v_lshrrev_b32_e32 v4, 16, v5
	v_cmp_lt_u32_e32 vcc_lo, 3, v2
	v_cndmask_b32_e32 v2, v3, v4, vcc_lo
	v_add_co_u32 v0, vcc_lo, s2, v0
	v_add_co_ci_u32_e32 v1, vcc_lo, s3, v1, vcc_lo
	global_store_b16 v[0:1], v2, off
	s_nop 0
	s_sendmsg sendmsg(MSG_DEALLOC_VGPRS)
	s_endpgm
	.section	.rodata,"a",@progbits
	.p2align	6, 0x0
	.amdhsa_kernel _Z26warp_inclusive_scan_kernelI12hip_bfloat16Lj64ELj8EENSt9enable_ifIXsr10test_utilsE35device_test_enabled_for_warp_size_vIXT1_EEEvE4typeEPT_S5_
		.amdhsa_group_segment_fixed_size 0
		.amdhsa_private_segment_fixed_size 0
		.amdhsa_kernarg_size 272
		.amdhsa_user_sgpr_count 15
		.amdhsa_user_sgpr_dispatch_ptr 0
		.amdhsa_user_sgpr_queue_ptr 0
		.amdhsa_user_sgpr_kernarg_segment_ptr 1
		.amdhsa_user_sgpr_dispatch_id 0
		.amdhsa_user_sgpr_private_segment_size 0
		.amdhsa_wavefront_size32 1
		.amdhsa_uses_dynamic_stack 0
		.amdhsa_enable_private_segment 0
		.amdhsa_system_sgpr_workgroup_id_x 1
		.amdhsa_system_sgpr_workgroup_id_y 0
		.amdhsa_system_sgpr_workgroup_id_z 0
		.amdhsa_system_sgpr_workgroup_info 0
		.amdhsa_system_vgpr_workitem_id 0
		.amdhsa_next_free_vgpr 8
		.amdhsa_next_free_sgpr 16
		.amdhsa_reserve_vcc 1
		.amdhsa_float_round_mode_32 0
		.amdhsa_float_round_mode_16_64 0
		.amdhsa_float_denorm_mode_32 3
		.amdhsa_float_denorm_mode_16_64 3
		.amdhsa_dx10_clamp 1
		.amdhsa_ieee_mode 1
		.amdhsa_fp16_overflow 0
		.amdhsa_workgroup_processor_mode 1
		.amdhsa_memory_ordered 1
		.amdhsa_forward_progress 0
		.amdhsa_shared_vgpr_count 0
		.amdhsa_exception_fp_ieee_invalid_op 0
		.amdhsa_exception_fp_denorm_src 0
		.amdhsa_exception_fp_ieee_div_zero 0
		.amdhsa_exception_fp_ieee_overflow 0
		.amdhsa_exception_fp_ieee_underflow 0
		.amdhsa_exception_fp_ieee_inexact 0
		.amdhsa_exception_int_div_zero 0
	.end_amdhsa_kernel
	.section	.text._Z26warp_inclusive_scan_kernelI12hip_bfloat16Lj64ELj8EENSt9enable_ifIXsr10test_utilsE35device_test_enabled_for_warp_size_vIXT1_EEEvE4typeEPT_S5_,"axG",@progbits,_Z26warp_inclusive_scan_kernelI12hip_bfloat16Lj64ELj8EENSt9enable_ifIXsr10test_utilsE35device_test_enabled_for_warp_size_vIXT1_EEEvE4typeEPT_S5_,comdat
.Lfunc_end24:
	.size	_Z26warp_inclusive_scan_kernelI12hip_bfloat16Lj64ELj8EENSt9enable_ifIXsr10test_utilsE35device_test_enabled_for_warp_size_vIXT1_EEEvE4typeEPT_S5_, .Lfunc_end24-_Z26warp_inclusive_scan_kernelI12hip_bfloat16Lj64ELj8EENSt9enable_ifIXsr10test_utilsE35device_test_enabled_for_warp_size_vIXT1_EEEvE4typeEPT_S5_
                                        ; -- End function
	.section	.AMDGPU.csdata,"",@progbits
; Kernel info:
; codeLenInByte = 544
; NumSgprs: 18
; NumVgprs: 8
; ScratchSize: 0
; MemoryBound: 0
; FloatMode: 240
; IeeeMode: 1
; LDSByteSize: 0 bytes/workgroup (compile time only)
; SGPRBlocks: 2
; VGPRBlocks: 0
; NumSGPRsForWavesPerEU: 18
; NumVGPRsForWavesPerEU: 8
; Occupancy: 16
; WaveLimiterHint : 0
; COMPUTE_PGM_RSRC2:SCRATCH_EN: 0
; COMPUTE_PGM_RSRC2:USER_SGPR: 15
; COMPUTE_PGM_RSRC2:TRAP_HANDLER: 0
; COMPUTE_PGM_RSRC2:TGID_X_EN: 1
; COMPUTE_PGM_RSRC2:TGID_Y_EN: 0
; COMPUTE_PGM_RSRC2:TGID_Z_EN: 0
; COMPUTE_PGM_RSRC2:TIDIG_COMP_CNT: 0
	.section	.text._Z26warp_inclusive_scan_kernelI12hip_bfloat16Lj32ELj4EENSt9enable_ifIXsr10test_utilsE35device_test_enabled_for_warp_size_vIXT1_EEEvE4typeEPT_S5_,"axG",@progbits,_Z26warp_inclusive_scan_kernelI12hip_bfloat16Lj32ELj4EENSt9enable_ifIXsr10test_utilsE35device_test_enabled_for_warp_size_vIXT1_EEEvE4typeEPT_S5_,comdat
	.protected	_Z26warp_inclusive_scan_kernelI12hip_bfloat16Lj32ELj4EENSt9enable_ifIXsr10test_utilsE35device_test_enabled_for_warp_size_vIXT1_EEEvE4typeEPT_S5_ ; -- Begin function _Z26warp_inclusive_scan_kernelI12hip_bfloat16Lj32ELj4EENSt9enable_ifIXsr10test_utilsE35device_test_enabled_for_warp_size_vIXT1_EEEvE4typeEPT_S5_
	.globl	_Z26warp_inclusive_scan_kernelI12hip_bfloat16Lj32ELj4EENSt9enable_ifIXsr10test_utilsE35device_test_enabled_for_warp_size_vIXT1_EEEvE4typeEPT_S5_
	.p2align	8
	.type	_Z26warp_inclusive_scan_kernelI12hip_bfloat16Lj32ELj4EENSt9enable_ifIXsr10test_utilsE35device_test_enabled_for_warp_size_vIXT1_EEEvE4typeEPT_S5_,@function
_Z26warp_inclusive_scan_kernelI12hip_bfloat16Lj32ELj4EENSt9enable_ifIXsr10test_utilsE35device_test_enabled_for_warp_size_vIXT1_EEEvE4typeEPT_S5_: ; @_Z26warp_inclusive_scan_kernelI12hip_bfloat16Lj32ELj4EENSt9enable_ifIXsr10test_utilsE35device_test_enabled_for_warp_size_vIXT1_EEEvE4typeEPT_S5_
; %bb.0:
	s_clause 0x1
	s_load_b32 s4, s[0:1], 0x1c
	s_load_b128 s[0:3], s[0:1], 0x0
	s_waitcnt lgkmcnt(0)
	s_and_b32 s4, s4, 0xffff
	s_delay_alu instid0(SALU_CYCLE_1) | instskip(SKIP_1) | instid1(VALU_DEP_1)
	v_mad_u64_u32 v[1:2], null, s15, s4, v[0:1]
	v_mov_b32_e32 v2, 0
	v_lshlrev_b64 v[0:1], 1, v[1:2]
	s_delay_alu instid0(VALU_DEP_1) | instskip(NEXT) | instid1(VALU_DEP_2)
	v_add_co_u32 v2, vcc_lo, s0, v0
	v_add_co_ci_u32_e32 v3, vcc_lo, s1, v1, vcc_lo
	global_load_u16 v2, v[2:3], off
	s_waitcnt vmcnt(0)
	v_mov_b32_dpp v3, v2 row_shr:1 row_mask:0xf bank_mask:0xf
	v_lshlrev_b32_e32 v4, 16, v2
	s_delay_alu instid0(VALU_DEP_2) | instskip(NEXT) | instid1(VALU_DEP_1)
	v_lshlrev_b32_e32 v3, 16, v3
	v_add_f32_e32 v3, v4, v3
	s_delay_alu instid0(VALU_DEP_1) | instskip(NEXT) | instid1(VALU_DEP_1)
	v_and_b32_e32 v5, 0x7f800000, v3
	v_cmp_ne_u32_e32 vcc_lo, 0x7f800000, v5
                                        ; implicit-def: $vgpr5
	s_and_saveexec_b32 s0, vcc_lo
	s_delay_alu instid0(SALU_CYCLE_1)
	s_xor_b32 s0, exec_lo, s0
; %bb.1:
	v_bfe_u32 v5, v3, 16, 1
	s_delay_alu instid0(VALU_DEP_1)
	v_add3_u32 v5, v3, v5, 0x7fff
                                        ; implicit-def: $vgpr3
; %bb.2:
	s_and_not1_saveexec_b32 s0, s0
; %bb.3:
	v_and_b32_e32 v5, 0xffff, v3
	v_or_b32_e32 v6, 0x10000, v3
	s_delay_alu instid0(VALU_DEP_2) | instskip(NEXT) | instid1(VALU_DEP_2)
	v_cmp_eq_u32_e32 vcc_lo, 0, v5
	v_cndmask_b32_e32 v5, v6, v3, vcc_lo
; %bb.4:
	s_or_b32 exec_lo, exec_lo, s0
	v_mbcnt_lo_u32_b32 v3, -1, 0
	s_delay_alu instid0(VALU_DEP_2) | instskip(SKIP_1) | instid1(VALU_DEP_3)
	v_and_b32_e32 v6, 0xffff0000, v5
	v_lshrrev_b32_e32 v5, 16, v5
	v_and_b32_e32 v3, 3, v3
	s_delay_alu instid0(VALU_DEP_1) | instskip(NEXT) | instid1(VALU_DEP_4)
	v_cmp_eq_u32_e32 vcc_lo, 0, v3
	v_cndmask_b32_e32 v4, v6, v4, vcc_lo
	s_delay_alu instid0(VALU_DEP_4) | instskip(NEXT) | instid1(VALU_DEP_1)
	v_cndmask_b32_e32 v2, v5, v2, vcc_lo
	v_mov_b32_dpp v5, v2 row_shr:2 row_mask:0xf bank_mask:0xf
	s_delay_alu instid0(VALU_DEP_1) | instskip(NEXT) | instid1(VALU_DEP_1)
	v_lshlrev_b32_e32 v5, 16, v5
	v_add_f32_e32 v4, v4, v5
	s_delay_alu instid0(VALU_DEP_1) | instskip(NEXT) | instid1(VALU_DEP_1)
	v_and_b32_e32 v5, 0x7f800000, v4
	v_cmp_ne_u32_e32 vcc_lo, 0x7f800000, v5
                                        ; implicit-def: $vgpr5
	s_and_saveexec_b32 s0, vcc_lo
	s_delay_alu instid0(SALU_CYCLE_1)
	s_xor_b32 s0, exec_lo, s0
; %bb.5:
	v_bfe_u32 v5, v4, 16, 1
	s_delay_alu instid0(VALU_DEP_1)
	v_add3_u32 v5, v4, v5, 0x7fff
                                        ; implicit-def: $vgpr4
; %bb.6:
	s_and_not1_saveexec_b32 s0, s0
; %bb.7:
	v_and_b32_e32 v5, 0xffff, v4
	v_or_b32_e32 v6, 0x10000, v4
	s_delay_alu instid0(VALU_DEP_2) | instskip(NEXT) | instid1(VALU_DEP_2)
	v_cmp_eq_u32_e32 vcc_lo, 0, v5
	v_cndmask_b32_e32 v5, v6, v4, vcc_lo
; %bb.8:
	s_or_b32 exec_lo, exec_lo, s0
	s_delay_alu instid0(VALU_DEP_1) | instskip(SKIP_1) | instid1(VALU_DEP_2)
	v_lshrrev_b32_e32 v4, 16, v5
	v_cmp_lt_u32_e32 vcc_lo, 1, v3
	v_cndmask_b32_e32 v2, v2, v4, vcc_lo
	v_add_co_u32 v0, vcc_lo, s2, v0
	v_add_co_ci_u32_e32 v1, vcc_lo, s3, v1, vcc_lo
	global_store_b16 v[0:1], v2, off
	s_nop 0
	s_sendmsg sendmsg(MSG_DEALLOC_VGPRS)
	s_endpgm
	.section	.rodata,"a",@progbits
	.p2align	6, 0x0
	.amdhsa_kernel _Z26warp_inclusive_scan_kernelI12hip_bfloat16Lj32ELj4EENSt9enable_ifIXsr10test_utilsE35device_test_enabled_for_warp_size_vIXT1_EEEvE4typeEPT_S5_
		.amdhsa_group_segment_fixed_size 0
		.amdhsa_private_segment_fixed_size 0
		.amdhsa_kernarg_size 272
		.amdhsa_user_sgpr_count 15
		.amdhsa_user_sgpr_dispatch_ptr 0
		.amdhsa_user_sgpr_queue_ptr 0
		.amdhsa_user_sgpr_kernarg_segment_ptr 1
		.amdhsa_user_sgpr_dispatch_id 0
		.amdhsa_user_sgpr_private_segment_size 0
		.amdhsa_wavefront_size32 1
		.amdhsa_uses_dynamic_stack 0
		.amdhsa_enable_private_segment 0
		.amdhsa_system_sgpr_workgroup_id_x 1
		.amdhsa_system_sgpr_workgroup_id_y 0
		.amdhsa_system_sgpr_workgroup_id_z 0
		.amdhsa_system_sgpr_workgroup_info 0
		.amdhsa_system_vgpr_workitem_id 0
		.amdhsa_next_free_vgpr 7
		.amdhsa_next_free_sgpr 16
		.amdhsa_reserve_vcc 1
		.amdhsa_float_round_mode_32 0
		.amdhsa_float_round_mode_16_64 0
		.amdhsa_float_denorm_mode_32 3
		.amdhsa_float_denorm_mode_16_64 3
		.amdhsa_dx10_clamp 1
		.amdhsa_ieee_mode 1
		.amdhsa_fp16_overflow 0
		.amdhsa_workgroup_processor_mode 1
		.amdhsa_memory_ordered 1
		.amdhsa_forward_progress 0
		.amdhsa_shared_vgpr_count 0
		.amdhsa_exception_fp_ieee_invalid_op 0
		.amdhsa_exception_fp_denorm_src 0
		.amdhsa_exception_fp_ieee_div_zero 0
		.amdhsa_exception_fp_ieee_overflow 0
		.amdhsa_exception_fp_ieee_underflow 0
		.amdhsa_exception_fp_ieee_inexact 0
		.amdhsa_exception_int_div_zero 0
	.end_amdhsa_kernel
	.section	.text._Z26warp_inclusive_scan_kernelI12hip_bfloat16Lj32ELj4EENSt9enable_ifIXsr10test_utilsE35device_test_enabled_for_warp_size_vIXT1_EEEvE4typeEPT_S5_,"axG",@progbits,_Z26warp_inclusive_scan_kernelI12hip_bfloat16Lj32ELj4EENSt9enable_ifIXsr10test_utilsE35device_test_enabled_for_warp_size_vIXT1_EEEvE4typeEPT_S5_,comdat
.Lfunc_end25:
	.size	_Z26warp_inclusive_scan_kernelI12hip_bfloat16Lj32ELj4EENSt9enable_ifIXsr10test_utilsE35device_test_enabled_for_warp_size_vIXT1_EEEvE4typeEPT_S5_, .Lfunc_end25-_Z26warp_inclusive_scan_kernelI12hip_bfloat16Lj32ELj4EENSt9enable_ifIXsr10test_utilsE35device_test_enabled_for_warp_size_vIXT1_EEEvE4typeEPT_S5_
                                        ; -- End function
	.section	.AMDGPU.csdata,"",@progbits
; Kernel info:
; codeLenInByte = 408
; NumSgprs: 18
; NumVgprs: 7
; ScratchSize: 0
; MemoryBound: 0
; FloatMode: 240
; IeeeMode: 1
; LDSByteSize: 0 bytes/workgroup (compile time only)
; SGPRBlocks: 2
; VGPRBlocks: 0
; NumSGPRsForWavesPerEU: 18
; NumVGPRsForWavesPerEU: 7
; Occupancy: 16
; WaveLimiterHint : 0
; COMPUTE_PGM_RSRC2:SCRATCH_EN: 0
; COMPUTE_PGM_RSRC2:USER_SGPR: 15
; COMPUTE_PGM_RSRC2:TRAP_HANDLER: 0
; COMPUTE_PGM_RSRC2:TGID_X_EN: 1
; COMPUTE_PGM_RSRC2:TGID_Y_EN: 0
; COMPUTE_PGM_RSRC2:TGID_Z_EN: 0
; COMPUTE_PGM_RSRC2:TIDIG_COMP_CNT: 0
	.section	.text._Z26warp_inclusive_scan_kernelI12hip_bfloat16Lj64ELj4EENSt9enable_ifIXsr10test_utilsE35device_test_enabled_for_warp_size_vIXT1_EEEvE4typeEPT_S5_,"axG",@progbits,_Z26warp_inclusive_scan_kernelI12hip_bfloat16Lj64ELj4EENSt9enable_ifIXsr10test_utilsE35device_test_enabled_for_warp_size_vIXT1_EEEvE4typeEPT_S5_,comdat
	.protected	_Z26warp_inclusive_scan_kernelI12hip_bfloat16Lj64ELj4EENSt9enable_ifIXsr10test_utilsE35device_test_enabled_for_warp_size_vIXT1_EEEvE4typeEPT_S5_ ; -- Begin function _Z26warp_inclusive_scan_kernelI12hip_bfloat16Lj64ELj4EENSt9enable_ifIXsr10test_utilsE35device_test_enabled_for_warp_size_vIXT1_EEEvE4typeEPT_S5_
	.globl	_Z26warp_inclusive_scan_kernelI12hip_bfloat16Lj64ELj4EENSt9enable_ifIXsr10test_utilsE35device_test_enabled_for_warp_size_vIXT1_EEEvE4typeEPT_S5_
	.p2align	8
	.type	_Z26warp_inclusive_scan_kernelI12hip_bfloat16Lj64ELj4EENSt9enable_ifIXsr10test_utilsE35device_test_enabled_for_warp_size_vIXT1_EEEvE4typeEPT_S5_,@function
_Z26warp_inclusive_scan_kernelI12hip_bfloat16Lj64ELj4EENSt9enable_ifIXsr10test_utilsE35device_test_enabled_for_warp_size_vIXT1_EEEvE4typeEPT_S5_: ; @_Z26warp_inclusive_scan_kernelI12hip_bfloat16Lj64ELj4EENSt9enable_ifIXsr10test_utilsE35device_test_enabled_for_warp_size_vIXT1_EEEvE4typeEPT_S5_
; %bb.0:
	s_clause 0x1
	s_load_b32 s4, s[0:1], 0x1c
	s_load_b128 s[0:3], s[0:1], 0x0
	s_waitcnt lgkmcnt(0)
	s_and_b32 s4, s4, 0xffff
	s_delay_alu instid0(SALU_CYCLE_1) | instskip(SKIP_1) | instid1(VALU_DEP_1)
	v_mad_u64_u32 v[1:2], null, s15, s4, v[0:1]
	v_mov_b32_e32 v2, 0
	v_lshlrev_b64 v[0:1], 1, v[1:2]
	s_delay_alu instid0(VALU_DEP_1) | instskip(NEXT) | instid1(VALU_DEP_2)
	v_add_co_u32 v2, vcc_lo, s0, v0
	v_add_co_ci_u32_e32 v3, vcc_lo, s1, v1, vcc_lo
	global_load_u16 v2, v[2:3], off
	s_waitcnt vmcnt(0)
	v_mov_b32_dpp v3, v2 row_shr:1 row_mask:0xf bank_mask:0xf
	v_lshlrev_b32_e32 v4, 16, v2
	s_delay_alu instid0(VALU_DEP_2) | instskip(NEXT) | instid1(VALU_DEP_1)
	v_lshlrev_b32_e32 v3, 16, v3
	v_add_f32_e32 v3, v4, v3
	s_delay_alu instid0(VALU_DEP_1) | instskip(NEXT) | instid1(VALU_DEP_1)
	v_and_b32_e32 v5, 0x7f800000, v3
	v_cmp_ne_u32_e32 vcc_lo, 0x7f800000, v5
                                        ; implicit-def: $vgpr5
	s_and_saveexec_b32 s0, vcc_lo
	s_delay_alu instid0(SALU_CYCLE_1)
	s_xor_b32 s0, exec_lo, s0
; %bb.1:
	v_bfe_u32 v5, v3, 16, 1
	s_delay_alu instid0(VALU_DEP_1)
	v_add3_u32 v5, v3, v5, 0x7fff
                                        ; implicit-def: $vgpr3
; %bb.2:
	s_and_not1_saveexec_b32 s0, s0
; %bb.3:
	v_and_b32_e32 v5, 0xffff, v3
	v_or_b32_e32 v6, 0x10000, v3
	s_delay_alu instid0(VALU_DEP_2) | instskip(NEXT) | instid1(VALU_DEP_2)
	v_cmp_eq_u32_e32 vcc_lo, 0, v5
	v_cndmask_b32_e32 v5, v6, v3, vcc_lo
; %bb.4:
	s_or_b32 exec_lo, exec_lo, s0
	v_mbcnt_lo_u32_b32 v3, -1, 0
	s_delay_alu instid0(VALU_DEP_2) | instskip(SKIP_1) | instid1(VALU_DEP_3)
	v_and_b32_e32 v6, 0xffff0000, v5
	v_lshrrev_b32_e32 v5, 16, v5
	v_and_b32_e32 v3, 3, v3
	s_delay_alu instid0(VALU_DEP_1) | instskip(NEXT) | instid1(VALU_DEP_4)
	v_cmp_eq_u32_e32 vcc_lo, 0, v3
	v_cndmask_b32_e32 v4, v6, v4, vcc_lo
	s_delay_alu instid0(VALU_DEP_4) | instskip(NEXT) | instid1(VALU_DEP_1)
	v_cndmask_b32_e32 v2, v5, v2, vcc_lo
	v_mov_b32_dpp v5, v2 row_shr:2 row_mask:0xf bank_mask:0xf
	s_delay_alu instid0(VALU_DEP_1) | instskip(NEXT) | instid1(VALU_DEP_1)
	v_lshlrev_b32_e32 v5, 16, v5
	v_add_f32_e32 v4, v4, v5
	s_delay_alu instid0(VALU_DEP_1) | instskip(NEXT) | instid1(VALU_DEP_1)
	v_and_b32_e32 v5, 0x7f800000, v4
	v_cmp_ne_u32_e32 vcc_lo, 0x7f800000, v5
                                        ; implicit-def: $vgpr5
	s_and_saveexec_b32 s0, vcc_lo
	s_delay_alu instid0(SALU_CYCLE_1)
	s_xor_b32 s0, exec_lo, s0
; %bb.5:
	v_bfe_u32 v5, v4, 16, 1
	s_delay_alu instid0(VALU_DEP_1)
	v_add3_u32 v5, v4, v5, 0x7fff
                                        ; implicit-def: $vgpr4
; %bb.6:
	s_and_not1_saveexec_b32 s0, s0
; %bb.7:
	v_and_b32_e32 v5, 0xffff, v4
	v_or_b32_e32 v6, 0x10000, v4
	s_delay_alu instid0(VALU_DEP_2) | instskip(NEXT) | instid1(VALU_DEP_2)
	v_cmp_eq_u32_e32 vcc_lo, 0, v5
	v_cndmask_b32_e32 v5, v6, v4, vcc_lo
; %bb.8:
	s_or_b32 exec_lo, exec_lo, s0
	s_delay_alu instid0(VALU_DEP_1) | instskip(SKIP_1) | instid1(VALU_DEP_2)
	v_lshrrev_b32_e32 v4, 16, v5
	v_cmp_lt_u32_e32 vcc_lo, 1, v3
	v_cndmask_b32_e32 v2, v2, v4, vcc_lo
	v_add_co_u32 v0, vcc_lo, s2, v0
	v_add_co_ci_u32_e32 v1, vcc_lo, s3, v1, vcc_lo
	global_store_b16 v[0:1], v2, off
	s_nop 0
	s_sendmsg sendmsg(MSG_DEALLOC_VGPRS)
	s_endpgm
	.section	.rodata,"a",@progbits
	.p2align	6, 0x0
	.amdhsa_kernel _Z26warp_inclusive_scan_kernelI12hip_bfloat16Lj64ELj4EENSt9enable_ifIXsr10test_utilsE35device_test_enabled_for_warp_size_vIXT1_EEEvE4typeEPT_S5_
		.amdhsa_group_segment_fixed_size 0
		.amdhsa_private_segment_fixed_size 0
		.amdhsa_kernarg_size 272
		.amdhsa_user_sgpr_count 15
		.amdhsa_user_sgpr_dispatch_ptr 0
		.amdhsa_user_sgpr_queue_ptr 0
		.amdhsa_user_sgpr_kernarg_segment_ptr 1
		.amdhsa_user_sgpr_dispatch_id 0
		.amdhsa_user_sgpr_private_segment_size 0
		.amdhsa_wavefront_size32 1
		.amdhsa_uses_dynamic_stack 0
		.amdhsa_enable_private_segment 0
		.amdhsa_system_sgpr_workgroup_id_x 1
		.amdhsa_system_sgpr_workgroup_id_y 0
		.amdhsa_system_sgpr_workgroup_id_z 0
		.amdhsa_system_sgpr_workgroup_info 0
		.amdhsa_system_vgpr_workitem_id 0
		.amdhsa_next_free_vgpr 7
		.amdhsa_next_free_sgpr 16
		.amdhsa_reserve_vcc 1
		.amdhsa_float_round_mode_32 0
		.amdhsa_float_round_mode_16_64 0
		.amdhsa_float_denorm_mode_32 3
		.amdhsa_float_denorm_mode_16_64 3
		.amdhsa_dx10_clamp 1
		.amdhsa_ieee_mode 1
		.amdhsa_fp16_overflow 0
		.amdhsa_workgroup_processor_mode 1
		.amdhsa_memory_ordered 1
		.amdhsa_forward_progress 0
		.amdhsa_shared_vgpr_count 0
		.amdhsa_exception_fp_ieee_invalid_op 0
		.amdhsa_exception_fp_denorm_src 0
		.amdhsa_exception_fp_ieee_div_zero 0
		.amdhsa_exception_fp_ieee_overflow 0
		.amdhsa_exception_fp_ieee_underflow 0
		.amdhsa_exception_fp_ieee_inexact 0
		.amdhsa_exception_int_div_zero 0
	.end_amdhsa_kernel
	.section	.text._Z26warp_inclusive_scan_kernelI12hip_bfloat16Lj64ELj4EENSt9enable_ifIXsr10test_utilsE35device_test_enabled_for_warp_size_vIXT1_EEEvE4typeEPT_S5_,"axG",@progbits,_Z26warp_inclusive_scan_kernelI12hip_bfloat16Lj64ELj4EENSt9enable_ifIXsr10test_utilsE35device_test_enabled_for_warp_size_vIXT1_EEEvE4typeEPT_S5_,comdat
.Lfunc_end26:
	.size	_Z26warp_inclusive_scan_kernelI12hip_bfloat16Lj64ELj4EENSt9enable_ifIXsr10test_utilsE35device_test_enabled_for_warp_size_vIXT1_EEEvE4typeEPT_S5_, .Lfunc_end26-_Z26warp_inclusive_scan_kernelI12hip_bfloat16Lj64ELj4EENSt9enable_ifIXsr10test_utilsE35device_test_enabled_for_warp_size_vIXT1_EEEvE4typeEPT_S5_
                                        ; -- End function
	.section	.AMDGPU.csdata,"",@progbits
; Kernel info:
; codeLenInByte = 408
; NumSgprs: 18
; NumVgprs: 7
; ScratchSize: 0
; MemoryBound: 0
; FloatMode: 240
; IeeeMode: 1
; LDSByteSize: 0 bytes/workgroup (compile time only)
; SGPRBlocks: 2
; VGPRBlocks: 0
; NumSGPRsForWavesPerEU: 18
; NumVGPRsForWavesPerEU: 7
; Occupancy: 16
; WaveLimiterHint : 0
; COMPUTE_PGM_RSRC2:SCRATCH_EN: 0
; COMPUTE_PGM_RSRC2:USER_SGPR: 15
; COMPUTE_PGM_RSRC2:TRAP_HANDLER: 0
; COMPUTE_PGM_RSRC2:TGID_X_EN: 1
; COMPUTE_PGM_RSRC2:TGID_Y_EN: 0
; COMPUTE_PGM_RSRC2:TGID_Z_EN: 0
; COMPUTE_PGM_RSRC2:TIDIG_COMP_CNT: 0
	.section	.text._Z26warp_inclusive_scan_kernelI12hip_bfloat16Lj32ELj2EENSt9enable_ifIXsr10test_utilsE35device_test_enabled_for_warp_size_vIXT1_EEEvE4typeEPT_S5_,"axG",@progbits,_Z26warp_inclusive_scan_kernelI12hip_bfloat16Lj32ELj2EENSt9enable_ifIXsr10test_utilsE35device_test_enabled_for_warp_size_vIXT1_EEEvE4typeEPT_S5_,comdat
	.protected	_Z26warp_inclusive_scan_kernelI12hip_bfloat16Lj32ELj2EENSt9enable_ifIXsr10test_utilsE35device_test_enabled_for_warp_size_vIXT1_EEEvE4typeEPT_S5_ ; -- Begin function _Z26warp_inclusive_scan_kernelI12hip_bfloat16Lj32ELj2EENSt9enable_ifIXsr10test_utilsE35device_test_enabled_for_warp_size_vIXT1_EEEvE4typeEPT_S5_
	.globl	_Z26warp_inclusive_scan_kernelI12hip_bfloat16Lj32ELj2EENSt9enable_ifIXsr10test_utilsE35device_test_enabled_for_warp_size_vIXT1_EEEvE4typeEPT_S5_
	.p2align	8
	.type	_Z26warp_inclusive_scan_kernelI12hip_bfloat16Lj32ELj2EENSt9enable_ifIXsr10test_utilsE35device_test_enabled_for_warp_size_vIXT1_EEEvE4typeEPT_S5_,@function
_Z26warp_inclusive_scan_kernelI12hip_bfloat16Lj32ELj2EENSt9enable_ifIXsr10test_utilsE35device_test_enabled_for_warp_size_vIXT1_EEEvE4typeEPT_S5_: ; @_Z26warp_inclusive_scan_kernelI12hip_bfloat16Lj32ELj2EENSt9enable_ifIXsr10test_utilsE35device_test_enabled_for_warp_size_vIXT1_EEEvE4typeEPT_S5_
; %bb.0:
	s_clause 0x1
	s_load_b32 s4, s[0:1], 0x1c
	s_load_b128 s[0:3], s[0:1], 0x0
	s_waitcnt lgkmcnt(0)
	s_and_b32 s4, s4, 0xffff
	s_delay_alu instid0(SALU_CYCLE_1) | instskip(SKIP_1) | instid1(VALU_DEP_1)
	v_mad_u64_u32 v[1:2], null, s15, s4, v[0:1]
	v_mov_b32_e32 v2, 0
	v_lshlrev_b64 v[0:1], 1, v[1:2]
	s_delay_alu instid0(VALU_DEP_1) | instskip(NEXT) | instid1(VALU_DEP_2)
	v_add_co_u32 v2, vcc_lo, s0, v0
	v_add_co_ci_u32_e32 v3, vcc_lo, s1, v1, vcc_lo
	global_load_u16 v2, v[2:3], off
	s_waitcnt vmcnt(0)
	v_and_b32_e32 v3, 0xffff, v2
	v_lshlrev_b32_e32 v4, 16, v2
	s_delay_alu instid0(VALU_DEP_2) | instskip(NEXT) | instid1(VALU_DEP_1)
	v_mov_b32_dpp v3, v3 row_shr:1 row_mask:0xf bank_mask:0xf
	v_lshlrev_b32_e32 v3, 16, v3
	s_delay_alu instid0(VALU_DEP_1) | instskip(NEXT) | instid1(VALU_DEP_1)
	v_add_f32_e32 v3, v4, v3
	v_and_b32_e32 v4, 0x7f800000, v3
	s_delay_alu instid0(VALU_DEP_1) | instskip(SKIP_1) | instid1(SALU_CYCLE_1)
	v_cmp_ne_u32_e32 vcc_lo, 0x7f800000, v4
                                        ; implicit-def: $vgpr4
	s_and_saveexec_b32 s0, vcc_lo
	s_xor_b32 s0, exec_lo, s0
; %bb.1:
	v_bfe_u32 v4, v3, 16, 1
	s_delay_alu instid0(VALU_DEP_1)
	v_add3_u32 v4, v3, v4, 0x7fff
                                        ; implicit-def: $vgpr3
; %bb.2:
	s_and_not1_saveexec_b32 s0, s0
; %bb.3:
	v_and_b32_e32 v4, 0xffff, v3
	v_or_b32_e32 v5, 0x10000, v3
	s_delay_alu instid0(VALU_DEP_2) | instskip(NEXT) | instid1(VALU_DEP_2)
	v_cmp_eq_u32_e32 vcc_lo, 0, v4
	v_cndmask_b32_e32 v4, v5, v3, vcc_lo
; %bb.4:
	s_or_b32 exec_lo, exec_lo, s0
	v_mbcnt_lo_u32_b32 v3, -1, 0
	s_delay_alu instid0(VALU_DEP_2) | instskip(NEXT) | instid1(VALU_DEP_2)
	v_lshrrev_b32_e32 v4, 16, v4
	v_and_b32_e32 v3, 1, v3
	s_delay_alu instid0(VALU_DEP_1) | instskip(NEXT) | instid1(VALU_DEP_3)
	v_cmp_eq_u32_e32 vcc_lo, 0, v3
	v_cndmask_b32_e32 v2, v4, v2, vcc_lo
	v_add_co_u32 v0, vcc_lo, s2, v0
	v_add_co_ci_u32_e32 v1, vcc_lo, s3, v1, vcc_lo
	global_store_b16 v[0:1], v2, off
	s_nop 0
	s_sendmsg sendmsg(MSG_DEALLOC_VGPRS)
	s_endpgm
	.section	.rodata,"a",@progbits
	.p2align	6, 0x0
	.amdhsa_kernel _Z26warp_inclusive_scan_kernelI12hip_bfloat16Lj32ELj2EENSt9enable_ifIXsr10test_utilsE35device_test_enabled_for_warp_size_vIXT1_EEEvE4typeEPT_S5_
		.amdhsa_group_segment_fixed_size 0
		.amdhsa_private_segment_fixed_size 0
		.amdhsa_kernarg_size 272
		.amdhsa_user_sgpr_count 15
		.amdhsa_user_sgpr_dispatch_ptr 0
		.amdhsa_user_sgpr_queue_ptr 0
		.amdhsa_user_sgpr_kernarg_segment_ptr 1
		.amdhsa_user_sgpr_dispatch_id 0
		.amdhsa_user_sgpr_private_segment_size 0
		.amdhsa_wavefront_size32 1
		.amdhsa_uses_dynamic_stack 0
		.amdhsa_enable_private_segment 0
		.amdhsa_system_sgpr_workgroup_id_x 1
		.amdhsa_system_sgpr_workgroup_id_y 0
		.amdhsa_system_sgpr_workgroup_id_z 0
		.amdhsa_system_sgpr_workgroup_info 0
		.amdhsa_system_vgpr_workitem_id 0
		.amdhsa_next_free_vgpr 6
		.amdhsa_next_free_sgpr 16
		.amdhsa_reserve_vcc 1
		.amdhsa_float_round_mode_32 0
		.amdhsa_float_round_mode_16_64 0
		.amdhsa_float_denorm_mode_32 3
		.amdhsa_float_denorm_mode_16_64 3
		.amdhsa_dx10_clamp 1
		.amdhsa_ieee_mode 1
		.amdhsa_fp16_overflow 0
		.amdhsa_workgroup_processor_mode 1
		.amdhsa_memory_ordered 1
		.amdhsa_forward_progress 0
		.amdhsa_shared_vgpr_count 0
		.amdhsa_exception_fp_ieee_invalid_op 0
		.amdhsa_exception_fp_denorm_src 0
		.amdhsa_exception_fp_ieee_div_zero 0
		.amdhsa_exception_fp_ieee_overflow 0
		.amdhsa_exception_fp_ieee_underflow 0
		.amdhsa_exception_fp_ieee_inexact 0
		.amdhsa_exception_int_div_zero 0
	.end_amdhsa_kernel
	.section	.text._Z26warp_inclusive_scan_kernelI12hip_bfloat16Lj32ELj2EENSt9enable_ifIXsr10test_utilsE35device_test_enabled_for_warp_size_vIXT1_EEEvE4typeEPT_S5_,"axG",@progbits,_Z26warp_inclusive_scan_kernelI12hip_bfloat16Lj32ELj2EENSt9enable_ifIXsr10test_utilsE35device_test_enabled_for_warp_size_vIXT1_EEEvE4typeEPT_S5_,comdat
.Lfunc_end27:
	.size	_Z26warp_inclusive_scan_kernelI12hip_bfloat16Lj32ELj2EENSt9enable_ifIXsr10test_utilsE35device_test_enabled_for_warp_size_vIXT1_EEEvE4typeEPT_S5_, .Lfunc_end27-_Z26warp_inclusive_scan_kernelI12hip_bfloat16Lj32ELj2EENSt9enable_ifIXsr10test_utilsE35device_test_enabled_for_warp_size_vIXT1_EEEvE4typeEPT_S5_
                                        ; -- End function
	.section	.AMDGPU.csdata,"",@progbits
; Kernel info:
; codeLenInByte = 272
; NumSgprs: 18
; NumVgprs: 6
; ScratchSize: 0
; MemoryBound: 0
; FloatMode: 240
; IeeeMode: 1
; LDSByteSize: 0 bytes/workgroup (compile time only)
; SGPRBlocks: 2
; VGPRBlocks: 0
; NumSGPRsForWavesPerEU: 18
; NumVGPRsForWavesPerEU: 6
; Occupancy: 16
; WaveLimiterHint : 0
; COMPUTE_PGM_RSRC2:SCRATCH_EN: 0
; COMPUTE_PGM_RSRC2:USER_SGPR: 15
; COMPUTE_PGM_RSRC2:TRAP_HANDLER: 0
; COMPUTE_PGM_RSRC2:TGID_X_EN: 1
; COMPUTE_PGM_RSRC2:TGID_Y_EN: 0
; COMPUTE_PGM_RSRC2:TGID_Z_EN: 0
; COMPUTE_PGM_RSRC2:TIDIG_COMP_CNT: 0
	.section	.text._Z26warp_inclusive_scan_kernelI12hip_bfloat16Lj64ELj2EENSt9enable_ifIXsr10test_utilsE35device_test_enabled_for_warp_size_vIXT1_EEEvE4typeEPT_S5_,"axG",@progbits,_Z26warp_inclusive_scan_kernelI12hip_bfloat16Lj64ELj2EENSt9enable_ifIXsr10test_utilsE35device_test_enabled_for_warp_size_vIXT1_EEEvE4typeEPT_S5_,comdat
	.protected	_Z26warp_inclusive_scan_kernelI12hip_bfloat16Lj64ELj2EENSt9enable_ifIXsr10test_utilsE35device_test_enabled_for_warp_size_vIXT1_EEEvE4typeEPT_S5_ ; -- Begin function _Z26warp_inclusive_scan_kernelI12hip_bfloat16Lj64ELj2EENSt9enable_ifIXsr10test_utilsE35device_test_enabled_for_warp_size_vIXT1_EEEvE4typeEPT_S5_
	.globl	_Z26warp_inclusive_scan_kernelI12hip_bfloat16Lj64ELj2EENSt9enable_ifIXsr10test_utilsE35device_test_enabled_for_warp_size_vIXT1_EEEvE4typeEPT_S5_
	.p2align	8
	.type	_Z26warp_inclusive_scan_kernelI12hip_bfloat16Lj64ELj2EENSt9enable_ifIXsr10test_utilsE35device_test_enabled_for_warp_size_vIXT1_EEEvE4typeEPT_S5_,@function
_Z26warp_inclusive_scan_kernelI12hip_bfloat16Lj64ELj2EENSt9enable_ifIXsr10test_utilsE35device_test_enabled_for_warp_size_vIXT1_EEEvE4typeEPT_S5_: ; @_Z26warp_inclusive_scan_kernelI12hip_bfloat16Lj64ELj2EENSt9enable_ifIXsr10test_utilsE35device_test_enabled_for_warp_size_vIXT1_EEEvE4typeEPT_S5_
; %bb.0:
	s_clause 0x1
	s_load_b32 s4, s[0:1], 0x1c
	s_load_b128 s[0:3], s[0:1], 0x0
	s_waitcnt lgkmcnt(0)
	s_and_b32 s4, s4, 0xffff
	s_delay_alu instid0(SALU_CYCLE_1) | instskip(SKIP_1) | instid1(VALU_DEP_1)
	v_mad_u64_u32 v[1:2], null, s15, s4, v[0:1]
	v_mov_b32_e32 v2, 0
	v_lshlrev_b64 v[0:1], 1, v[1:2]
	s_delay_alu instid0(VALU_DEP_1) | instskip(NEXT) | instid1(VALU_DEP_2)
	v_add_co_u32 v2, vcc_lo, s0, v0
	v_add_co_ci_u32_e32 v3, vcc_lo, s1, v1, vcc_lo
	global_load_u16 v2, v[2:3], off
	s_waitcnt vmcnt(0)
	v_and_b32_e32 v3, 0xffff, v2
	v_lshlrev_b32_e32 v4, 16, v2
	s_delay_alu instid0(VALU_DEP_2) | instskip(NEXT) | instid1(VALU_DEP_1)
	v_mov_b32_dpp v3, v3 row_shr:1 row_mask:0xf bank_mask:0xf
	v_lshlrev_b32_e32 v3, 16, v3
	s_delay_alu instid0(VALU_DEP_1) | instskip(NEXT) | instid1(VALU_DEP_1)
	v_add_f32_e32 v3, v4, v3
	v_and_b32_e32 v4, 0x7f800000, v3
	s_delay_alu instid0(VALU_DEP_1) | instskip(SKIP_1) | instid1(SALU_CYCLE_1)
	v_cmp_ne_u32_e32 vcc_lo, 0x7f800000, v4
                                        ; implicit-def: $vgpr4
	s_and_saveexec_b32 s0, vcc_lo
	s_xor_b32 s0, exec_lo, s0
; %bb.1:
	v_bfe_u32 v4, v3, 16, 1
	s_delay_alu instid0(VALU_DEP_1)
	v_add3_u32 v4, v3, v4, 0x7fff
                                        ; implicit-def: $vgpr3
; %bb.2:
	s_and_not1_saveexec_b32 s0, s0
; %bb.3:
	v_and_b32_e32 v4, 0xffff, v3
	v_or_b32_e32 v5, 0x10000, v3
	s_delay_alu instid0(VALU_DEP_2) | instskip(NEXT) | instid1(VALU_DEP_2)
	v_cmp_eq_u32_e32 vcc_lo, 0, v4
	v_cndmask_b32_e32 v4, v5, v3, vcc_lo
; %bb.4:
	s_or_b32 exec_lo, exec_lo, s0
	v_mbcnt_lo_u32_b32 v3, -1, 0
	s_delay_alu instid0(VALU_DEP_2) | instskip(NEXT) | instid1(VALU_DEP_2)
	v_lshrrev_b32_e32 v4, 16, v4
	v_and_b32_e32 v3, 1, v3
	s_delay_alu instid0(VALU_DEP_1) | instskip(NEXT) | instid1(VALU_DEP_3)
	v_cmp_eq_u32_e32 vcc_lo, 0, v3
	v_cndmask_b32_e32 v2, v4, v2, vcc_lo
	v_add_co_u32 v0, vcc_lo, s2, v0
	v_add_co_ci_u32_e32 v1, vcc_lo, s3, v1, vcc_lo
	global_store_b16 v[0:1], v2, off
	s_nop 0
	s_sendmsg sendmsg(MSG_DEALLOC_VGPRS)
	s_endpgm
	.section	.rodata,"a",@progbits
	.p2align	6, 0x0
	.amdhsa_kernel _Z26warp_inclusive_scan_kernelI12hip_bfloat16Lj64ELj2EENSt9enable_ifIXsr10test_utilsE35device_test_enabled_for_warp_size_vIXT1_EEEvE4typeEPT_S5_
		.amdhsa_group_segment_fixed_size 0
		.amdhsa_private_segment_fixed_size 0
		.amdhsa_kernarg_size 272
		.amdhsa_user_sgpr_count 15
		.amdhsa_user_sgpr_dispatch_ptr 0
		.amdhsa_user_sgpr_queue_ptr 0
		.amdhsa_user_sgpr_kernarg_segment_ptr 1
		.amdhsa_user_sgpr_dispatch_id 0
		.amdhsa_user_sgpr_private_segment_size 0
		.amdhsa_wavefront_size32 1
		.amdhsa_uses_dynamic_stack 0
		.amdhsa_enable_private_segment 0
		.amdhsa_system_sgpr_workgroup_id_x 1
		.amdhsa_system_sgpr_workgroup_id_y 0
		.amdhsa_system_sgpr_workgroup_id_z 0
		.amdhsa_system_sgpr_workgroup_info 0
		.amdhsa_system_vgpr_workitem_id 0
		.amdhsa_next_free_vgpr 6
		.amdhsa_next_free_sgpr 16
		.amdhsa_reserve_vcc 1
		.amdhsa_float_round_mode_32 0
		.amdhsa_float_round_mode_16_64 0
		.amdhsa_float_denorm_mode_32 3
		.amdhsa_float_denorm_mode_16_64 3
		.amdhsa_dx10_clamp 1
		.amdhsa_ieee_mode 1
		.amdhsa_fp16_overflow 0
		.amdhsa_workgroup_processor_mode 1
		.amdhsa_memory_ordered 1
		.amdhsa_forward_progress 0
		.amdhsa_shared_vgpr_count 0
		.amdhsa_exception_fp_ieee_invalid_op 0
		.amdhsa_exception_fp_denorm_src 0
		.amdhsa_exception_fp_ieee_div_zero 0
		.amdhsa_exception_fp_ieee_overflow 0
		.amdhsa_exception_fp_ieee_underflow 0
		.amdhsa_exception_fp_ieee_inexact 0
		.amdhsa_exception_int_div_zero 0
	.end_amdhsa_kernel
	.section	.text._Z26warp_inclusive_scan_kernelI12hip_bfloat16Lj64ELj2EENSt9enable_ifIXsr10test_utilsE35device_test_enabled_for_warp_size_vIXT1_EEEvE4typeEPT_S5_,"axG",@progbits,_Z26warp_inclusive_scan_kernelI12hip_bfloat16Lj64ELj2EENSt9enable_ifIXsr10test_utilsE35device_test_enabled_for_warp_size_vIXT1_EEEvE4typeEPT_S5_,comdat
.Lfunc_end28:
	.size	_Z26warp_inclusive_scan_kernelI12hip_bfloat16Lj64ELj2EENSt9enable_ifIXsr10test_utilsE35device_test_enabled_for_warp_size_vIXT1_EEEvE4typeEPT_S5_, .Lfunc_end28-_Z26warp_inclusive_scan_kernelI12hip_bfloat16Lj64ELj2EENSt9enable_ifIXsr10test_utilsE35device_test_enabled_for_warp_size_vIXT1_EEEvE4typeEPT_S5_
                                        ; -- End function
	.section	.AMDGPU.csdata,"",@progbits
; Kernel info:
; codeLenInByte = 272
; NumSgprs: 18
; NumVgprs: 6
; ScratchSize: 0
; MemoryBound: 0
; FloatMode: 240
; IeeeMode: 1
; LDSByteSize: 0 bytes/workgroup (compile time only)
; SGPRBlocks: 2
; VGPRBlocks: 0
; NumSGPRsForWavesPerEU: 18
; NumVGPRsForWavesPerEU: 6
; Occupancy: 16
; WaveLimiterHint : 0
; COMPUTE_PGM_RSRC2:SCRATCH_EN: 0
; COMPUTE_PGM_RSRC2:USER_SGPR: 15
; COMPUTE_PGM_RSRC2:TRAP_HANDLER: 0
; COMPUTE_PGM_RSRC2:TGID_X_EN: 1
; COMPUTE_PGM_RSRC2:TGID_Y_EN: 0
; COMPUTE_PGM_RSRC2:TGID_Z_EN: 0
; COMPUTE_PGM_RSRC2:TIDIG_COMP_CNT: 0
	.section	.text._Z26warp_inclusive_scan_kernelI6__halfLj256ELj64EENSt9enable_ifIXntsr10test_utilsE35device_test_enabled_for_warp_size_vIXT1_EEEvE4typeEPT_S5_,"axG",@progbits,_Z26warp_inclusive_scan_kernelI6__halfLj256ELj64EENSt9enable_ifIXntsr10test_utilsE35device_test_enabled_for_warp_size_vIXT1_EEEvE4typeEPT_S5_,comdat
	.protected	_Z26warp_inclusive_scan_kernelI6__halfLj256ELj64EENSt9enable_ifIXntsr10test_utilsE35device_test_enabled_for_warp_size_vIXT1_EEEvE4typeEPT_S5_ ; -- Begin function _Z26warp_inclusive_scan_kernelI6__halfLj256ELj64EENSt9enable_ifIXntsr10test_utilsE35device_test_enabled_for_warp_size_vIXT1_EEEvE4typeEPT_S5_
	.globl	_Z26warp_inclusive_scan_kernelI6__halfLj256ELj64EENSt9enable_ifIXntsr10test_utilsE35device_test_enabled_for_warp_size_vIXT1_EEEvE4typeEPT_S5_
	.p2align	8
	.type	_Z26warp_inclusive_scan_kernelI6__halfLj256ELj64EENSt9enable_ifIXntsr10test_utilsE35device_test_enabled_for_warp_size_vIXT1_EEEvE4typeEPT_S5_,@function
_Z26warp_inclusive_scan_kernelI6__halfLj256ELj64EENSt9enable_ifIXntsr10test_utilsE35device_test_enabled_for_warp_size_vIXT1_EEEvE4typeEPT_S5_: ; @_Z26warp_inclusive_scan_kernelI6__halfLj256ELj64EENSt9enable_ifIXntsr10test_utilsE35device_test_enabled_for_warp_size_vIXT1_EEEvE4typeEPT_S5_
; %bb.0:
	s_endpgm
	.section	.rodata,"a",@progbits
	.p2align	6, 0x0
	.amdhsa_kernel _Z26warp_inclusive_scan_kernelI6__halfLj256ELj64EENSt9enable_ifIXntsr10test_utilsE35device_test_enabled_for_warp_size_vIXT1_EEEvE4typeEPT_S5_
		.amdhsa_group_segment_fixed_size 0
		.amdhsa_private_segment_fixed_size 0
		.amdhsa_kernarg_size 16
		.amdhsa_user_sgpr_count 15
		.amdhsa_user_sgpr_dispatch_ptr 0
		.amdhsa_user_sgpr_queue_ptr 0
		.amdhsa_user_sgpr_kernarg_segment_ptr 1
		.amdhsa_user_sgpr_dispatch_id 0
		.amdhsa_user_sgpr_private_segment_size 0
		.amdhsa_wavefront_size32 1
		.amdhsa_uses_dynamic_stack 0
		.amdhsa_enable_private_segment 0
		.amdhsa_system_sgpr_workgroup_id_x 1
		.amdhsa_system_sgpr_workgroup_id_y 0
		.amdhsa_system_sgpr_workgroup_id_z 0
		.amdhsa_system_sgpr_workgroup_info 0
		.amdhsa_system_vgpr_workitem_id 0
		.amdhsa_next_free_vgpr 1
		.amdhsa_next_free_sgpr 1
		.amdhsa_reserve_vcc 0
		.amdhsa_float_round_mode_32 0
		.amdhsa_float_round_mode_16_64 0
		.amdhsa_float_denorm_mode_32 3
		.amdhsa_float_denorm_mode_16_64 3
		.amdhsa_dx10_clamp 1
		.amdhsa_ieee_mode 1
		.amdhsa_fp16_overflow 0
		.amdhsa_workgroup_processor_mode 1
		.amdhsa_memory_ordered 1
		.amdhsa_forward_progress 0
		.amdhsa_shared_vgpr_count 0
		.amdhsa_exception_fp_ieee_invalid_op 0
		.amdhsa_exception_fp_denorm_src 0
		.amdhsa_exception_fp_ieee_div_zero 0
		.amdhsa_exception_fp_ieee_overflow 0
		.amdhsa_exception_fp_ieee_underflow 0
		.amdhsa_exception_fp_ieee_inexact 0
		.amdhsa_exception_int_div_zero 0
	.end_amdhsa_kernel
	.section	.text._Z26warp_inclusive_scan_kernelI6__halfLj256ELj64EENSt9enable_ifIXntsr10test_utilsE35device_test_enabled_for_warp_size_vIXT1_EEEvE4typeEPT_S5_,"axG",@progbits,_Z26warp_inclusive_scan_kernelI6__halfLj256ELj64EENSt9enable_ifIXntsr10test_utilsE35device_test_enabled_for_warp_size_vIXT1_EEEvE4typeEPT_S5_,comdat
.Lfunc_end29:
	.size	_Z26warp_inclusive_scan_kernelI6__halfLj256ELj64EENSt9enable_ifIXntsr10test_utilsE35device_test_enabled_for_warp_size_vIXT1_EEEvE4typeEPT_S5_, .Lfunc_end29-_Z26warp_inclusive_scan_kernelI6__halfLj256ELj64EENSt9enable_ifIXntsr10test_utilsE35device_test_enabled_for_warp_size_vIXT1_EEEvE4typeEPT_S5_
                                        ; -- End function
	.section	.AMDGPU.csdata,"",@progbits
; Kernel info:
; codeLenInByte = 4
; NumSgprs: 0
; NumVgprs: 0
; ScratchSize: 0
; MemoryBound: 0
; FloatMode: 240
; IeeeMode: 1
; LDSByteSize: 0 bytes/workgroup (compile time only)
; SGPRBlocks: 0
; VGPRBlocks: 0
; NumSGPRsForWavesPerEU: 1
; NumVGPRsForWavesPerEU: 1
; Occupancy: 16
; WaveLimiterHint : 0
; COMPUTE_PGM_RSRC2:SCRATCH_EN: 0
; COMPUTE_PGM_RSRC2:USER_SGPR: 15
; COMPUTE_PGM_RSRC2:TRAP_HANDLER: 0
; COMPUTE_PGM_RSRC2:TGID_X_EN: 1
; COMPUTE_PGM_RSRC2:TGID_Y_EN: 0
; COMPUTE_PGM_RSRC2:TGID_Z_EN: 0
; COMPUTE_PGM_RSRC2:TIDIG_COMP_CNT: 0
	.section	.text._Z26warp_inclusive_scan_kernelI6__halfLj128ELj32EENSt9enable_ifIXsr10test_utilsE35device_test_enabled_for_warp_size_vIXT1_EEEvE4typeEPT_S5_,"axG",@progbits,_Z26warp_inclusive_scan_kernelI6__halfLj128ELj32EENSt9enable_ifIXsr10test_utilsE35device_test_enabled_for_warp_size_vIXT1_EEEvE4typeEPT_S5_,comdat
	.protected	_Z26warp_inclusive_scan_kernelI6__halfLj128ELj32EENSt9enable_ifIXsr10test_utilsE35device_test_enabled_for_warp_size_vIXT1_EEEvE4typeEPT_S5_ ; -- Begin function _Z26warp_inclusive_scan_kernelI6__halfLj128ELj32EENSt9enable_ifIXsr10test_utilsE35device_test_enabled_for_warp_size_vIXT1_EEEvE4typeEPT_S5_
	.globl	_Z26warp_inclusive_scan_kernelI6__halfLj128ELj32EENSt9enable_ifIXsr10test_utilsE35device_test_enabled_for_warp_size_vIXT1_EEEvE4typeEPT_S5_
	.p2align	8
	.type	_Z26warp_inclusive_scan_kernelI6__halfLj128ELj32EENSt9enable_ifIXsr10test_utilsE35device_test_enabled_for_warp_size_vIXT1_EEEvE4typeEPT_S5_,@function
_Z26warp_inclusive_scan_kernelI6__halfLj128ELj32EENSt9enable_ifIXsr10test_utilsE35device_test_enabled_for_warp_size_vIXT1_EEEvE4typeEPT_S5_: ; @_Z26warp_inclusive_scan_kernelI6__halfLj128ELj32EENSt9enable_ifIXsr10test_utilsE35device_test_enabled_for_warp_size_vIXT1_EEEvE4typeEPT_S5_
; %bb.0:
	s_clause 0x1
	s_load_b32 s4, s[0:1], 0x1c
	s_load_b128 s[0:3], s[0:1], 0x0
	v_mbcnt_lo_u32_b32 v4, -1, 0
	s_delay_alu instid0(VALU_DEP_1) | instskip(SKIP_3) | instid1(SALU_CYCLE_1)
	v_and_b32_e32 v5, 15, v4
	v_and_b32_e32 v4, 16, v4
	s_waitcnt lgkmcnt(0)
	s_and_b32 s4, s4, 0xffff
	v_mad_u64_u32 v[1:2], null, s15, s4, v[0:1]
	v_mov_b32_e32 v2, 0
	s_delay_alu instid0(VALU_DEP_1) | instskip(NEXT) | instid1(VALU_DEP_1)
	v_lshlrev_b64 v[0:1], 1, v[1:2]
	v_add_co_u32 v2, vcc_lo, s0, v0
	s_delay_alu instid0(VALU_DEP_2) | instskip(SKIP_4) | instid1(VALU_DEP_1)
	v_add_co_ci_u32_e32 v3, vcc_lo, s1, v1, vcc_lo
	v_cmp_eq_u32_e32 vcc_lo, 0, v5
	global_load_u16 v2, v[2:3], off
	s_waitcnt vmcnt(0)
	v_and_b32_e32 v3, 0xffff, v2
	v_mov_b32_dpp v3, v3 row_shr:1 row_mask:0xf bank_mask:0xf
	s_delay_alu instid0(VALU_DEP_1) | instskip(NEXT) | instid1(VALU_DEP_1)
	v_add_f16_e32 v3, v2, v3
	v_cndmask_b32_e32 v2, v3, v2, vcc_lo
	v_cmp_lt_u32_e32 vcc_lo, 1, v5
	s_delay_alu instid0(VALU_DEP_2) | instskip(NEXT) | instid1(VALU_DEP_1)
	v_and_b32_e32 v3, 0xffff, v2
	v_mov_b32_dpp v3, v3 row_shr:2 row_mask:0xf bank_mask:0xf
	s_delay_alu instid0(VALU_DEP_1) | instskip(NEXT) | instid1(VALU_DEP_1)
	v_add_f16_e32 v3, v2, v3
	v_cndmask_b32_e32 v2, v2, v3, vcc_lo
	v_cmp_lt_u32_e32 vcc_lo, 3, v5
	s_delay_alu instid0(VALU_DEP_2) | instskip(NEXT) | instid1(VALU_DEP_1)
	;; [unrolled: 7-line block ×3, first 2 shown]
	v_and_b32_e32 v3, 0xffff, v2
	v_mov_b32_dpp v3, v3 row_shr:8 row_mask:0xf bank_mask:0xf
	s_delay_alu instid0(VALU_DEP_1) | instskip(NEXT) | instid1(VALU_DEP_1)
	v_add_f16_e32 v3, v2, v3
	v_cndmask_b32_e32 v2, v2, v3, vcc_lo
	v_cmp_eq_u32_e32 vcc_lo, 0, v4
	s_delay_alu instid0(VALU_DEP_2) | instskip(SKIP_3) | instid1(VALU_DEP_1)
	v_and_b32_e32 v3, 0xffff, v2
	ds_swizzle_b32 v3, v3 offset:swizzle(BROADCAST,32,15)
	s_waitcnt lgkmcnt(0)
	v_add_f16_e32 v3, v2, v3
	v_cndmask_b32_e32 v2, v3, v2, vcc_lo
	v_add_co_u32 v0, vcc_lo, s2, v0
	v_add_co_ci_u32_e32 v1, vcc_lo, s3, v1, vcc_lo
	global_store_b16 v[0:1], v2, off
	s_nop 0
	s_sendmsg sendmsg(MSG_DEALLOC_VGPRS)
	s_endpgm
	.section	.rodata,"a",@progbits
	.p2align	6, 0x0
	.amdhsa_kernel _Z26warp_inclusive_scan_kernelI6__halfLj128ELj32EENSt9enable_ifIXsr10test_utilsE35device_test_enabled_for_warp_size_vIXT1_EEEvE4typeEPT_S5_
		.amdhsa_group_segment_fixed_size 0
		.amdhsa_private_segment_fixed_size 0
		.amdhsa_kernarg_size 272
		.amdhsa_user_sgpr_count 15
		.amdhsa_user_sgpr_dispatch_ptr 0
		.amdhsa_user_sgpr_queue_ptr 0
		.amdhsa_user_sgpr_kernarg_segment_ptr 1
		.amdhsa_user_sgpr_dispatch_id 0
		.amdhsa_user_sgpr_private_segment_size 0
		.amdhsa_wavefront_size32 1
		.amdhsa_uses_dynamic_stack 0
		.amdhsa_enable_private_segment 0
		.amdhsa_system_sgpr_workgroup_id_x 1
		.amdhsa_system_sgpr_workgroup_id_y 0
		.amdhsa_system_sgpr_workgroup_id_z 0
		.amdhsa_system_sgpr_workgroup_info 0
		.amdhsa_system_vgpr_workitem_id 0
		.amdhsa_next_free_vgpr 6
		.amdhsa_next_free_sgpr 16
		.amdhsa_reserve_vcc 1
		.amdhsa_float_round_mode_32 0
		.amdhsa_float_round_mode_16_64 0
		.amdhsa_float_denorm_mode_32 3
		.amdhsa_float_denorm_mode_16_64 3
		.amdhsa_dx10_clamp 1
		.amdhsa_ieee_mode 1
		.amdhsa_fp16_overflow 0
		.amdhsa_workgroup_processor_mode 1
		.amdhsa_memory_ordered 1
		.amdhsa_forward_progress 0
		.amdhsa_shared_vgpr_count 0
		.amdhsa_exception_fp_ieee_invalid_op 0
		.amdhsa_exception_fp_denorm_src 0
		.amdhsa_exception_fp_ieee_div_zero 0
		.amdhsa_exception_fp_ieee_overflow 0
		.amdhsa_exception_fp_ieee_underflow 0
		.amdhsa_exception_fp_ieee_inexact 0
		.amdhsa_exception_int_div_zero 0
	.end_amdhsa_kernel
	.section	.text._Z26warp_inclusive_scan_kernelI6__halfLj128ELj32EENSt9enable_ifIXsr10test_utilsE35device_test_enabled_for_warp_size_vIXT1_EEEvE4typeEPT_S5_,"axG",@progbits,_Z26warp_inclusive_scan_kernelI6__halfLj128ELj32EENSt9enable_ifIXsr10test_utilsE35device_test_enabled_for_warp_size_vIXT1_EEEvE4typeEPT_S5_,comdat
.Lfunc_end30:
	.size	_Z26warp_inclusive_scan_kernelI6__halfLj128ELj32EENSt9enable_ifIXsr10test_utilsE35device_test_enabled_for_warp_size_vIXT1_EEEvE4typeEPT_S5_, .Lfunc_end30-_Z26warp_inclusive_scan_kernelI6__halfLj128ELj32EENSt9enable_ifIXsr10test_utilsE35device_test_enabled_for_warp_size_vIXT1_EEEvE4typeEPT_S5_
                                        ; -- End function
	.section	.AMDGPU.csdata,"",@progbits
; Kernel info:
; codeLenInByte = 312
; NumSgprs: 18
; NumVgprs: 6
; ScratchSize: 0
; MemoryBound: 0
; FloatMode: 240
; IeeeMode: 1
; LDSByteSize: 0 bytes/workgroup (compile time only)
; SGPRBlocks: 2
; VGPRBlocks: 0
; NumSGPRsForWavesPerEU: 18
; NumVGPRsForWavesPerEU: 6
; Occupancy: 16
; WaveLimiterHint : 0
; COMPUTE_PGM_RSRC2:SCRATCH_EN: 0
; COMPUTE_PGM_RSRC2:USER_SGPR: 15
; COMPUTE_PGM_RSRC2:TRAP_HANDLER: 0
; COMPUTE_PGM_RSRC2:TGID_X_EN: 1
; COMPUTE_PGM_RSRC2:TGID_Y_EN: 0
; COMPUTE_PGM_RSRC2:TGID_Z_EN: 0
; COMPUTE_PGM_RSRC2:TIDIG_COMP_CNT: 0
	.section	.text._Z26warp_inclusive_scan_kernelI6__halfLj64ELj16EENSt9enable_ifIXsr10test_utilsE35device_test_enabled_for_warp_size_vIXT1_EEEvE4typeEPT_S5_,"axG",@progbits,_Z26warp_inclusive_scan_kernelI6__halfLj64ELj16EENSt9enable_ifIXsr10test_utilsE35device_test_enabled_for_warp_size_vIXT1_EEEvE4typeEPT_S5_,comdat
	.protected	_Z26warp_inclusive_scan_kernelI6__halfLj64ELj16EENSt9enable_ifIXsr10test_utilsE35device_test_enabled_for_warp_size_vIXT1_EEEvE4typeEPT_S5_ ; -- Begin function _Z26warp_inclusive_scan_kernelI6__halfLj64ELj16EENSt9enable_ifIXsr10test_utilsE35device_test_enabled_for_warp_size_vIXT1_EEEvE4typeEPT_S5_
	.globl	_Z26warp_inclusive_scan_kernelI6__halfLj64ELj16EENSt9enable_ifIXsr10test_utilsE35device_test_enabled_for_warp_size_vIXT1_EEEvE4typeEPT_S5_
	.p2align	8
	.type	_Z26warp_inclusive_scan_kernelI6__halfLj64ELj16EENSt9enable_ifIXsr10test_utilsE35device_test_enabled_for_warp_size_vIXT1_EEEvE4typeEPT_S5_,@function
_Z26warp_inclusive_scan_kernelI6__halfLj64ELj16EENSt9enable_ifIXsr10test_utilsE35device_test_enabled_for_warp_size_vIXT1_EEEvE4typeEPT_S5_: ; @_Z26warp_inclusive_scan_kernelI6__halfLj64ELj16EENSt9enable_ifIXsr10test_utilsE35device_test_enabled_for_warp_size_vIXT1_EEEvE4typeEPT_S5_
; %bb.0:
	s_clause 0x1
	s_load_b32 s4, s[0:1], 0x1c
	s_load_b128 s[0:3], s[0:1], 0x0
	v_mbcnt_lo_u32_b32 v4, -1, 0
	s_delay_alu instid0(VALU_DEP_1) | instskip(SKIP_2) | instid1(SALU_CYCLE_1)
	v_and_b32_e32 v4, 15, v4
	s_waitcnt lgkmcnt(0)
	s_and_b32 s4, s4, 0xffff
	v_mad_u64_u32 v[1:2], null, s15, s4, v[0:1]
	v_mov_b32_e32 v2, 0
	s_delay_alu instid0(VALU_DEP_1) | instskip(NEXT) | instid1(VALU_DEP_1)
	v_lshlrev_b64 v[0:1], 1, v[1:2]
	v_add_co_u32 v2, vcc_lo, s0, v0
	s_delay_alu instid0(VALU_DEP_2) | instskip(SKIP_4) | instid1(VALU_DEP_1)
	v_add_co_ci_u32_e32 v3, vcc_lo, s1, v1, vcc_lo
	v_cmp_eq_u32_e32 vcc_lo, 0, v4
	global_load_u16 v2, v[2:3], off
	s_waitcnt vmcnt(0)
	v_and_b32_e32 v3, 0xffff, v2
	v_mov_b32_dpp v3, v3 row_shr:1 row_mask:0xf bank_mask:0xf
	s_delay_alu instid0(VALU_DEP_1) | instskip(NEXT) | instid1(VALU_DEP_1)
	v_add_f16_e32 v3, v2, v3
	v_cndmask_b32_e32 v2, v3, v2, vcc_lo
	v_cmp_lt_u32_e32 vcc_lo, 1, v4
	s_delay_alu instid0(VALU_DEP_2) | instskip(NEXT) | instid1(VALU_DEP_1)
	v_and_b32_e32 v3, 0xffff, v2
	v_mov_b32_dpp v3, v3 row_shr:2 row_mask:0xf bank_mask:0xf
	s_delay_alu instid0(VALU_DEP_1) | instskip(NEXT) | instid1(VALU_DEP_1)
	v_add_f16_e32 v3, v2, v3
	v_cndmask_b32_e32 v2, v2, v3, vcc_lo
	v_cmp_lt_u32_e32 vcc_lo, 3, v4
	s_delay_alu instid0(VALU_DEP_2) | instskip(NEXT) | instid1(VALU_DEP_1)
	;; [unrolled: 7-line block ×3, first 2 shown]
	v_and_b32_e32 v3, 0xffff, v2
	v_mov_b32_dpp v3, v3 row_shr:8 row_mask:0xf bank_mask:0xf
	s_delay_alu instid0(VALU_DEP_1) | instskip(NEXT) | instid1(VALU_DEP_1)
	v_add_f16_e32 v3, v2, v3
	v_cndmask_b32_e32 v2, v2, v3, vcc_lo
	v_add_co_u32 v0, vcc_lo, s2, v0
	v_add_co_ci_u32_e32 v1, vcc_lo, s3, v1, vcc_lo
	global_store_b16 v[0:1], v2, off
	s_nop 0
	s_sendmsg sendmsg(MSG_DEALLOC_VGPRS)
	s_endpgm
	.section	.rodata,"a",@progbits
	.p2align	6, 0x0
	.amdhsa_kernel _Z26warp_inclusive_scan_kernelI6__halfLj64ELj16EENSt9enable_ifIXsr10test_utilsE35device_test_enabled_for_warp_size_vIXT1_EEEvE4typeEPT_S5_
		.amdhsa_group_segment_fixed_size 0
		.amdhsa_private_segment_fixed_size 0
		.amdhsa_kernarg_size 272
		.amdhsa_user_sgpr_count 15
		.amdhsa_user_sgpr_dispatch_ptr 0
		.amdhsa_user_sgpr_queue_ptr 0
		.amdhsa_user_sgpr_kernarg_segment_ptr 1
		.amdhsa_user_sgpr_dispatch_id 0
		.amdhsa_user_sgpr_private_segment_size 0
		.amdhsa_wavefront_size32 1
		.amdhsa_uses_dynamic_stack 0
		.amdhsa_enable_private_segment 0
		.amdhsa_system_sgpr_workgroup_id_x 1
		.amdhsa_system_sgpr_workgroup_id_y 0
		.amdhsa_system_sgpr_workgroup_id_z 0
		.amdhsa_system_sgpr_workgroup_info 0
		.amdhsa_system_vgpr_workitem_id 0
		.amdhsa_next_free_vgpr 5
		.amdhsa_next_free_sgpr 16
		.amdhsa_reserve_vcc 1
		.amdhsa_float_round_mode_32 0
		.amdhsa_float_round_mode_16_64 0
		.amdhsa_float_denorm_mode_32 3
		.amdhsa_float_denorm_mode_16_64 3
		.amdhsa_dx10_clamp 1
		.amdhsa_ieee_mode 1
		.amdhsa_fp16_overflow 0
		.amdhsa_workgroup_processor_mode 1
		.amdhsa_memory_ordered 1
		.amdhsa_forward_progress 0
		.amdhsa_shared_vgpr_count 0
		.amdhsa_exception_fp_ieee_invalid_op 0
		.amdhsa_exception_fp_denorm_src 0
		.amdhsa_exception_fp_ieee_div_zero 0
		.amdhsa_exception_fp_ieee_overflow 0
		.amdhsa_exception_fp_ieee_underflow 0
		.amdhsa_exception_fp_ieee_inexact 0
		.amdhsa_exception_int_div_zero 0
	.end_amdhsa_kernel
	.section	.text._Z26warp_inclusive_scan_kernelI6__halfLj64ELj16EENSt9enable_ifIXsr10test_utilsE35device_test_enabled_for_warp_size_vIXT1_EEEvE4typeEPT_S5_,"axG",@progbits,_Z26warp_inclusive_scan_kernelI6__halfLj64ELj16EENSt9enable_ifIXsr10test_utilsE35device_test_enabled_for_warp_size_vIXT1_EEEvE4typeEPT_S5_,comdat
.Lfunc_end31:
	.size	_Z26warp_inclusive_scan_kernelI6__halfLj64ELj16EENSt9enable_ifIXsr10test_utilsE35device_test_enabled_for_warp_size_vIXT1_EEEvE4typeEPT_S5_, .Lfunc_end31-_Z26warp_inclusive_scan_kernelI6__halfLj64ELj16EENSt9enable_ifIXsr10test_utilsE35device_test_enabled_for_warp_size_vIXT1_EEEvE4typeEPT_S5_
                                        ; -- End function
	.section	.AMDGPU.csdata,"",@progbits
; Kernel info:
; codeLenInByte = 272
; NumSgprs: 18
; NumVgprs: 5
; ScratchSize: 0
; MemoryBound: 0
; FloatMode: 240
; IeeeMode: 1
; LDSByteSize: 0 bytes/workgroup (compile time only)
; SGPRBlocks: 2
; VGPRBlocks: 0
; NumSGPRsForWavesPerEU: 18
; NumVGPRsForWavesPerEU: 5
; Occupancy: 16
; WaveLimiterHint : 0
; COMPUTE_PGM_RSRC2:SCRATCH_EN: 0
; COMPUTE_PGM_RSRC2:USER_SGPR: 15
; COMPUTE_PGM_RSRC2:TRAP_HANDLER: 0
; COMPUTE_PGM_RSRC2:TGID_X_EN: 1
; COMPUTE_PGM_RSRC2:TGID_Y_EN: 0
; COMPUTE_PGM_RSRC2:TGID_Z_EN: 0
; COMPUTE_PGM_RSRC2:TIDIG_COMP_CNT: 0
	.section	.text._Z26warp_inclusive_scan_kernelI6__halfLj32ELj8EENSt9enable_ifIXsr10test_utilsE35device_test_enabled_for_warp_size_vIXT1_EEEvE4typeEPT_S5_,"axG",@progbits,_Z26warp_inclusive_scan_kernelI6__halfLj32ELj8EENSt9enable_ifIXsr10test_utilsE35device_test_enabled_for_warp_size_vIXT1_EEEvE4typeEPT_S5_,comdat
	.protected	_Z26warp_inclusive_scan_kernelI6__halfLj32ELj8EENSt9enable_ifIXsr10test_utilsE35device_test_enabled_for_warp_size_vIXT1_EEEvE4typeEPT_S5_ ; -- Begin function _Z26warp_inclusive_scan_kernelI6__halfLj32ELj8EENSt9enable_ifIXsr10test_utilsE35device_test_enabled_for_warp_size_vIXT1_EEEvE4typeEPT_S5_
	.globl	_Z26warp_inclusive_scan_kernelI6__halfLj32ELj8EENSt9enable_ifIXsr10test_utilsE35device_test_enabled_for_warp_size_vIXT1_EEEvE4typeEPT_S5_
	.p2align	8
	.type	_Z26warp_inclusive_scan_kernelI6__halfLj32ELj8EENSt9enable_ifIXsr10test_utilsE35device_test_enabled_for_warp_size_vIXT1_EEEvE4typeEPT_S5_,@function
_Z26warp_inclusive_scan_kernelI6__halfLj32ELj8EENSt9enable_ifIXsr10test_utilsE35device_test_enabled_for_warp_size_vIXT1_EEEvE4typeEPT_S5_: ; @_Z26warp_inclusive_scan_kernelI6__halfLj32ELj8EENSt9enable_ifIXsr10test_utilsE35device_test_enabled_for_warp_size_vIXT1_EEEvE4typeEPT_S5_
; %bb.0:
	s_clause 0x1
	s_load_b32 s4, s[0:1], 0x1c
	s_load_b128 s[0:3], s[0:1], 0x0
	v_mbcnt_lo_u32_b32 v4, -1, 0
	s_delay_alu instid0(VALU_DEP_1) | instskip(SKIP_2) | instid1(SALU_CYCLE_1)
	v_and_b32_e32 v4, 7, v4
	s_waitcnt lgkmcnt(0)
	s_and_b32 s4, s4, 0xffff
	v_mad_u64_u32 v[1:2], null, s15, s4, v[0:1]
	v_mov_b32_e32 v2, 0
	s_delay_alu instid0(VALU_DEP_1) | instskip(NEXT) | instid1(VALU_DEP_1)
	v_lshlrev_b64 v[0:1], 1, v[1:2]
	v_add_co_u32 v2, vcc_lo, s0, v0
	s_delay_alu instid0(VALU_DEP_2) | instskip(SKIP_4) | instid1(VALU_DEP_1)
	v_add_co_ci_u32_e32 v3, vcc_lo, s1, v1, vcc_lo
	v_cmp_eq_u32_e32 vcc_lo, 0, v4
	global_load_u16 v2, v[2:3], off
	s_waitcnt vmcnt(0)
	v_and_b32_e32 v3, 0xffff, v2
	v_mov_b32_dpp v3, v3 row_shr:1 row_mask:0xf bank_mask:0xf
	s_delay_alu instid0(VALU_DEP_1) | instskip(NEXT) | instid1(VALU_DEP_1)
	v_add_f16_e32 v3, v2, v3
	v_cndmask_b32_e32 v2, v3, v2, vcc_lo
	v_cmp_lt_u32_e32 vcc_lo, 1, v4
	s_delay_alu instid0(VALU_DEP_2) | instskip(NEXT) | instid1(VALU_DEP_1)
	v_and_b32_e32 v3, 0xffff, v2
	v_mov_b32_dpp v3, v3 row_shr:2 row_mask:0xf bank_mask:0xf
	s_delay_alu instid0(VALU_DEP_1) | instskip(NEXT) | instid1(VALU_DEP_1)
	v_add_f16_e32 v3, v2, v3
	v_cndmask_b32_e32 v2, v2, v3, vcc_lo
	v_cmp_lt_u32_e32 vcc_lo, 3, v4
	s_delay_alu instid0(VALU_DEP_2) | instskip(NEXT) | instid1(VALU_DEP_1)
	v_and_b32_e32 v3, 0xffff, v2
	v_mov_b32_dpp v3, v3 row_shr:4 row_mask:0xf bank_mask:0xf
	s_delay_alu instid0(VALU_DEP_1) | instskip(NEXT) | instid1(VALU_DEP_1)
	v_add_f16_e32 v3, v2, v3
	v_cndmask_b32_e32 v2, v2, v3, vcc_lo
	v_add_co_u32 v0, vcc_lo, s2, v0
	v_add_co_ci_u32_e32 v1, vcc_lo, s3, v1, vcc_lo
	global_store_b16 v[0:1], v2, off
	s_nop 0
	s_sendmsg sendmsg(MSG_DEALLOC_VGPRS)
	s_endpgm
	.section	.rodata,"a",@progbits
	.p2align	6, 0x0
	.amdhsa_kernel _Z26warp_inclusive_scan_kernelI6__halfLj32ELj8EENSt9enable_ifIXsr10test_utilsE35device_test_enabled_for_warp_size_vIXT1_EEEvE4typeEPT_S5_
		.amdhsa_group_segment_fixed_size 0
		.amdhsa_private_segment_fixed_size 0
		.amdhsa_kernarg_size 272
		.amdhsa_user_sgpr_count 15
		.amdhsa_user_sgpr_dispatch_ptr 0
		.amdhsa_user_sgpr_queue_ptr 0
		.amdhsa_user_sgpr_kernarg_segment_ptr 1
		.amdhsa_user_sgpr_dispatch_id 0
		.amdhsa_user_sgpr_private_segment_size 0
		.amdhsa_wavefront_size32 1
		.amdhsa_uses_dynamic_stack 0
		.amdhsa_enable_private_segment 0
		.amdhsa_system_sgpr_workgroup_id_x 1
		.amdhsa_system_sgpr_workgroup_id_y 0
		.amdhsa_system_sgpr_workgroup_id_z 0
		.amdhsa_system_sgpr_workgroup_info 0
		.amdhsa_system_vgpr_workitem_id 0
		.amdhsa_next_free_vgpr 5
		.amdhsa_next_free_sgpr 16
		.amdhsa_reserve_vcc 1
		.amdhsa_float_round_mode_32 0
		.amdhsa_float_round_mode_16_64 0
		.amdhsa_float_denorm_mode_32 3
		.amdhsa_float_denorm_mode_16_64 3
		.amdhsa_dx10_clamp 1
		.amdhsa_ieee_mode 1
		.amdhsa_fp16_overflow 0
		.amdhsa_workgroup_processor_mode 1
		.amdhsa_memory_ordered 1
		.amdhsa_forward_progress 0
		.amdhsa_shared_vgpr_count 0
		.amdhsa_exception_fp_ieee_invalid_op 0
		.amdhsa_exception_fp_denorm_src 0
		.amdhsa_exception_fp_ieee_div_zero 0
		.amdhsa_exception_fp_ieee_overflow 0
		.amdhsa_exception_fp_ieee_underflow 0
		.amdhsa_exception_fp_ieee_inexact 0
		.amdhsa_exception_int_div_zero 0
	.end_amdhsa_kernel
	.section	.text._Z26warp_inclusive_scan_kernelI6__halfLj32ELj8EENSt9enable_ifIXsr10test_utilsE35device_test_enabled_for_warp_size_vIXT1_EEEvE4typeEPT_S5_,"axG",@progbits,_Z26warp_inclusive_scan_kernelI6__halfLj32ELj8EENSt9enable_ifIXsr10test_utilsE35device_test_enabled_for_warp_size_vIXT1_EEEvE4typeEPT_S5_,comdat
.Lfunc_end32:
	.size	_Z26warp_inclusive_scan_kernelI6__halfLj32ELj8EENSt9enable_ifIXsr10test_utilsE35device_test_enabled_for_warp_size_vIXT1_EEEvE4typeEPT_S5_, .Lfunc_end32-_Z26warp_inclusive_scan_kernelI6__halfLj32ELj8EENSt9enable_ifIXsr10test_utilsE35device_test_enabled_for_warp_size_vIXT1_EEEvE4typeEPT_S5_
                                        ; -- End function
	.section	.AMDGPU.csdata,"",@progbits
; Kernel info:
; codeLenInByte = 236
; NumSgprs: 18
; NumVgprs: 5
; ScratchSize: 0
; MemoryBound: 0
; FloatMode: 240
; IeeeMode: 1
; LDSByteSize: 0 bytes/workgroup (compile time only)
; SGPRBlocks: 2
; VGPRBlocks: 0
; NumSGPRsForWavesPerEU: 18
; NumVGPRsForWavesPerEU: 5
; Occupancy: 16
; WaveLimiterHint : 0
; COMPUTE_PGM_RSRC2:SCRATCH_EN: 0
; COMPUTE_PGM_RSRC2:USER_SGPR: 15
; COMPUTE_PGM_RSRC2:TRAP_HANDLER: 0
; COMPUTE_PGM_RSRC2:TGID_X_EN: 1
; COMPUTE_PGM_RSRC2:TGID_Y_EN: 0
; COMPUTE_PGM_RSRC2:TGID_Z_EN: 0
; COMPUTE_PGM_RSRC2:TIDIG_COMP_CNT: 0
	.section	.text._Z26warp_inclusive_scan_kernelI6__halfLj64ELj8EENSt9enable_ifIXsr10test_utilsE35device_test_enabled_for_warp_size_vIXT1_EEEvE4typeEPT_S5_,"axG",@progbits,_Z26warp_inclusive_scan_kernelI6__halfLj64ELj8EENSt9enable_ifIXsr10test_utilsE35device_test_enabled_for_warp_size_vIXT1_EEEvE4typeEPT_S5_,comdat
	.protected	_Z26warp_inclusive_scan_kernelI6__halfLj64ELj8EENSt9enable_ifIXsr10test_utilsE35device_test_enabled_for_warp_size_vIXT1_EEEvE4typeEPT_S5_ ; -- Begin function _Z26warp_inclusive_scan_kernelI6__halfLj64ELj8EENSt9enable_ifIXsr10test_utilsE35device_test_enabled_for_warp_size_vIXT1_EEEvE4typeEPT_S5_
	.globl	_Z26warp_inclusive_scan_kernelI6__halfLj64ELj8EENSt9enable_ifIXsr10test_utilsE35device_test_enabled_for_warp_size_vIXT1_EEEvE4typeEPT_S5_
	.p2align	8
	.type	_Z26warp_inclusive_scan_kernelI6__halfLj64ELj8EENSt9enable_ifIXsr10test_utilsE35device_test_enabled_for_warp_size_vIXT1_EEEvE4typeEPT_S5_,@function
_Z26warp_inclusive_scan_kernelI6__halfLj64ELj8EENSt9enable_ifIXsr10test_utilsE35device_test_enabled_for_warp_size_vIXT1_EEEvE4typeEPT_S5_: ; @_Z26warp_inclusive_scan_kernelI6__halfLj64ELj8EENSt9enable_ifIXsr10test_utilsE35device_test_enabled_for_warp_size_vIXT1_EEEvE4typeEPT_S5_
; %bb.0:
	s_clause 0x1
	s_load_b32 s4, s[0:1], 0x1c
	s_load_b128 s[0:3], s[0:1], 0x0
	v_mbcnt_lo_u32_b32 v4, -1, 0
	s_delay_alu instid0(VALU_DEP_1) | instskip(SKIP_2) | instid1(SALU_CYCLE_1)
	v_and_b32_e32 v4, 7, v4
	s_waitcnt lgkmcnt(0)
	s_and_b32 s4, s4, 0xffff
	v_mad_u64_u32 v[1:2], null, s15, s4, v[0:1]
	v_mov_b32_e32 v2, 0
	s_delay_alu instid0(VALU_DEP_1) | instskip(NEXT) | instid1(VALU_DEP_1)
	v_lshlrev_b64 v[0:1], 1, v[1:2]
	v_add_co_u32 v2, vcc_lo, s0, v0
	s_delay_alu instid0(VALU_DEP_2) | instskip(SKIP_4) | instid1(VALU_DEP_1)
	v_add_co_ci_u32_e32 v3, vcc_lo, s1, v1, vcc_lo
	v_cmp_eq_u32_e32 vcc_lo, 0, v4
	global_load_u16 v2, v[2:3], off
	s_waitcnt vmcnt(0)
	v_and_b32_e32 v3, 0xffff, v2
	v_mov_b32_dpp v3, v3 row_shr:1 row_mask:0xf bank_mask:0xf
	s_delay_alu instid0(VALU_DEP_1) | instskip(NEXT) | instid1(VALU_DEP_1)
	v_add_f16_e32 v3, v2, v3
	v_cndmask_b32_e32 v2, v3, v2, vcc_lo
	v_cmp_lt_u32_e32 vcc_lo, 1, v4
	s_delay_alu instid0(VALU_DEP_2) | instskip(NEXT) | instid1(VALU_DEP_1)
	v_and_b32_e32 v3, 0xffff, v2
	v_mov_b32_dpp v3, v3 row_shr:2 row_mask:0xf bank_mask:0xf
	s_delay_alu instid0(VALU_DEP_1) | instskip(NEXT) | instid1(VALU_DEP_1)
	v_add_f16_e32 v3, v2, v3
	v_cndmask_b32_e32 v2, v2, v3, vcc_lo
	v_cmp_lt_u32_e32 vcc_lo, 3, v4
	s_delay_alu instid0(VALU_DEP_2) | instskip(NEXT) | instid1(VALU_DEP_1)
	v_and_b32_e32 v3, 0xffff, v2
	v_mov_b32_dpp v3, v3 row_shr:4 row_mask:0xf bank_mask:0xf
	s_delay_alu instid0(VALU_DEP_1) | instskip(NEXT) | instid1(VALU_DEP_1)
	v_add_f16_e32 v3, v2, v3
	v_cndmask_b32_e32 v2, v2, v3, vcc_lo
	v_add_co_u32 v0, vcc_lo, s2, v0
	v_add_co_ci_u32_e32 v1, vcc_lo, s3, v1, vcc_lo
	global_store_b16 v[0:1], v2, off
	s_nop 0
	s_sendmsg sendmsg(MSG_DEALLOC_VGPRS)
	s_endpgm
	.section	.rodata,"a",@progbits
	.p2align	6, 0x0
	.amdhsa_kernel _Z26warp_inclusive_scan_kernelI6__halfLj64ELj8EENSt9enable_ifIXsr10test_utilsE35device_test_enabled_for_warp_size_vIXT1_EEEvE4typeEPT_S5_
		.amdhsa_group_segment_fixed_size 0
		.amdhsa_private_segment_fixed_size 0
		.amdhsa_kernarg_size 272
		.amdhsa_user_sgpr_count 15
		.amdhsa_user_sgpr_dispatch_ptr 0
		.amdhsa_user_sgpr_queue_ptr 0
		.amdhsa_user_sgpr_kernarg_segment_ptr 1
		.amdhsa_user_sgpr_dispatch_id 0
		.amdhsa_user_sgpr_private_segment_size 0
		.amdhsa_wavefront_size32 1
		.amdhsa_uses_dynamic_stack 0
		.amdhsa_enable_private_segment 0
		.amdhsa_system_sgpr_workgroup_id_x 1
		.amdhsa_system_sgpr_workgroup_id_y 0
		.amdhsa_system_sgpr_workgroup_id_z 0
		.amdhsa_system_sgpr_workgroup_info 0
		.amdhsa_system_vgpr_workitem_id 0
		.amdhsa_next_free_vgpr 5
		.amdhsa_next_free_sgpr 16
		.amdhsa_reserve_vcc 1
		.amdhsa_float_round_mode_32 0
		.amdhsa_float_round_mode_16_64 0
		.amdhsa_float_denorm_mode_32 3
		.amdhsa_float_denorm_mode_16_64 3
		.amdhsa_dx10_clamp 1
		.amdhsa_ieee_mode 1
		.amdhsa_fp16_overflow 0
		.amdhsa_workgroup_processor_mode 1
		.amdhsa_memory_ordered 1
		.amdhsa_forward_progress 0
		.amdhsa_shared_vgpr_count 0
		.amdhsa_exception_fp_ieee_invalid_op 0
		.amdhsa_exception_fp_denorm_src 0
		.amdhsa_exception_fp_ieee_div_zero 0
		.amdhsa_exception_fp_ieee_overflow 0
		.amdhsa_exception_fp_ieee_underflow 0
		.amdhsa_exception_fp_ieee_inexact 0
		.amdhsa_exception_int_div_zero 0
	.end_amdhsa_kernel
	.section	.text._Z26warp_inclusive_scan_kernelI6__halfLj64ELj8EENSt9enable_ifIXsr10test_utilsE35device_test_enabled_for_warp_size_vIXT1_EEEvE4typeEPT_S5_,"axG",@progbits,_Z26warp_inclusive_scan_kernelI6__halfLj64ELj8EENSt9enable_ifIXsr10test_utilsE35device_test_enabled_for_warp_size_vIXT1_EEEvE4typeEPT_S5_,comdat
.Lfunc_end33:
	.size	_Z26warp_inclusive_scan_kernelI6__halfLj64ELj8EENSt9enable_ifIXsr10test_utilsE35device_test_enabled_for_warp_size_vIXT1_EEEvE4typeEPT_S5_, .Lfunc_end33-_Z26warp_inclusive_scan_kernelI6__halfLj64ELj8EENSt9enable_ifIXsr10test_utilsE35device_test_enabled_for_warp_size_vIXT1_EEEvE4typeEPT_S5_
                                        ; -- End function
	.section	.AMDGPU.csdata,"",@progbits
; Kernel info:
; codeLenInByte = 236
; NumSgprs: 18
; NumVgprs: 5
; ScratchSize: 0
; MemoryBound: 0
; FloatMode: 240
; IeeeMode: 1
; LDSByteSize: 0 bytes/workgroup (compile time only)
; SGPRBlocks: 2
; VGPRBlocks: 0
; NumSGPRsForWavesPerEU: 18
; NumVGPRsForWavesPerEU: 5
; Occupancy: 16
; WaveLimiterHint : 0
; COMPUTE_PGM_RSRC2:SCRATCH_EN: 0
; COMPUTE_PGM_RSRC2:USER_SGPR: 15
; COMPUTE_PGM_RSRC2:TRAP_HANDLER: 0
; COMPUTE_PGM_RSRC2:TGID_X_EN: 1
; COMPUTE_PGM_RSRC2:TGID_Y_EN: 0
; COMPUTE_PGM_RSRC2:TGID_Z_EN: 0
; COMPUTE_PGM_RSRC2:TIDIG_COMP_CNT: 0
	.section	.text._Z26warp_inclusive_scan_kernelI6__halfLj32ELj4EENSt9enable_ifIXsr10test_utilsE35device_test_enabled_for_warp_size_vIXT1_EEEvE4typeEPT_S5_,"axG",@progbits,_Z26warp_inclusive_scan_kernelI6__halfLj32ELj4EENSt9enable_ifIXsr10test_utilsE35device_test_enabled_for_warp_size_vIXT1_EEEvE4typeEPT_S5_,comdat
	.protected	_Z26warp_inclusive_scan_kernelI6__halfLj32ELj4EENSt9enable_ifIXsr10test_utilsE35device_test_enabled_for_warp_size_vIXT1_EEEvE4typeEPT_S5_ ; -- Begin function _Z26warp_inclusive_scan_kernelI6__halfLj32ELj4EENSt9enable_ifIXsr10test_utilsE35device_test_enabled_for_warp_size_vIXT1_EEEvE4typeEPT_S5_
	.globl	_Z26warp_inclusive_scan_kernelI6__halfLj32ELj4EENSt9enable_ifIXsr10test_utilsE35device_test_enabled_for_warp_size_vIXT1_EEEvE4typeEPT_S5_
	.p2align	8
	.type	_Z26warp_inclusive_scan_kernelI6__halfLj32ELj4EENSt9enable_ifIXsr10test_utilsE35device_test_enabled_for_warp_size_vIXT1_EEEvE4typeEPT_S5_,@function
_Z26warp_inclusive_scan_kernelI6__halfLj32ELj4EENSt9enable_ifIXsr10test_utilsE35device_test_enabled_for_warp_size_vIXT1_EEEvE4typeEPT_S5_: ; @_Z26warp_inclusive_scan_kernelI6__halfLj32ELj4EENSt9enable_ifIXsr10test_utilsE35device_test_enabled_for_warp_size_vIXT1_EEEvE4typeEPT_S5_
; %bb.0:
	s_clause 0x1
	s_load_b32 s4, s[0:1], 0x1c
	s_load_b128 s[0:3], s[0:1], 0x0
	v_mbcnt_lo_u32_b32 v4, -1, 0
	s_delay_alu instid0(VALU_DEP_1) | instskip(SKIP_2) | instid1(SALU_CYCLE_1)
	v_and_b32_e32 v4, 3, v4
	s_waitcnt lgkmcnt(0)
	s_and_b32 s4, s4, 0xffff
	v_mad_u64_u32 v[1:2], null, s15, s4, v[0:1]
	v_mov_b32_e32 v2, 0
	s_delay_alu instid0(VALU_DEP_1) | instskip(NEXT) | instid1(VALU_DEP_1)
	v_lshlrev_b64 v[0:1], 1, v[1:2]
	v_add_co_u32 v2, vcc_lo, s0, v0
	s_delay_alu instid0(VALU_DEP_2) | instskip(SKIP_4) | instid1(VALU_DEP_1)
	v_add_co_ci_u32_e32 v3, vcc_lo, s1, v1, vcc_lo
	v_cmp_eq_u32_e32 vcc_lo, 0, v4
	global_load_u16 v2, v[2:3], off
	s_waitcnt vmcnt(0)
	v_and_b32_e32 v3, 0xffff, v2
	v_mov_b32_dpp v3, v3 row_shr:1 row_mask:0xf bank_mask:0xf
	s_delay_alu instid0(VALU_DEP_1) | instskip(NEXT) | instid1(VALU_DEP_1)
	v_add_f16_e32 v3, v2, v3
	v_cndmask_b32_e32 v2, v3, v2, vcc_lo
	v_cmp_lt_u32_e32 vcc_lo, 1, v4
	s_delay_alu instid0(VALU_DEP_2) | instskip(NEXT) | instid1(VALU_DEP_1)
	v_and_b32_e32 v3, 0xffff, v2
	v_mov_b32_dpp v3, v3 row_shr:2 row_mask:0xf bank_mask:0xf
	s_delay_alu instid0(VALU_DEP_1) | instskip(NEXT) | instid1(VALU_DEP_1)
	v_add_f16_e32 v3, v2, v3
	v_cndmask_b32_e32 v2, v2, v3, vcc_lo
	v_add_co_u32 v0, vcc_lo, s2, v0
	v_add_co_ci_u32_e32 v1, vcc_lo, s3, v1, vcc_lo
	global_store_b16 v[0:1], v2, off
	s_nop 0
	s_sendmsg sendmsg(MSG_DEALLOC_VGPRS)
	s_endpgm
	.section	.rodata,"a",@progbits
	.p2align	6, 0x0
	.amdhsa_kernel _Z26warp_inclusive_scan_kernelI6__halfLj32ELj4EENSt9enable_ifIXsr10test_utilsE35device_test_enabled_for_warp_size_vIXT1_EEEvE4typeEPT_S5_
		.amdhsa_group_segment_fixed_size 0
		.amdhsa_private_segment_fixed_size 0
		.amdhsa_kernarg_size 272
		.amdhsa_user_sgpr_count 15
		.amdhsa_user_sgpr_dispatch_ptr 0
		.amdhsa_user_sgpr_queue_ptr 0
		.amdhsa_user_sgpr_kernarg_segment_ptr 1
		.amdhsa_user_sgpr_dispatch_id 0
		.amdhsa_user_sgpr_private_segment_size 0
		.amdhsa_wavefront_size32 1
		.amdhsa_uses_dynamic_stack 0
		.amdhsa_enable_private_segment 0
		.amdhsa_system_sgpr_workgroup_id_x 1
		.amdhsa_system_sgpr_workgroup_id_y 0
		.amdhsa_system_sgpr_workgroup_id_z 0
		.amdhsa_system_sgpr_workgroup_info 0
		.amdhsa_system_vgpr_workitem_id 0
		.amdhsa_next_free_vgpr 5
		.amdhsa_next_free_sgpr 16
		.amdhsa_reserve_vcc 1
		.amdhsa_float_round_mode_32 0
		.amdhsa_float_round_mode_16_64 0
		.amdhsa_float_denorm_mode_32 3
		.amdhsa_float_denorm_mode_16_64 3
		.amdhsa_dx10_clamp 1
		.amdhsa_ieee_mode 1
		.amdhsa_fp16_overflow 0
		.amdhsa_workgroup_processor_mode 1
		.amdhsa_memory_ordered 1
		.amdhsa_forward_progress 0
		.amdhsa_shared_vgpr_count 0
		.amdhsa_exception_fp_ieee_invalid_op 0
		.amdhsa_exception_fp_denorm_src 0
		.amdhsa_exception_fp_ieee_div_zero 0
		.amdhsa_exception_fp_ieee_overflow 0
		.amdhsa_exception_fp_ieee_underflow 0
		.amdhsa_exception_fp_ieee_inexact 0
		.amdhsa_exception_int_div_zero 0
	.end_amdhsa_kernel
	.section	.text._Z26warp_inclusive_scan_kernelI6__halfLj32ELj4EENSt9enable_ifIXsr10test_utilsE35device_test_enabled_for_warp_size_vIXT1_EEEvE4typeEPT_S5_,"axG",@progbits,_Z26warp_inclusive_scan_kernelI6__halfLj32ELj4EENSt9enable_ifIXsr10test_utilsE35device_test_enabled_for_warp_size_vIXT1_EEEvE4typeEPT_S5_,comdat
.Lfunc_end34:
	.size	_Z26warp_inclusive_scan_kernelI6__halfLj32ELj4EENSt9enable_ifIXsr10test_utilsE35device_test_enabled_for_warp_size_vIXT1_EEEvE4typeEPT_S5_, .Lfunc_end34-_Z26warp_inclusive_scan_kernelI6__halfLj32ELj4EENSt9enable_ifIXsr10test_utilsE35device_test_enabled_for_warp_size_vIXT1_EEEvE4typeEPT_S5_
                                        ; -- End function
	.section	.AMDGPU.csdata,"",@progbits
; Kernel info:
; codeLenInByte = 200
; NumSgprs: 18
; NumVgprs: 5
; ScratchSize: 0
; MemoryBound: 0
; FloatMode: 240
; IeeeMode: 1
; LDSByteSize: 0 bytes/workgroup (compile time only)
; SGPRBlocks: 2
; VGPRBlocks: 0
; NumSGPRsForWavesPerEU: 18
; NumVGPRsForWavesPerEU: 5
; Occupancy: 16
; WaveLimiterHint : 0
; COMPUTE_PGM_RSRC2:SCRATCH_EN: 0
; COMPUTE_PGM_RSRC2:USER_SGPR: 15
; COMPUTE_PGM_RSRC2:TRAP_HANDLER: 0
; COMPUTE_PGM_RSRC2:TGID_X_EN: 1
; COMPUTE_PGM_RSRC2:TGID_Y_EN: 0
; COMPUTE_PGM_RSRC2:TGID_Z_EN: 0
; COMPUTE_PGM_RSRC2:TIDIG_COMP_CNT: 0
	.section	.text._Z26warp_inclusive_scan_kernelI6__halfLj64ELj4EENSt9enable_ifIXsr10test_utilsE35device_test_enabled_for_warp_size_vIXT1_EEEvE4typeEPT_S5_,"axG",@progbits,_Z26warp_inclusive_scan_kernelI6__halfLj64ELj4EENSt9enable_ifIXsr10test_utilsE35device_test_enabled_for_warp_size_vIXT1_EEEvE4typeEPT_S5_,comdat
	.protected	_Z26warp_inclusive_scan_kernelI6__halfLj64ELj4EENSt9enable_ifIXsr10test_utilsE35device_test_enabled_for_warp_size_vIXT1_EEEvE4typeEPT_S5_ ; -- Begin function _Z26warp_inclusive_scan_kernelI6__halfLj64ELj4EENSt9enable_ifIXsr10test_utilsE35device_test_enabled_for_warp_size_vIXT1_EEEvE4typeEPT_S5_
	.globl	_Z26warp_inclusive_scan_kernelI6__halfLj64ELj4EENSt9enable_ifIXsr10test_utilsE35device_test_enabled_for_warp_size_vIXT1_EEEvE4typeEPT_S5_
	.p2align	8
	.type	_Z26warp_inclusive_scan_kernelI6__halfLj64ELj4EENSt9enable_ifIXsr10test_utilsE35device_test_enabled_for_warp_size_vIXT1_EEEvE4typeEPT_S5_,@function
_Z26warp_inclusive_scan_kernelI6__halfLj64ELj4EENSt9enable_ifIXsr10test_utilsE35device_test_enabled_for_warp_size_vIXT1_EEEvE4typeEPT_S5_: ; @_Z26warp_inclusive_scan_kernelI6__halfLj64ELj4EENSt9enable_ifIXsr10test_utilsE35device_test_enabled_for_warp_size_vIXT1_EEEvE4typeEPT_S5_
; %bb.0:
	s_clause 0x1
	s_load_b32 s4, s[0:1], 0x1c
	s_load_b128 s[0:3], s[0:1], 0x0
	v_mbcnt_lo_u32_b32 v4, -1, 0
	s_delay_alu instid0(VALU_DEP_1) | instskip(SKIP_2) | instid1(SALU_CYCLE_1)
	v_and_b32_e32 v4, 3, v4
	s_waitcnt lgkmcnt(0)
	s_and_b32 s4, s4, 0xffff
	v_mad_u64_u32 v[1:2], null, s15, s4, v[0:1]
	v_mov_b32_e32 v2, 0
	s_delay_alu instid0(VALU_DEP_1) | instskip(NEXT) | instid1(VALU_DEP_1)
	v_lshlrev_b64 v[0:1], 1, v[1:2]
	v_add_co_u32 v2, vcc_lo, s0, v0
	s_delay_alu instid0(VALU_DEP_2) | instskip(SKIP_4) | instid1(VALU_DEP_1)
	v_add_co_ci_u32_e32 v3, vcc_lo, s1, v1, vcc_lo
	v_cmp_eq_u32_e32 vcc_lo, 0, v4
	global_load_u16 v2, v[2:3], off
	s_waitcnt vmcnt(0)
	v_and_b32_e32 v3, 0xffff, v2
	v_mov_b32_dpp v3, v3 row_shr:1 row_mask:0xf bank_mask:0xf
	s_delay_alu instid0(VALU_DEP_1) | instskip(NEXT) | instid1(VALU_DEP_1)
	v_add_f16_e32 v3, v2, v3
	v_cndmask_b32_e32 v2, v3, v2, vcc_lo
	v_cmp_lt_u32_e32 vcc_lo, 1, v4
	s_delay_alu instid0(VALU_DEP_2) | instskip(NEXT) | instid1(VALU_DEP_1)
	v_and_b32_e32 v3, 0xffff, v2
	v_mov_b32_dpp v3, v3 row_shr:2 row_mask:0xf bank_mask:0xf
	s_delay_alu instid0(VALU_DEP_1) | instskip(NEXT) | instid1(VALU_DEP_1)
	v_add_f16_e32 v3, v2, v3
	v_cndmask_b32_e32 v2, v2, v3, vcc_lo
	v_add_co_u32 v0, vcc_lo, s2, v0
	v_add_co_ci_u32_e32 v1, vcc_lo, s3, v1, vcc_lo
	global_store_b16 v[0:1], v2, off
	s_nop 0
	s_sendmsg sendmsg(MSG_DEALLOC_VGPRS)
	s_endpgm
	.section	.rodata,"a",@progbits
	.p2align	6, 0x0
	.amdhsa_kernel _Z26warp_inclusive_scan_kernelI6__halfLj64ELj4EENSt9enable_ifIXsr10test_utilsE35device_test_enabled_for_warp_size_vIXT1_EEEvE4typeEPT_S5_
		.amdhsa_group_segment_fixed_size 0
		.amdhsa_private_segment_fixed_size 0
		.amdhsa_kernarg_size 272
		.amdhsa_user_sgpr_count 15
		.amdhsa_user_sgpr_dispatch_ptr 0
		.amdhsa_user_sgpr_queue_ptr 0
		.amdhsa_user_sgpr_kernarg_segment_ptr 1
		.amdhsa_user_sgpr_dispatch_id 0
		.amdhsa_user_sgpr_private_segment_size 0
		.amdhsa_wavefront_size32 1
		.amdhsa_uses_dynamic_stack 0
		.amdhsa_enable_private_segment 0
		.amdhsa_system_sgpr_workgroup_id_x 1
		.amdhsa_system_sgpr_workgroup_id_y 0
		.amdhsa_system_sgpr_workgroup_id_z 0
		.amdhsa_system_sgpr_workgroup_info 0
		.amdhsa_system_vgpr_workitem_id 0
		.amdhsa_next_free_vgpr 5
		.amdhsa_next_free_sgpr 16
		.amdhsa_reserve_vcc 1
		.amdhsa_float_round_mode_32 0
		.amdhsa_float_round_mode_16_64 0
		.amdhsa_float_denorm_mode_32 3
		.amdhsa_float_denorm_mode_16_64 3
		.amdhsa_dx10_clamp 1
		.amdhsa_ieee_mode 1
		.amdhsa_fp16_overflow 0
		.amdhsa_workgroup_processor_mode 1
		.amdhsa_memory_ordered 1
		.amdhsa_forward_progress 0
		.amdhsa_shared_vgpr_count 0
		.amdhsa_exception_fp_ieee_invalid_op 0
		.amdhsa_exception_fp_denorm_src 0
		.amdhsa_exception_fp_ieee_div_zero 0
		.amdhsa_exception_fp_ieee_overflow 0
		.amdhsa_exception_fp_ieee_underflow 0
		.amdhsa_exception_fp_ieee_inexact 0
		.amdhsa_exception_int_div_zero 0
	.end_amdhsa_kernel
	.section	.text._Z26warp_inclusive_scan_kernelI6__halfLj64ELj4EENSt9enable_ifIXsr10test_utilsE35device_test_enabled_for_warp_size_vIXT1_EEEvE4typeEPT_S5_,"axG",@progbits,_Z26warp_inclusive_scan_kernelI6__halfLj64ELj4EENSt9enable_ifIXsr10test_utilsE35device_test_enabled_for_warp_size_vIXT1_EEEvE4typeEPT_S5_,comdat
.Lfunc_end35:
	.size	_Z26warp_inclusive_scan_kernelI6__halfLj64ELj4EENSt9enable_ifIXsr10test_utilsE35device_test_enabled_for_warp_size_vIXT1_EEEvE4typeEPT_S5_, .Lfunc_end35-_Z26warp_inclusive_scan_kernelI6__halfLj64ELj4EENSt9enable_ifIXsr10test_utilsE35device_test_enabled_for_warp_size_vIXT1_EEEvE4typeEPT_S5_
                                        ; -- End function
	.section	.AMDGPU.csdata,"",@progbits
; Kernel info:
; codeLenInByte = 200
; NumSgprs: 18
; NumVgprs: 5
; ScratchSize: 0
; MemoryBound: 0
; FloatMode: 240
; IeeeMode: 1
; LDSByteSize: 0 bytes/workgroup (compile time only)
; SGPRBlocks: 2
; VGPRBlocks: 0
; NumSGPRsForWavesPerEU: 18
; NumVGPRsForWavesPerEU: 5
; Occupancy: 16
; WaveLimiterHint : 0
; COMPUTE_PGM_RSRC2:SCRATCH_EN: 0
; COMPUTE_PGM_RSRC2:USER_SGPR: 15
; COMPUTE_PGM_RSRC2:TRAP_HANDLER: 0
; COMPUTE_PGM_RSRC2:TGID_X_EN: 1
; COMPUTE_PGM_RSRC2:TGID_Y_EN: 0
; COMPUTE_PGM_RSRC2:TGID_Z_EN: 0
; COMPUTE_PGM_RSRC2:TIDIG_COMP_CNT: 0
	.section	.text._Z26warp_inclusive_scan_kernelI6__halfLj32ELj2EENSt9enable_ifIXsr10test_utilsE35device_test_enabled_for_warp_size_vIXT1_EEEvE4typeEPT_S5_,"axG",@progbits,_Z26warp_inclusive_scan_kernelI6__halfLj32ELj2EENSt9enable_ifIXsr10test_utilsE35device_test_enabled_for_warp_size_vIXT1_EEEvE4typeEPT_S5_,comdat
	.protected	_Z26warp_inclusive_scan_kernelI6__halfLj32ELj2EENSt9enable_ifIXsr10test_utilsE35device_test_enabled_for_warp_size_vIXT1_EEEvE4typeEPT_S5_ ; -- Begin function _Z26warp_inclusive_scan_kernelI6__halfLj32ELj2EENSt9enable_ifIXsr10test_utilsE35device_test_enabled_for_warp_size_vIXT1_EEEvE4typeEPT_S5_
	.globl	_Z26warp_inclusive_scan_kernelI6__halfLj32ELj2EENSt9enable_ifIXsr10test_utilsE35device_test_enabled_for_warp_size_vIXT1_EEEvE4typeEPT_S5_
	.p2align	8
	.type	_Z26warp_inclusive_scan_kernelI6__halfLj32ELj2EENSt9enable_ifIXsr10test_utilsE35device_test_enabled_for_warp_size_vIXT1_EEEvE4typeEPT_S5_,@function
_Z26warp_inclusive_scan_kernelI6__halfLj32ELj2EENSt9enable_ifIXsr10test_utilsE35device_test_enabled_for_warp_size_vIXT1_EEEvE4typeEPT_S5_: ; @_Z26warp_inclusive_scan_kernelI6__halfLj32ELj2EENSt9enable_ifIXsr10test_utilsE35device_test_enabled_for_warp_size_vIXT1_EEEvE4typeEPT_S5_
; %bb.0:
	s_clause 0x1
	s_load_b32 s4, s[0:1], 0x1c
	s_load_b128 s[0:3], s[0:1], 0x0
	v_mbcnt_lo_u32_b32 v4, -1, 0
	s_delay_alu instid0(VALU_DEP_1) | instskip(SKIP_2) | instid1(SALU_CYCLE_1)
	v_and_b32_e32 v4, 1, v4
	s_waitcnt lgkmcnt(0)
	s_and_b32 s4, s4, 0xffff
	v_mad_u64_u32 v[1:2], null, s15, s4, v[0:1]
	v_mov_b32_e32 v2, 0
	s_delay_alu instid0(VALU_DEP_1) | instskip(NEXT) | instid1(VALU_DEP_1)
	v_lshlrev_b64 v[0:1], 1, v[1:2]
	v_add_co_u32 v2, vcc_lo, s0, v0
	s_delay_alu instid0(VALU_DEP_2) | instskip(SKIP_4) | instid1(VALU_DEP_1)
	v_add_co_ci_u32_e32 v3, vcc_lo, s1, v1, vcc_lo
	v_cmp_eq_u32_e32 vcc_lo, 0, v4
	global_load_u16 v2, v[2:3], off
	s_waitcnt vmcnt(0)
	v_and_b32_e32 v3, 0xffff, v2
	v_mov_b32_dpp v3, v3 row_shr:1 row_mask:0xf bank_mask:0xf
	s_delay_alu instid0(VALU_DEP_1) | instskip(NEXT) | instid1(VALU_DEP_1)
	v_add_f16_e32 v3, v2, v3
	v_cndmask_b32_e32 v2, v3, v2, vcc_lo
	v_add_co_u32 v0, vcc_lo, s2, v0
	v_add_co_ci_u32_e32 v1, vcc_lo, s3, v1, vcc_lo
	global_store_b16 v[0:1], v2, off
	s_nop 0
	s_sendmsg sendmsg(MSG_DEALLOC_VGPRS)
	s_endpgm
	.section	.rodata,"a",@progbits
	.p2align	6, 0x0
	.amdhsa_kernel _Z26warp_inclusive_scan_kernelI6__halfLj32ELj2EENSt9enable_ifIXsr10test_utilsE35device_test_enabled_for_warp_size_vIXT1_EEEvE4typeEPT_S5_
		.amdhsa_group_segment_fixed_size 0
		.amdhsa_private_segment_fixed_size 0
		.amdhsa_kernarg_size 272
		.amdhsa_user_sgpr_count 15
		.amdhsa_user_sgpr_dispatch_ptr 0
		.amdhsa_user_sgpr_queue_ptr 0
		.amdhsa_user_sgpr_kernarg_segment_ptr 1
		.amdhsa_user_sgpr_dispatch_id 0
		.amdhsa_user_sgpr_private_segment_size 0
		.amdhsa_wavefront_size32 1
		.amdhsa_uses_dynamic_stack 0
		.amdhsa_enable_private_segment 0
		.amdhsa_system_sgpr_workgroup_id_x 1
		.amdhsa_system_sgpr_workgroup_id_y 0
		.amdhsa_system_sgpr_workgroup_id_z 0
		.amdhsa_system_sgpr_workgroup_info 0
		.amdhsa_system_vgpr_workitem_id 0
		.amdhsa_next_free_vgpr 5
		.amdhsa_next_free_sgpr 16
		.amdhsa_reserve_vcc 1
		.amdhsa_float_round_mode_32 0
		.amdhsa_float_round_mode_16_64 0
		.amdhsa_float_denorm_mode_32 3
		.amdhsa_float_denorm_mode_16_64 3
		.amdhsa_dx10_clamp 1
		.amdhsa_ieee_mode 1
		.amdhsa_fp16_overflow 0
		.amdhsa_workgroup_processor_mode 1
		.amdhsa_memory_ordered 1
		.amdhsa_forward_progress 0
		.amdhsa_shared_vgpr_count 0
		.amdhsa_exception_fp_ieee_invalid_op 0
		.amdhsa_exception_fp_denorm_src 0
		.amdhsa_exception_fp_ieee_div_zero 0
		.amdhsa_exception_fp_ieee_overflow 0
		.amdhsa_exception_fp_ieee_underflow 0
		.amdhsa_exception_fp_ieee_inexact 0
		.amdhsa_exception_int_div_zero 0
	.end_amdhsa_kernel
	.section	.text._Z26warp_inclusive_scan_kernelI6__halfLj32ELj2EENSt9enable_ifIXsr10test_utilsE35device_test_enabled_for_warp_size_vIXT1_EEEvE4typeEPT_S5_,"axG",@progbits,_Z26warp_inclusive_scan_kernelI6__halfLj32ELj2EENSt9enable_ifIXsr10test_utilsE35device_test_enabled_for_warp_size_vIXT1_EEEvE4typeEPT_S5_,comdat
.Lfunc_end36:
	.size	_Z26warp_inclusive_scan_kernelI6__halfLj32ELj2EENSt9enable_ifIXsr10test_utilsE35device_test_enabled_for_warp_size_vIXT1_EEEvE4typeEPT_S5_, .Lfunc_end36-_Z26warp_inclusive_scan_kernelI6__halfLj32ELj2EENSt9enable_ifIXsr10test_utilsE35device_test_enabled_for_warp_size_vIXT1_EEEvE4typeEPT_S5_
                                        ; -- End function
	.section	.AMDGPU.csdata,"",@progbits
; Kernel info:
; codeLenInByte = 164
; NumSgprs: 18
; NumVgprs: 5
; ScratchSize: 0
; MemoryBound: 0
; FloatMode: 240
; IeeeMode: 1
; LDSByteSize: 0 bytes/workgroup (compile time only)
; SGPRBlocks: 2
; VGPRBlocks: 0
; NumSGPRsForWavesPerEU: 18
; NumVGPRsForWavesPerEU: 5
; Occupancy: 16
; WaveLimiterHint : 0
; COMPUTE_PGM_RSRC2:SCRATCH_EN: 0
; COMPUTE_PGM_RSRC2:USER_SGPR: 15
; COMPUTE_PGM_RSRC2:TRAP_HANDLER: 0
; COMPUTE_PGM_RSRC2:TGID_X_EN: 1
; COMPUTE_PGM_RSRC2:TGID_Y_EN: 0
; COMPUTE_PGM_RSRC2:TGID_Z_EN: 0
; COMPUTE_PGM_RSRC2:TIDIG_COMP_CNT: 0
	.section	.text._Z26warp_inclusive_scan_kernelI6__halfLj64ELj2EENSt9enable_ifIXsr10test_utilsE35device_test_enabled_for_warp_size_vIXT1_EEEvE4typeEPT_S5_,"axG",@progbits,_Z26warp_inclusive_scan_kernelI6__halfLj64ELj2EENSt9enable_ifIXsr10test_utilsE35device_test_enabled_for_warp_size_vIXT1_EEEvE4typeEPT_S5_,comdat
	.protected	_Z26warp_inclusive_scan_kernelI6__halfLj64ELj2EENSt9enable_ifIXsr10test_utilsE35device_test_enabled_for_warp_size_vIXT1_EEEvE4typeEPT_S5_ ; -- Begin function _Z26warp_inclusive_scan_kernelI6__halfLj64ELj2EENSt9enable_ifIXsr10test_utilsE35device_test_enabled_for_warp_size_vIXT1_EEEvE4typeEPT_S5_
	.globl	_Z26warp_inclusive_scan_kernelI6__halfLj64ELj2EENSt9enable_ifIXsr10test_utilsE35device_test_enabled_for_warp_size_vIXT1_EEEvE4typeEPT_S5_
	.p2align	8
	.type	_Z26warp_inclusive_scan_kernelI6__halfLj64ELj2EENSt9enable_ifIXsr10test_utilsE35device_test_enabled_for_warp_size_vIXT1_EEEvE4typeEPT_S5_,@function
_Z26warp_inclusive_scan_kernelI6__halfLj64ELj2EENSt9enable_ifIXsr10test_utilsE35device_test_enabled_for_warp_size_vIXT1_EEEvE4typeEPT_S5_: ; @_Z26warp_inclusive_scan_kernelI6__halfLj64ELj2EENSt9enable_ifIXsr10test_utilsE35device_test_enabled_for_warp_size_vIXT1_EEEvE4typeEPT_S5_
; %bb.0:
	s_clause 0x1
	s_load_b32 s4, s[0:1], 0x1c
	s_load_b128 s[0:3], s[0:1], 0x0
	v_mbcnt_lo_u32_b32 v4, -1, 0
	s_delay_alu instid0(VALU_DEP_1) | instskip(SKIP_2) | instid1(SALU_CYCLE_1)
	v_and_b32_e32 v4, 1, v4
	s_waitcnt lgkmcnt(0)
	s_and_b32 s4, s4, 0xffff
	v_mad_u64_u32 v[1:2], null, s15, s4, v[0:1]
	v_mov_b32_e32 v2, 0
	s_delay_alu instid0(VALU_DEP_1) | instskip(NEXT) | instid1(VALU_DEP_1)
	v_lshlrev_b64 v[0:1], 1, v[1:2]
	v_add_co_u32 v2, vcc_lo, s0, v0
	s_delay_alu instid0(VALU_DEP_2) | instskip(SKIP_4) | instid1(VALU_DEP_1)
	v_add_co_ci_u32_e32 v3, vcc_lo, s1, v1, vcc_lo
	v_cmp_eq_u32_e32 vcc_lo, 0, v4
	global_load_u16 v2, v[2:3], off
	s_waitcnt vmcnt(0)
	v_and_b32_e32 v3, 0xffff, v2
	v_mov_b32_dpp v3, v3 row_shr:1 row_mask:0xf bank_mask:0xf
	s_delay_alu instid0(VALU_DEP_1) | instskip(NEXT) | instid1(VALU_DEP_1)
	v_add_f16_e32 v3, v2, v3
	v_cndmask_b32_e32 v2, v3, v2, vcc_lo
	v_add_co_u32 v0, vcc_lo, s2, v0
	v_add_co_ci_u32_e32 v1, vcc_lo, s3, v1, vcc_lo
	global_store_b16 v[0:1], v2, off
	s_nop 0
	s_sendmsg sendmsg(MSG_DEALLOC_VGPRS)
	s_endpgm
	.section	.rodata,"a",@progbits
	.p2align	6, 0x0
	.amdhsa_kernel _Z26warp_inclusive_scan_kernelI6__halfLj64ELj2EENSt9enable_ifIXsr10test_utilsE35device_test_enabled_for_warp_size_vIXT1_EEEvE4typeEPT_S5_
		.amdhsa_group_segment_fixed_size 0
		.amdhsa_private_segment_fixed_size 0
		.amdhsa_kernarg_size 272
		.amdhsa_user_sgpr_count 15
		.amdhsa_user_sgpr_dispatch_ptr 0
		.amdhsa_user_sgpr_queue_ptr 0
		.amdhsa_user_sgpr_kernarg_segment_ptr 1
		.amdhsa_user_sgpr_dispatch_id 0
		.amdhsa_user_sgpr_private_segment_size 0
		.amdhsa_wavefront_size32 1
		.amdhsa_uses_dynamic_stack 0
		.amdhsa_enable_private_segment 0
		.amdhsa_system_sgpr_workgroup_id_x 1
		.amdhsa_system_sgpr_workgroup_id_y 0
		.amdhsa_system_sgpr_workgroup_id_z 0
		.amdhsa_system_sgpr_workgroup_info 0
		.amdhsa_system_vgpr_workitem_id 0
		.amdhsa_next_free_vgpr 5
		.amdhsa_next_free_sgpr 16
		.amdhsa_reserve_vcc 1
		.amdhsa_float_round_mode_32 0
		.amdhsa_float_round_mode_16_64 0
		.amdhsa_float_denorm_mode_32 3
		.amdhsa_float_denorm_mode_16_64 3
		.amdhsa_dx10_clamp 1
		.amdhsa_ieee_mode 1
		.amdhsa_fp16_overflow 0
		.amdhsa_workgroup_processor_mode 1
		.amdhsa_memory_ordered 1
		.amdhsa_forward_progress 0
		.amdhsa_shared_vgpr_count 0
		.amdhsa_exception_fp_ieee_invalid_op 0
		.amdhsa_exception_fp_denorm_src 0
		.amdhsa_exception_fp_ieee_div_zero 0
		.amdhsa_exception_fp_ieee_overflow 0
		.amdhsa_exception_fp_ieee_underflow 0
		.amdhsa_exception_fp_ieee_inexact 0
		.amdhsa_exception_int_div_zero 0
	.end_amdhsa_kernel
	.section	.text._Z26warp_inclusive_scan_kernelI6__halfLj64ELj2EENSt9enable_ifIXsr10test_utilsE35device_test_enabled_for_warp_size_vIXT1_EEEvE4typeEPT_S5_,"axG",@progbits,_Z26warp_inclusive_scan_kernelI6__halfLj64ELj2EENSt9enable_ifIXsr10test_utilsE35device_test_enabled_for_warp_size_vIXT1_EEEvE4typeEPT_S5_,comdat
.Lfunc_end37:
	.size	_Z26warp_inclusive_scan_kernelI6__halfLj64ELj2EENSt9enable_ifIXsr10test_utilsE35device_test_enabled_for_warp_size_vIXT1_EEEvE4typeEPT_S5_, .Lfunc_end37-_Z26warp_inclusive_scan_kernelI6__halfLj64ELj2EENSt9enable_ifIXsr10test_utilsE35device_test_enabled_for_warp_size_vIXT1_EEEvE4typeEPT_S5_
                                        ; -- End function
	.section	.AMDGPU.csdata,"",@progbits
; Kernel info:
; codeLenInByte = 164
; NumSgprs: 18
; NumVgprs: 5
; ScratchSize: 0
; MemoryBound: 0
; FloatMode: 240
; IeeeMode: 1
; LDSByteSize: 0 bytes/workgroup (compile time only)
; SGPRBlocks: 2
; VGPRBlocks: 0
; NumSGPRsForWavesPerEU: 18
; NumVGPRsForWavesPerEU: 5
; Occupancy: 16
; WaveLimiterHint : 0
; COMPUTE_PGM_RSRC2:SCRATCH_EN: 0
; COMPUTE_PGM_RSRC2:USER_SGPR: 15
; COMPUTE_PGM_RSRC2:TRAP_HANDLER: 0
; COMPUTE_PGM_RSRC2:TGID_X_EN: 1
; COMPUTE_PGM_RSRC2:TGID_Y_EN: 0
; COMPUTE_PGM_RSRC2:TGID_Z_EN: 0
; COMPUTE_PGM_RSRC2:TIDIG_COMP_CNT: 0
	.section	.text._Z26warp_inclusive_scan_kernelIfLj256ELj64EENSt9enable_ifIXntsr10test_utilsE35device_test_enabled_for_warp_size_vIXT1_EEEvE4typeEPT_S4_,"axG",@progbits,_Z26warp_inclusive_scan_kernelIfLj256ELj64EENSt9enable_ifIXntsr10test_utilsE35device_test_enabled_for_warp_size_vIXT1_EEEvE4typeEPT_S4_,comdat
	.protected	_Z26warp_inclusive_scan_kernelIfLj256ELj64EENSt9enable_ifIXntsr10test_utilsE35device_test_enabled_for_warp_size_vIXT1_EEEvE4typeEPT_S4_ ; -- Begin function _Z26warp_inclusive_scan_kernelIfLj256ELj64EENSt9enable_ifIXntsr10test_utilsE35device_test_enabled_for_warp_size_vIXT1_EEEvE4typeEPT_S4_
	.globl	_Z26warp_inclusive_scan_kernelIfLj256ELj64EENSt9enable_ifIXntsr10test_utilsE35device_test_enabled_for_warp_size_vIXT1_EEEvE4typeEPT_S4_
	.p2align	8
	.type	_Z26warp_inclusive_scan_kernelIfLj256ELj64EENSt9enable_ifIXntsr10test_utilsE35device_test_enabled_for_warp_size_vIXT1_EEEvE4typeEPT_S4_,@function
_Z26warp_inclusive_scan_kernelIfLj256ELj64EENSt9enable_ifIXntsr10test_utilsE35device_test_enabled_for_warp_size_vIXT1_EEEvE4typeEPT_S4_: ; @_Z26warp_inclusive_scan_kernelIfLj256ELj64EENSt9enable_ifIXntsr10test_utilsE35device_test_enabled_for_warp_size_vIXT1_EEEvE4typeEPT_S4_
; %bb.0:
	s_endpgm
	.section	.rodata,"a",@progbits
	.p2align	6, 0x0
	.amdhsa_kernel _Z26warp_inclusive_scan_kernelIfLj256ELj64EENSt9enable_ifIXntsr10test_utilsE35device_test_enabled_for_warp_size_vIXT1_EEEvE4typeEPT_S4_
		.amdhsa_group_segment_fixed_size 0
		.amdhsa_private_segment_fixed_size 0
		.amdhsa_kernarg_size 16
		.amdhsa_user_sgpr_count 15
		.amdhsa_user_sgpr_dispatch_ptr 0
		.amdhsa_user_sgpr_queue_ptr 0
		.amdhsa_user_sgpr_kernarg_segment_ptr 1
		.amdhsa_user_sgpr_dispatch_id 0
		.amdhsa_user_sgpr_private_segment_size 0
		.amdhsa_wavefront_size32 1
		.amdhsa_uses_dynamic_stack 0
		.amdhsa_enable_private_segment 0
		.amdhsa_system_sgpr_workgroup_id_x 1
		.amdhsa_system_sgpr_workgroup_id_y 0
		.amdhsa_system_sgpr_workgroup_id_z 0
		.amdhsa_system_sgpr_workgroup_info 0
		.amdhsa_system_vgpr_workitem_id 0
		.amdhsa_next_free_vgpr 1
		.amdhsa_next_free_sgpr 1
		.amdhsa_reserve_vcc 0
		.amdhsa_float_round_mode_32 0
		.amdhsa_float_round_mode_16_64 0
		.amdhsa_float_denorm_mode_32 3
		.amdhsa_float_denorm_mode_16_64 3
		.amdhsa_dx10_clamp 1
		.amdhsa_ieee_mode 1
		.amdhsa_fp16_overflow 0
		.amdhsa_workgroup_processor_mode 1
		.amdhsa_memory_ordered 1
		.amdhsa_forward_progress 0
		.amdhsa_shared_vgpr_count 0
		.amdhsa_exception_fp_ieee_invalid_op 0
		.amdhsa_exception_fp_denorm_src 0
		.amdhsa_exception_fp_ieee_div_zero 0
		.amdhsa_exception_fp_ieee_overflow 0
		.amdhsa_exception_fp_ieee_underflow 0
		.amdhsa_exception_fp_ieee_inexact 0
		.amdhsa_exception_int_div_zero 0
	.end_amdhsa_kernel
	.section	.text._Z26warp_inclusive_scan_kernelIfLj256ELj64EENSt9enable_ifIXntsr10test_utilsE35device_test_enabled_for_warp_size_vIXT1_EEEvE4typeEPT_S4_,"axG",@progbits,_Z26warp_inclusive_scan_kernelIfLj256ELj64EENSt9enable_ifIXntsr10test_utilsE35device_test_enabled_for_warp_size_vIXT1_EEEvE4typeEPT_S4_,comdat
.Lfunc_end38:
	.size	_Z26warp_inclusive_scan_kernelIfLj256ELj64EENSt9enable_ifIXntsr10test_utilsE35device_test_enabled_for_warp_size_vIXT1_EEEvE4typeEPT_S4_, .Lfunc_end38-_Z26warp_inclusive_scan_kernelIfLj256ELj64EENSt9enable_ifIXntsr10test_utilsE35device_test_enabled_for_warp_size_vIXT1_EEEvE4typeEPT_S4_
                                        ; -- End function
	.section	.AMDGPU.csdata,"",@progbits
; Kernel info:
; codeLenInByte = 4
; NumSgprs: 0
; NumVgprs: 0
; ScratchSize: 0
; MemoryBound: 0
; FloatMode: 240
; IeeeMode: 1
; LDSByteSize: 0 bytes/workgroup (compile time only)
; SGPRBlocks: 0
; VGPRBlocks: 0
; NumSGPRsForWavesPerEU: 1
; NumVGPRsForWavesPerEU: 1
; Occupancy: 16
; WaveLimiterHint : 0
; COMPUTE_PGM_RSRC2:SCRATCH_EN: 0
; COMPUTE_PGM_RSRC2:USER_SGPR: 15
; COMPUTE_PGM_RSRC2:TRAP_HANDLER: 0
; COMPUTE_PGM_RSRC2:TGID_X_EN: 1
; COMPUTE_PGM_RSRC2:TGID_Y_EN: 0
; COMPUTE_PGM_RSRC2:TGID_Z_EN: 0
; COMPUTE_PGM_RSRC2:TIDIG_COMP_CNT: 0
	.section	.text._Z26warp_inclusive_scan_kernelIfLj128ELj32EENSt9enable_ifIXsr10test_utilsE35device_test_enabled_for_warp_size_vIXT1_EEEvE4typeEPT_S4_,"axG",@progbits,_Z26warp_inclusive_scan_kernelIfLj128ELj32EENSt9enable_ifIXsr10test_utilsE35device_test_enabled_for_warp_size_vIXT1_EEEvE4typeEPT_S4_,comdat
	.protected	_Z26warp_inclusive_scan_kernelIfLj128ELj32EENSt9enable_ifIXsr10test_utilsE35device_test_enabled_for_warp_size_vIXT1_EEEvE4typeEPT_S4_ ; -- Begin function _Z26warp_inclusive_scan_kernelIfLj128ELj32EENSt9enable_ifIXsr10test_utilsE35device_test_enabled_for_warp_size_vIXT1_EEEvE4typeEPT_S4_
	.globl	_Z26warp_inclusive_scan_kernelIfLj128ELj32EENSt9enable_ifIXsr10test_utilsE35device_test_enabled_for_warp_size_vIXT1_EEEvE4typeEPT_S4_
	.p2align	8
	.type	_Z26warp_inclusive_scan_kernelIfLj128ELj32EENSt9enable_ifIXsr10test_utilsE35device_test_enabled_for_warp_size_vIXT1_EEEvE4typeEPT_S4_,@function
_Z26warp_inclusive_scan_kernelIfLj128ELj32EENSt9enable_ifIXsr10test_utilsE35device_test_enabled_for_warp_size_vIXT1_EEEvE4typeEPT_S4_: ; @_Z26warp_inclusive_scan_kernelIfLj128ELj32EENSt9enable_ifIXsr10test_utilsE35device_test_enabled_for_warp_size_vIXT1_EEEvE4typeEPT_S4_
; %bb.0:
	s_clause 0x1
	s_load_b32 s4, s[0:1], 0x1c
	s_load_b128 s[0:3], s[0:1], 0x0
	s_waitcnt lgkmcnt(0)
	s_and_b32 s4, s4, 0xffff
	s_delay_alu instid0(SALU_CYCLE_1) | instskip(SKIP_1) | instid1(VALU_DEP_1)
	v_mad_u64_u32 v[1:2], null, s15, s4, v[0:1]
	v_mov_b32_e32 v2, 0
	v_lshlrev_b64 v[0:1], 2, v[1:2]
	s_delay_alu instid0(VALU_DEP_1) | instskip(NEXT) | instid1(VALU_DEP_2)
	v_add_co_u32 v2, vcc_lo, s0, v0
	v_add_co_ci_u32_e32 v3, vcc_lo, s1, v1, vcc_lo
	global_load_b32 v2, v[2:3], off
	v_mbcnt_lo_u32_b32 v3, -1, 0
	s_delay_alu instid0(VALU_DEP_1) | instskip(SKIP_1) | instid1(VALU_DEP_2)
	v_and_b32_e32 v5, 15, v3
	v_and_b32_e32 v3, 16, v3
	v_cmp_eq_u32_e32 vcc_lo, 0, v5
	s_waitcnt vmcnt(0)
	v_mov_b32_dpp v4, v2 row_shr:1 row_mask:0xf bank_mask:0xf
	s_delay_alu instid0(VALU_DEP_1) | instskip(NEXT) | instid1(VALU_DEP_1)
	v_add_f32_e32 v4, v2, v4
	v_cndmask_b32_e32 v2, v4, v2, vcc_lo
	v_cmp_lt_u32_e32 vcc_lo, 1, v5
	s_delay_alu instid0(VALU_DEP_2) | instskip(NEXT) | instid1(VALU_DEP_1)
	v_mov_b32_dpp v4, v2 row_shr:2 row_mask:0xf bank_mask:0xf
	v_add_f32_e32 v4, v2, v4
	s_delay_alu instid0(VALU_DEP_1) | instskip(SKIP_1) | instid1(VALU_DEP_2)
	v_cndmask_b32_e32 v2, v2, v4, vcc_lo
	v_cmp_lt_u32_e32 vcc_lo, 3, v5
	v_mov_b32_dpp v4, v2 row_shr:4 row_mask:0xf bank_mask:0xf
	s_delay_alu instid0(VALU_DEP_1) | instskip(NEXT) | instid1(VALU_DEP_1)
	v_add_f32_e32 v4, v2, v4
	v_cndmask_b32_e32 v2, v2, v4, vcc_lo
	v_cmp_lt_u32_e32 vcc_lo, 7, v5
	s_delay_alu instid0(VALU_DEP_2) | instskip(NEXT) | instid1(VALU_DEP_1)
	v_mov_b32_dpp v4, v2 row_shr:8 row_mask:0xf bank_mask:0xf
	v_add_f32_e32 v4, v2, v4
	s_delay_alu instid0(VALU_DEP_1) | instskip(SKIP_4) | instid1(VALU_DEP_1)
	v_cndmask_b32_e32 v2, v2, v4, vcc_lo
	v_cmp_eq_u32_e32 vcc_lo, 0, v3
	ds_swizzle_b32 v4, v2 offset:swizzle(BROADCAST,32,15)
	s_waitcnt lgkmcnt(0)
	v_add_f32_e32 v4, v2, v4
	v_cndmask_b32_e32 v2, v4, v2, vcc_lo
	v_add_co_u32 v0, vcc_lo, s2, v0
	v_add_co_ci_u32_e32 v1, vcc_lo, s3, v1, vcc_lo
	global_store_b32 v[0:1], v2, off
	s_nop 0
	s_sendmsg sendmsg(MSG_DEALLOC_VGPRS)
	s_endpgm
	.section	.rodata,"a",@progbits
	.p2align	6, 0x0
	.amdhsa_kernel _Z26warp_inclusive_scan_kernelIfLj128ELj32EENSt9enable_ifIXsr10test_utilsE35device_test_enabled_for_warp_size_vIXT1_EEEvE4typeEPT_S4_
		.amdhsa_group_segment_fixed_size 0
		.amdhsa_private_segment_fixed_size 0
		.amdhsa_kernarg_size 272
		.amdhsa_user_sgpr_count 15
		.amdhsa_user_sgpr_dispatch_ptr 0
		.amdhsa_user_sgpr_queue_ptr 0
		.amdhsa_user_sgpr_kernarg_segment_ptr 1
		.amdhsa_user_sgpr_dispatch_id 0
		.amdhsa_user_sgpr_private_segment_size 0
		.amdhsa_wavefront_size32 1
		.amdhsa_uses_dynamic_stack 0
		.amdhsa_enable_private_segment 0
		.amdhsa_system_sgpr_workgroup_id_x 1
		.amdhsa_system_sgpr_workgroup_id_y 0
		.amdhsa_system_sgpr_workgroup_id_z 0
		.amdhsa_system_sgpr_workgroup_info 0
		.amdhsa_system_vgpr_workitem_id 0
		.amdhsa_next_free_vgpr 6
		.amdhsa_next_free_sgpr 16
		.amdhsa_reserve_vcc 1
		.amdhsa_float_round_mode_32 0
		.amdhsa_float_round_mode_16_64 0
		.amdhsa_float_denorm_mode_32 3
		.amdhsa_float_denorm_mode_16_64 3
		.amdhsa_dx10_clamp 1
		.amdhsa_ieee_mode 1
		.amdhsa_fp16_overflow 0
		.amdhsa_workgroup_processor_mode 1
		.amdhsa_memory_ordered 1
		.amdhsa_forward_progress 0
		.amdhsa_shared_vgpr_count 0
		.amdhsa_exception_fp_ieee_invalid_op 0
		.amdhsa_exception_fp_denorm_src 0
		.amdhsa_exception_fp_ieee_div_zero 0
		.amdhsa_exception_fp_ieee_overflow 0
		.amdhsa_exception_fp_ieee_underflow 0
		.amdhsa_exception_fp_ieee_inexact 0
		.amdhsa_exception_int_div_zero 0
	.end_amdhsa_kernel
	.section	.text._Z26warp_inclusive_scan_kernelIfLj128ELj32EENSt9enable_ifIXsr10test_utilsE35device_test_enabled_for_warp_size_vIXT1_EEEvE4typeEPT_S4_,"axG",@progbits,_Z26warp_inclusive_scan_kernelIfLj128ELj32EENSt9enable_ifIXsr10test_utilsE35device_test_enabled_for_warp_size_vIXT1_EEEvE4typeEPT_S4_,comdat
.Lfunc_end39:
	.size	_Z26warp_inclusive_scan_kernelIfLj128ELj32EENSt9enable_ifIXsr10test_utilsE35device_test_enabled_for_warp_size_vIXT1_EEEvE4typeEPT_S4_, .Lfunc_end39-_Z26warp_inclusive_scan_kernelIfLj128ELj32EENSt9enable_ifIXsr10test_utilsE35device_test_enabled_for_warp_size_vIXT1_EEEvE4typeEPT_S4_
                                        ; -- End function
	.section	.AMDGPU.csdata,"",@progbits
; Kernel info:
; codeLenInByte = 264
; NumSgprs: 18
; NumVgprs: 6
; ScratchSize: 0
; MemoryBound: 0
; FloatMode: 240
; IeeeMode: 1
; LDSByteSize: 0 bytes/workgroup (compile time only)
; SGPRBlocks: 2
; VGPRBlocks: 0
; NumSGPRsForWavesPerEU: 18
; NumVGPRsForWavesPerEU: 6
; Occupancy: 16
; WaveLimiterHint : 0
; COMPUTE_PGM_RSRC2:SCRATCH_EN: 0
; COMPUTE_PGM_RSRC2:USER_SGPR: 15
; COMPUTE_PGM_RSRC2:TRAP_HANDLER: 0
; COMPUTE_PGM_RSRC2:TGID_X_EN: 1
; COMPUTE_PGM_RSRC2:TGID_Y_EN: 0
; COMPUTE_PGM_RSRC2:TGID_Z_EN: 0
; COMPUTE_PGM_RSRC2:TIDIG_COMP_CNT: 0
	.section	.text._Z26warp_inclusive_scan_kernelIfLj64ELj16EENSt9enable_ifIXsr10test_utilsE35device_test_enabled_for_warp_size_vIXT1_EEEvE4typeEPT_S4_,"axG",@progbits,_Z26warp_inclusive_scan_kernelIfLj64ELj16EENSt9enable_ifIXsr10test_utilsE35device_test_enabled_for_warp_size_vIXT1_EEEvE4typeEPT_S4_,comdat
	.protected	_Z26warp_inclusive_scan_kernelIfLj64ELj16EENSt9enable_ifIXsr10test_utilsE35device_test_enabled_for_warp_size_vIXT1_EEEvE4typeEPT_S4_ ; -- Begin function _Z26warp_inclusive_scan_kernelIfLj64ELj16EENSt9enable_ifIXsr10test_utilsE35device_test_enabled_for_warp_size_vIXT1_EEEvE4typeEPT_S4_
	.globl	_Z26warp_inclusive_scan_kernelIfLj64ELj16EENSt9enable_ifIXsr10test_utilsE35device_test_enabled_for_warp_size_vIXT1_EEEvE4typeEPT_S4_
	.p2align	8
	.type	_Z26warp_inclusive_scan_kernelIfLj64ELj16EENSt9enable_ifIXsr10test_utilsE35device_test_enabled_for_warp_size_vIXT1_EEEvE4typeEPT_S4_,@function
_Z26warp_inclusive_scan_kernelIfLj64ELj16EENSt9enable_ifIXsr10test_utilsE35device_test_enabled_for_warp_size_vIXT1_EEEvE4typeEPT_S4_: ; @_Z26warp_inclusive_scan_kernelIfLj64ELj16EENSt9enable_ifIXsr10test_utilsE35device_test_enabled_for_warp_size_vIXT1_EEEvE4typeEPT_S4_
; %bb.0:
	s_clause 0x1
	s_load_b32 s4, s[0:1], 0x1c
	s_load_b128 s[0:3], s[0:1], 0x0
	s_waitcnt lgkmcnt(0)
	s_and_b32 s4, s4, 0xffff
	s_delay_alu instid0(SALU_CYCLE_1) | instskip(SKIP_1) | instid1(VALU_DEP_1)
	v_mad_u64_u32 v[1:2], null, s15, s4, v[0:1]
	v_mov_b32_e32 v2, 0
	v_lshlrev_b64 v[0:1], 2, v[1:2]
	s_delay_alu instid0(VALU_DEP_1) | instskip(NEXT) | instid1(VALU_DEP_2)
	v_add_co_u32 v2, vcc_lo, s0, v0
	v_add_co_ci_u32_e32 v3, vcc_lo, s1, v1, vcc_lo
	global_load_b32 v2, v[2:3], off
	v_mbcnt_lo_u32_b32 v3, -1, 0
	s_delay_alu instid0(VALU_DEP_1) | instskip(NEXT) | instid1(VALU_DEP_1)
	v_and_b32_e32 v3, 15, v3
	v_cmp_eq_u32_e32 vcc_lo, 0, v3
	s_waitcnt vmcnt(0)
	v_mov_b32_dpp v4, v2 row_shr:1 row_mask:0xf bank_mask:0xf
	s_delay_alu instid0(VALU_DEP_1) | instskip(NEXT) | instid1(VALU_DEP_1)
	v_add_f32_e32 v4, v2, v4
	v_cndmask_b32_e32 v2, v4, v2, vcc_lo
	v_cmp_lt_u32_e32 vcc_lo, 1, v3
	s_delay_alu instid0(VALU_DEP_2) | instskip(NEXT) | instid1(VALU_DEP_1)
	v_mov_b32_dpp v4, v2 row_shr:2 row_mask:0xf bank_mask:0xf
	v_add_f32_e32 v4, v2, v4
	s_delay_alu instid0(VALU_DEP_1) | instskip(SKIP_1) | instid1(VALU_DEP_2)
	v_cndmask_b32_e32 v2, v2, v4, vcc_lo
	v_cmp_lt_u32_e32 vcc_lo, 3, v3
	v_mov_b32_dpp v4, v2 row_shr:4 row_mask:0xf bank_mask:0xf
	s_delay_alu instid0(VALU_DEP_1) | instskip(NEXT) | instid1(VALU_DEP_1)
	v_add_f32_e32 v4, v2, v4
	v_cndmask_b32_e32 v2, v2, v4, vcc_lo
	v_cmp_lt_u32_e32 vcc_lo, 7, v3
	s_delay_alu instid0(VALU_DEP_2) | instskip(NEXT) | instid1(VALU_DEP_1)
	v_mov_b32_dpp v4, v2 row_shr:8 row_mask:0xf bank_mask:0xf
	v_add_f32_e32 v4, v2, v4
	s_delay_alu instid0(VALU_DEP_1)
	v_cndmask_b32_e32 v2, v2, v4, vcc_lo
	v_add_co_u32 v0, vcc_lo, s2, v0
	v_add_co_ci_u32_e32 v1, vcc_lo, s3, v1, vcc_lo
	global_store_b32 v[0:1], v2, off
	s_nop 0
	s_sendmsg sendmsg(MSG_DEALLOC_VGPRS)
	s_endpgm
	.section	.rodata,"a",@progbits
	.p2align	6, 0x0
	.amdhsa_kernel _Z26warp_inclusive_scan_kernelIfLj64ELj16EENSt9enable_ifIXsr10test_utilsE35device_test_enabled_for_warp_size_vIXT1_EEEvE4typeEPT_S4_
		.amdhsa_group_segment_fixed_size 0
		.amdhsa_private_segment_fixed_size 0
		.amdhsa_kernarg_size 272
		.amdhsa_user_sgpr_count 15
		.amdhsa_user_sgpr_dispatch_ptr 0
		.amdhsa_user_sgpr_queue_ptr 0
		.amdhsa_user_sgpr_kernarg_segment_ptr 1
		.amdhsa_user_sgpr_dispatch_id 0
		.amdhsa_user_sgpr_private_segment_size 0
		.amdhsa_wavefront_size32 1
		.amdhsa_uses_dynamic_stack 0
		.amdhsa_enable_private_segment 0
		.amdhsa_system_sgpr_workgroup_id_x 1
		.amdhsa_system_sgpr_workgroup_id_y 0
		.amdhsa_system_sgpr_workgroup_id_z 0
		.amdhsa_system_sgpr_workgroup_info 0
		.amdhsa_system_vgpr_workitem_id 0
		.amdhsa_next_free_vgpr 5
		.amdhsa_next_free_sgpr 16
		.amdhsa_reserve_vcc 1
		.amdhsa_float_round_mode_32 0
		.amdhsa_float_round_mode_16_64 0
		.amdhsa_float_denorm_mode_32 3
		.amdhsa_float_denorm_mode_16_64 3
		.amdhsa_dx10_clamp 1
		.amdhsa_ieee_mode 1
		.amdhsa_fp16_overflow 0
		.amdhsa_workgroup_processor_mode 1
		.amdhsa_memory_ordered 1
		.amdhsa_forward_progress 0
		.amdhsa_shared_vgpr_count 0
		.amdhsa_exception_fp_ieee_invalid_op 0
		.amdhsa_exception_fp_denorm_src 0
		.amdhsa_exception_fp_ieee_div_zero 0
		.amdhsa_exception_fp_ieee_overflow 0
		.amdhsa_exception_fp_ieee_underflow 0
		.amdhsa_exception_fp_ieee_inexact 0
		.amdhsa_exception_int_div_zero 0
	.end_amdhsa_kernel
	.section	.text._Z26warp_inclusive_scan_kernelIfLj64ELj16EENSt9enable_ifIXsr10test_utilsE35device_test_enabled_for_warp_size_vIXT1_EEEvE4typeEPT_S4_,"axG",@progbits,_Z26warp_inclusive_scan_kernelIfLj64ELj16EENSt9enable_ifIXsr10test_utilsE35device_test_enabled_for_warp_size_vIXT1_EEEvE4typeEPT_S4_,comdat
.Lfunc_end40:
	.size	_Z26warp_inclusive_scan_kernelIfLj64ELj16EENSt9enable_ifIXsr10test_utilsE35device_test_enabled_for_warp_size_vIXT1_EEEvE4typeEPT_S4_, .Lfunc_end40-_Z26warp_inclusive_scan_kernelIfLj64ELj16EENSt9enable_ifIXsr10test_utilsE35device_test_enabled_for_warp_size_vIXT1_EEEvE4typeEPT_S4_
                                        ; -- End function
	.section	.AMDGPU.csdata,"",@progbits
; Kernel info:
; codeLenInByte = 236
; NumSgprs: 18
; NumVgprs: 5
; ScratchSize: 0
; MemoryBound: 0
; FloatMode: 240
; IeeeMode: 1
; LDSByteSize: 0 bytes/workgroup (compile time only)
; SGPRBlocks: 2
; VGPRBlocks: 0
; NumSGPRsForWavesPerEU: 18
; NumVGPRsForWavesPerEU: 5
; Occupancy: 16
; WaveLimiterHint : 0
; COMPUTE_PGM_RSRC2:SCRATCH_EN: 0
; COMPUTE_PGM_RSRC2:USER_SGPR: 15
; COMPUTE_PGM_RSRC2:TRAP_HANDLER: 0
; COMPUTE_PGM_RSRC2:TGID_X_EN: 1
; COMPUTE_PGM_RSRC2:TGID_Y_EN: 0
; COMPUTE_PGM_RSRC2:TGID_Z_EN: 0
; COMPUTE_PGM_RSRC2:TIDIG_COMP_CNT: 0
	.section	.text._Z26warp_inclusive_scan_kernelIfLj32ELj8EENSt9enable_ifIXsr10test_utilsE35device_test_enabled_for_warp_size_vIXT1_EEEvE4typeEPT_S4_,"axG",@progbits,_Z26warp_inclusive_scan_kernelIfLj32ELj8EENSt9enable_ifIXsr10test_utilsE35device_test_enabled_for_warp_size_vIXT1_EEEvE4typeEPT_S4_,comdat
	.protected	_Z26warp_inclusive_scan_kernelIfLj32ELj8EENSt9enable_ifIXsr10test_utilsE35device_test_enabled_for_warp_size_vIXT1_EEEvE4typeEPT_S4_ ; -- Begin function _Z26warp_inclusive_scan_kernelIfLj32ELj8EENSt9enable_ifIXsr10test_utilsE35device_test_enabled_for_warp_size_vIXT1_EEEvE4typeEPT_S4_
	.globl	_Z26warp_inclusive_scan_kernelIfLj32ELj8EENSt9enable_ifIXsr10test_utilsE35device_test_enabled_for_warp_size_vIXT1_EEEvE4typeEPT_S4_
	.p2align	8
	.type	_Z26warp_inclusive_scan_kernelIfLj32ELj8EENSt9enable_ifIXsr10test_utilsE35device_test_enabled_for_warp_size_vIXT1_EEEvE4typeEPT_S4_,@function
_Z26warp_inclusive_scan_kernelIfLj32ELj8EENSt9enable_ifIXsr10test_utilsE35device_test_enabled_for_warp_size_vIXT1_EEEvE4typeEPT_S4_: ; @_Z26warp_inclusive_scan_kernelIfLj32ELj8EENSt9enable_ifIXsr10test_utilsE35device_test_enabled_for_warp_size_vIXT1_EEEvE4typeEPT_S4_
; %bb.0:
	s_clause 0x1
	s_load_b32 s4, s[0:1], 0x1c
	s_load_b128 s[0:3], s[0:1], 0x0
	s_waitcnt lgkmcnt(0)
	s_and_b32 s4, s4, 0xffff
	s_delay_alu instid0(SALU_CYCLE_1) | instskip(SKIP_1) | instid1(VALU_DEP_1)
	v_mad_u64_u32 v[1:2], null, s15, s4, v[0:1]
	v_mov_b32_e32 v2, 0
	v_lshlrev_b64 v[0:1], 2, v[1:2]
	s_delay_alu instid0(VALU_DEP_1) | instskip(NEXT) | instid1(VALU_DEP_2)
	v_add_co_u32 v2, vcc_lo, s0, v0
	v_add_co_ci_u32_e32 v3, vcc_lo, s1, v1, vcc_lo
	global_load_b32 v2, v[2:3], off
	v_mbcnt_lo_u32_b32 v3, -1, 0
	s_delay_alu instid0(VALU_DEP_1) | instskip(NEXT) | instid1(VALU_DEP_1)
	v_and_b32_e32 v3, 7, v3
	v_cmp_eq_u32_e32 vcc_lo, 0, v3
	s_waitcnt vmcnt(0)
	v_mov_b32_dpp v4, v2 row_shr:1 row_mask:0xf bank_mask:0xf
	s_delay_alu instid0(VALU_DEP_1) | instskip(NEXT) | instid1(VALU_DEP_1)
	v_add_f32_e32 v4, v2, v4
	v_cndmask_b32_e32 v2, v4, v2, vcc_lo
	v_cmp_lt_u32_e32 vcc_lo, 1, v3
	s_delay_alu instid0(VALU_DEP_2) | instskip(NEXT) | instid1(VALU_DEP_1)
	v_mov_b32_dpp v4, v2 row_shr:2 row_mask:0xf bank_mask:0xf
	v_add_f32_e32 v4, v2, v4
	s_delay_alu instid0(VALU_DEP_1) | instskip(SKIP_1) | instid1(VALU_DEP_2)
	v_cndmask_b32_e32 v2, v2, v4, vcc_lo
	v_cmp_lt_u32_e32 vcc_lo, 3, v3
	v_mov_b32_dpp v4, v2 row_shr:4 row_mask:0xf bank_mask:0xf
	s_delay_alu instid0(VALU_DEP_1) | instskip(NEXT) | instid1(VALU_DEP_1)
	v_add_f32_e32 v4, v2, v4
	v_cndmask_b32_e32 v2, v2, v4, vcc_lo
	v_add_co_u32 v0, vcc_lo, s2, v0
	v_add_co_ci_u32_e32 v1, vcc_lo, s3, v1, vcc_lo
	global_store_b32 v[0:1], v2, off
	s_nop 0
	s_sendmsg sendmsg(MSG_DEALLOC_VGPRS)
	s_endpgm
	.section	.rodata,"a",@progbits
	.p2align	6, 0x0
	.amdhsa_kernel _Z26warp_inclusive_scan_kernelIfLj32ELj8EENSt9enable_ifIXsr10test_utilsE35device_test_enabled_for_warp_size_vIXT1_EEEvE4typeEPT_S4_
		.amdhsa_group_segment_fixed_size 0
		.amdhsa_private_segment_fixed_size 0
		.amdhsa_kernarg_size 272
		.amdhsa_user_sgpr_count 15
		.amdhsa_user_sgpr_dispatch_ptr 0
		.amdhsa_user_sgpr_queue_ptr 0
		.amdhsa_user_sgpr_kernarg_segment_ptr 1
		.amdhsa_user_sgpr_dispatch_id 0
		.amdhsa_user_sgpr_private_segment_size 0
		.amdhsa_wavefront_size32 1
		.amdhsa_uses_dynamic_stack 0
		.amdhsa_enable_private_segment 0
		.amdhsa_system_sgpr_workgroup_id_x 1
		.amdhsa_system_sgpr_workgroup_id_y 0
		.amdhsa_system_sgpr_workgroup_id_z 0
		.amdhsa_system_sgpr_workgroup_info 0
		.amdhsa_system_vgpr_workitem_id 0
		.amdhsa_next_free_vgpr 5
		.amdhsa_next_free_sgpr 16
		.amdhsa_reserve_vcc 1
		.amdhsa_float_round_mode_32 0
		.amdhsa_float_round_mode_16_64 0
		.amdhsa_float_denorm_mode_32 3
		.amdhsa_float_denorm_mode_16_64 3
		.amdhsa_dx10_clamp 1
		.amdhsa_ieee_mode 1
		.amdhsa_fp16_overflow 0
		.amdhsa_workgroup_processor_mode 1
		.amdhsa_memory_ordered 1
		.amdhsa_forward_progress 0
		.amdhsa_shared_vgpr_count 0
		.amdhsa_exception_fp_ieee_invalid_op 0
		.amdhsa_exception_fp_denorm_src 0
		.amdhsa_exception_fp_ieee_div_zero 0
		.amdhsa_exception_fp_ieee_overflow 0
		.amdhsa_exception_fp_ieee_underflow 0
		.amdhsa_exception_fp_ieee_inexact 0
		.amdhsa_exception_int_div_zero 0
	.end_amdhsa_kernel
	.section	.text._Z26warp_inclusive_scan_kernelIfLj32ELj8EENSt9enable_ifIXsr10test_utilsE35device_test_enabled_for_warp_size_vIXT1_EEEvE4typeEPT_S4_,"axG",@progbits,_Z26warp_inclusive_scan_kernelIfLj32ELj8EENSt9enable_ifIXsr10test_utilsE35device_test_enabled_for_warp_size_vIXT1_EEEvE4typeEPT_S4_,comdat
.Lfunc_end41:
	.size	_Z26warp_inclusive_scan_kernelIfLj32ELj8EENSt9enable_ifIXsr10test_utilsE35device_test_enabled_for_warp_size_vIXT1_EEEvE4typeEPT_S4_, .Lfunc_end41-_Z26warp_inclusive_scan_kernelIfLj32ELj8EENSt9enable_ifIXsr10test_utilsE35device_test_enabled_for_warp_size_vIXT1_EEEvE4typeEPT_S4_
                                        ; -- End function
	.section	.AMDGPU.csdata,"",@progbits
; Kernel info:
; codeLenInByte = 208
; NumSgprs: 18
; NumVgprs: 5
; ScratchSize: 0
; MemoryBound: 0
; FloatMode: 240
; IeeeMode: 1
; LDSByteSize: 0 bytes/workgroup (compile time only)
; SGPRBlocks: 2
; VGPRBlocks: 0
; NumSGPRsForWavesPerEU: 18
; NumVGPRsForWavesPerEU: 5
; Occupancy: 16
; WaveLimiterHint : 0
; COMPUTE_PGM_RSRC2:SCRATCH_EN: 0
; COMPUTE_PGM_RSRC2:USER_SGPR: 15
; COMPUTE_PGM_RSRC2:TRAP_HANDLER: 0
; COMPUTE_PGM_RSRC2:TGID_X_EN: 1
; COMPUTE_PGM_RSRC2:TGID_Y_EN: 0
; COMPUTE_PGM_RSRC2:TGID_Z_EN: 0
; COMPUTE_PGM_RSRC2:TIDIG_COMP_CNT: 0
	.section	.text._Z26warp_inclusive_scan_kernelIfLj64ELj8EENSt9enable_ifIXsr10test_utilsE35device_test_enabled_for_warp_size_vIXT1_EEEvE4typeEPT_S4_,"axG",@progbits,_Z26warp_inclusive_scan_kernelIfLj64ELj8EENSt9enable_ifIXsr10test_utilsE35device_test_enabled_for_warp_size_vIXT1_EEEvE4typeEPT_S4_,comdat
	.protected	_Z26warp_inclusive_scan_kernelIfLj64ELj8EENSt9enable_ifIXsr10test_utilsE35device_test_enabled_for_warp_size_vIXT1_EEEvE4typeEPT_S4_ ; -- Begin function _Z26warp_inclusive_scan_kernelIfLj64ELj8EENSt9enable_ifIXsr10test_utilsE35device_test_enabled_for_warp_size_vIXT1_EEEvE4typeEPT_S4_
	.globl	_Z26warp_inclusive_scan_kernelIfLj64ELj8EENSt9enable_ifIXsr10test_utilsE35device_test_enabled_for_warp_size_vIXT1_EEEvE4typeEPT_S4_
	.p2align	8
	.type	_Z26warp_inclusive_scan_kernelIfLj64ELj8EENSt9enable_ifIXsr10test_utilsE35device_test_enabled_for_warp_size_vIXT1_EEEvE4typeEPT_S4_,@function
_Z26warp_inclusive_scan_kernelIfLj64ELj8EENSt9enable_ifIXsr10test_utilsE35device_test_enabled_for_warp_size_vIXT1_EEEvE4typeEPT_S4_: ; @_Z26warp_inclusive_scan_kernelIfLj64ELj8EENSt9enable_ifIXsr10test_utilsE35device_test_enabled_for_warp_size_vIXT1_EEEvE4typeEPT_S4_
; %bb.0:
	s_clause 0x1
	s_load_b32 s4, s[0:1], 0x1c
	s_load_b128 s[0:3], s[0:1], 0x0
	s_waitcnt lgkmcnt(0)
	s_and_b32 s4, s4, 0xffff
	s_delay_alu instid0(SALU_CYCLE_1) | instskip(SKIP_1) | instid1(VALU_DEP_1)
	v_mad_u64_u32 v[1:2], null, s15, s4, v[0:1]
	v_mov_b32_e32 v2, 0
	v_lshlrev_b64 v[0:1], 2, v[1:2]
	s_delay_alu instid0(VALU_DEP_1) | instskip(NEXT) | instid1(VALU_DEP_2)
	v_add_co_u32 v2, vcc_lo, s0, v0
	v_add_co_ci_u32_e32 v3, vcc_lo, s1, v1, vcc_lo
	global_load_b32 v2, v[2:3], off
	v_mbcnt_lo_u32_b32 v3, -1, 0
	s_delay_alu instid0(VALU_DEP_1) | instskip(NEXT) | instid1(VALU_DEP_1)
	v_and_b32_e32 v3, 7, v3
	v_cmp_eq_u32_e32 vcc_lo, 0, v3
	s_waitcnt vmcnt(0)
	v_mov_b32_dpp v4, v2 row_shr:1 row_mask:0xf bank_mask:0xf
	s_delay_alu instid0(VALU_DEP_1) | instskip(NEXT) | instid1(VALU_DEP_1)
	v_add_f32_e32 v4, v2, v4
	v_cndmask_b32_e32 v2, v4, v2, vcc_lo
	v_cmp_lt_u32_e32 vcc_lo, 1, v3
	s_delay_alu instid0(VALU_DEP_2) | instskip(NEXT) | instid1(VALU_DEP_1)
	v_mov_b32_dpp v4, v2 row_shr:2 row_mask:0xf bank_mask:0xf
	v_add_f32_e32 v4, v2, v4
	s_delay_alu instid0(VALU_DEP_1) | instskip(SKIP_1) | instid1(VALU_DEP_2)
	v_cndmask_b32_e32 v2, v2, v4, vcc_lo
	v_cmp_lt_u32_e32 vcc_lo, 3, v3
	v_mov_b32_dpp v4, v2 row_shr:4 row_mask:0xf bank_mask:0xf
	s_delay_alu instid0(VALU_DEP_1) | instskip(NEXT) | instid1(VALU_DEP_1)
	v_add_f32_e32 v4, v2, v4
	v_cndmask_b32_e32 v2, v2, v4, vcc_lo
	v_add_co_u32 v0, vcc_lo, s2, v0
	v_add_co_ci_u32_e32 v1, vcc_lo, s3, v1, vcc_lo
	global_store_b32 v[0:1], v2, off
	s_nop 0
	s_sendmsg sendmsg(MSG_DEALLOC_VGPRS)
	s_endpgm
	.section	.rodata,"a",@progbits
	.p2align	6, 0x0
	.amdhsa_kernel _Z26warp_inclusive_scan_kernelIfLj64ELj8EENSt9enable_ifIXsr10test_utilsE35device_test_enabled_for_warp_size_vIXT1_EEEvE4typeEPT_S4_
		.amdhsa_group_segment_fixed_size 0
		.amdhsa_private_segment_fixed_size 0
		.amdhsa_kernarg_size 272
		.amdhsa_user_sgpr_count 15
		.amdhsa_user_sgpr_dispatch_ptr 0
		.amdhsa_user_sgpr_queue_ptr 0
		.amdhsa_user_sgpr_kernarg_segment_ptr 1
		.amdhsa_user_sgpr_dispatch_id 0
		.amdhsa_user_sgpr_private_segment_size 0
		.amdhsa_wavefront_size32 1
		.amdhsa_uses_dynamic_stack 0
		.amdhsa_enable_private_segment 0
		.amdhsa_system_sgpr_workgroup_id_x 1
		.amdhsa_system_sgpr_workgroup_id_y 0
		.amdhsa_system_sgpr_workgroup_id_z 0
		.amdhsa_system_sgpr_workgroup_info 0
		.amdhsa_system_vgpr_workitem_id 0
		.amdhsa_next_free_vgpr 5
		.amdhsa_next_free_sgpr 16
		.amdhsa_reserve_vcc 1
		.amdhsa_float_round_mode_32 0
		.amdhsa_float_round_mode_16_64 0
		.amdhsa_float_denorm_mode_32 3
		.amdhsa_float_denorm_mode_16_64 3
		.amdhsa_dx10_clamp 1
		.amdhsa_ieee_mode 1
		.amdhsa_fp16_overflow 0
		.amdhsa_workgroup_processor_mode 1
		.amdhsa_memory_ordered 1
		.amdhsa_forward_progress 0
		.amdhsa_shared_vgpr_count 0
		.amdhsa_exception_fp_ieee_invalid_op 0
		.amdhsa_exception_fp_denorm_src 0
		.amdhsa_exception_fp_ieee_div_zero 0
		.amdhsa_exception_fp_ieee_overflow 0
		.amdhsa_exception_fp_ieee_underflow 0
		.amdhsa_exception_fp_ieee_inexact 0
		.amdhsa_exception_int_div_zero 0
	.end_amdhsa_kernel
	.section	.text._Z26warp_inclusive_scan_kernelIfLj64ELj8EENSt9enable_ifIXsr10test_utilsE35device_test_enabled_for_warp_size_vIXT1_EEEvE4typeEPT_S4_,"axG",@progbits,_Z26warp_inclusive_scan_kernelIfLj64ELj8EENSt9enable_ifIXsr10test_utilsE35device_test_enabled_for_warp_size_vIXT1_EEEvE4typeEPT_S4_,comdat
.Lfunc_end42:
	.size	_Z26warp_inclusive_scan_kernelIfLj64ELj8EENSt9enable_ifIXsr10test_utilsE35device_test_enabled_for_warp_size_vIXT1_EEEvE4typeEPT_S4_, .Lfunc_end42-_Z26warp_inclusive_scan_kernelIfLj64ELj8EENSt9enable_ifIXsr10test_utilsE35device_test_enabled_for_warp_size_vIXT1_EEEvE4typeEPT_S4_
                                        ; -- End function
	.section	.AMDGPU.csdata,"",@progbits
; Kernel info:
; codeLenInByte = 208
; NumSgprs: 18
; NumVgprs: 5
; ScratchSize: 0
; MemoryBound: 0
; FloatMode: 240
; IeeeMode: 1
; LDSByteSize: 0 bytes/workgroup (compile time only)
; SGPRBlocks: 2
; VGPRBlocks: 0
; NumSGPRsForWavesPerEU: 18
; NumVGPRsForWavesPerEU: 5
; Occupancy: 16
; WaveLimiterHint : 0
; COMPUTE_PGM_RSRC2:SCRATCH_EN: 0
; COMPUTE_PGM_RSRC2:USER_SGPR: 15
; COMPUTE_PGM_RSRC2:TRAP_HANDLER: 0
; COMPUTE_PGM_RSRC2:TGID_X_EN: 1
; COMPUTE_PGM_RSRC2:TGID_Y_EN: 0
; COMPUTE_PGM_RSRC2:TGID_Z_EN: 0
; COMPUTE_PGM_RSRC2:TIDIG_COMP_CNT: 0
	.section	.text._Z26warp_inclusive_scan_kernelIfLj32ELj4EENSt9enable_ifIXsr10test_utilsE35device_test_enabled_for_warp_size_vIXT1_EEEvE4typeEPT_S4_,"axG",@progbits,_Z26warp_inclusive_scan_kernelIfLj32ELj4EENSt9enable_ifIXsr10test_utilsE35device_test_enabled_for_warp_size_vIXT1_EEEvE4typeEPT_S4_,comdat
	.protected	_Z26warp_inclusive_scan_kernelIfLj32ELj4EENSt9enable_ifIXsr10test_utilsE35device_test_enabled_for_warp_size_vIXT1_EEEvE4typeEPT_S4_ ; -- Begin function _Z26warp_inclusive_scan_kernelIfLj32ELj4EENSt9enable_ifIXsr10test_utilsE35device_test_enabled_for_warp_size_vIXT1_EEEvE4typeEPT_S4_
	.globl	_Z26warp_inclusive_scan_kernelIfLj32ELj4EENSt9enable_ifIXsr10test_utilsE35device_test_enabled_for_warp_size_vIXT1_EEEvE4typeEPT_S4_
	.p2align	8
	.type	_Z26warp_inclusive_scan_kernelIfLj32ELj4EENSt9enable_ifIXsr10test_utilsE35device_test_enabled_for_warp_size_vIXT1_EEEvE4typeEPT_S4_,@function
_Z26warp_inclusive_scan_kernelIfLj32ELj4EENSt9enable_ifIXsr10test_utilsE35device_test_enabled_for_warp_size_vIXT1_EEEvE4typeEPT_S4_: ; @_Z26warp_inclusive_scan_kernelIfLj32ELj4EENSt9enable_ifIXsr10test_utilsE35device_test_enabled_for_warp_size_vIXT1_EEEvE4typeEPT_S4_
; %bb.0:
	s_clause 0x1
	s_load_b32 s4, s[0:1], 0x1c
	s_load_b128 s[0:3], s[0:1], 0x0
	s_waitcnt lgkmcnt(0)
	s_and_b32 s4, s4, 0xffff
	s_delay_alu instid0(SALU_CYCLE_1) | instskip(SKIP_1) | instid1(VALU_DEP_1)
	v_mad_u64_u32 v[1:2], null, s15, s4, v[0:1]
	v_mov_b32_e32 v2, 0
	v_lshlrev_b64 v[0:1], 2, v[1:2]
	s_delay_alu instid0(VALU_DEP_1) | instskip(NEXT) | instid1(VALU_DEP_2)
	v_add_co_u32 v2, vcc_lo, s0, v0
	v_add_co_ci_u32_e32 v3, vcc_lo, s1, v1, vcc_lo
	global_load_b32 v2, v[2:3], off
	v_mbcnt_lo_u32_b32 v3, -1, 0
	s_delay_alu instid0(VALU_DEP_1) | instskip(NEXT) | instid1(VALU_DEP_1)
	v_and_b32_e32 v3, 3, v3
	v_cmp_eq_u32_e32 vcc_lo, 0, v3
	s_waitcnt vmcnt(0)
	v_mov_b32_dpp v4, v2 row_shr:1 row_mask:0xf bank_mask:0xf
	s_delay_alu instid0(VALU_DEP_1) | instskip(NEXT) | instid1(VALU_DEP_1)
	v_add_f32_e32 v4, v2, v4
	v_cndmask_b32_e32 v2, v4, v2, vcc_lo
	v_cmp_lt_u32_e32 vcc_lo, 1, v3
	s_delay_alu instid0(VALU_DEP_2) | instskip(NEXT) | instid1(VALU_DEP_1)
	v_mov_b32_dpp v4, v2 row_shr:2 row_mask:0xf bank_mask:0xf
	v_add_f32_e32 v4, v2, v4
	s_delay_alu instid0(VALU_DEP_1)
	v_cndmask_b32_e32 v2, v2, v4, vcc_lo
	v_add_co_u32 v0, vcc_lo, s2, v0
	v_add_co_ci_u32_e32 v1, vcc_lo, s3, v1, vcc_lo
	global_store_b32 v[0:1], v2, off
	s_nop 0
	s_sendmsg sendmsg(MSG_DEALLOC_VGPRS)
	s_endpgm
	.section	.rodata,"a",@progbits
	.p2align	6, 0x0
	.amdhsa_kernel _Z26warp_inclusive_scan_kernelIfLj32ELj4EENSt9enable_ifIXsr10test_utilsE35device_test_enabled_for_warp_size_vIXT1_EEEvE4typeEPT_S4_
		.amdhsa_group_segment_fixed_size 0
		.amdhsa_private_segment_fixed_size 0
		.amdhsa_kernarg_size 272
		.amdhsa_user_sgpr_count 15
		.amdhsa_user_sgpr_dispatch_ptr 0
		.amdhsa_user_sgpr_queue_ptr 0
		.amdhsa_user_sgpr_kernarg_segment_ptr 1
		.amdhsa_user_sgpr_dispatch_id 0
		.amdhsa_user_sgpr_private_segment_size 0
		.amdhsa_wavefront_size32 1
		.amdhsa_uses_dynamic_stack 0
		.amdhsa_enable_private_segment 0
		.amdhsa_system_sgpr_workgroup_id_x 1
		.amdhsa_system_sgpr_workgroup_id_y 0
		.amdhsa_system_sgpr_workgroup_id_z 0
		.amdhsa_system_sgpr_workgroup_info 0
		.amdhsa_system_vgpr_workitem_id 0
		.amdhsa_next_free_vgpr 5
		.amdhsa_next_free_sgpr 16
		.amdhsa_reserve_vcc 1
		.amdhsa_float_round_mode_32 0
		.amdhsa_float_round_mode_16_64 0
		.amdhsa_float_denorm_mode_32 3
		.amdhsa_float_denorm_mode_16_64 3
		.amdhsa_dx10_clamp 1
		.amdhsa_ieee_mode 1
		.amdhsa_fp16_overflow 0
		.amdhsa_workgroup_processor_mode 1
		.amdhsa_memory_ordered 1
		.amdhsa_forward_progress 0
		.amdhsa_shared_vgpr_count 0
		.amdhsa_exception_fp_ieee_invalid_op 0
		.amdhsa_exception_fp_denorm_src 0
		.amdhsa_exception_fp_ieee_div_zero 0
		.amdhsa_exception_fp_ieee_overflow 0
		.amdhsa_exception_fp_ieee_underflow 0
		.amdhsa_exception_fp_ieee_inexact 0
		.amdhsa_exception_int_div_zero 0
	.end_amdhsa_kernel
	.section	.text._Z26warp_inclusive_scan_kernelIfLj32ELj4EENSt9enable_ifIXsr10test_utilsE35device_test_enabled_for_warp_size_vIXT1_EEEvE4typeEPT_S4_,"axG",@progbits,_Z26warp_inclusive_scan_kernelIfLj32ELj4EENSt9enable_ifIXsr10test_utilsE35device_test_enabled_for_warp_size_vIXT1_EEEvE4typeEPT_S4_,comdat
.Lfunc_end43:
	.size	_Z26warp_inclusive_scan_kernelIfLj32ELj4EENSt9enable_ifIXsr10test_utilsE35device_test_enabled_for_warp_size_vIXT1_EEEvE4typeEPT_S4_, .Lfunc_end43-_Z26warp_inclusive_scan_kernelIfLj32ELj4EENSt9enable_ifIXsr10test_utilsE35device_test_enabled_for_warp_size_vIXT1_EEEvE4typeEPT_S4_
                                        ; -- End function
	.section	.AMDGPU.csdata,"",@progbits
; Kernel info:
; codeLenInByte = 184
; NumSgprs: 18
; NumVgprs: 5
; ScratchSize: 0
; MemoryBound: 0
; FloatMode: 240
; IeeeMode: 1
; LDSByteSize: 0 bytes/workgroup (compile time only)
; SGPRBlocks: 2
; VGPRBlocks: 0
; NumSGPRsForWavesPerEU: 18
; NumVGPRsForWavesPerEU: 5
; Occupancy: 16
; WaveLimiterHint : 0
; COMPUTE_PGM_RSRC2:SCRATCH_EN: 0
; COMPUTE_PGM_RSRC2:USER_SGPR: 15
; COMPUTE_PGM_RSRC2:TRAP_HANDLER: 0
; COMPUTE_PGM_RSRC2:TGID_X_EN: 1
; COMPUTE_PGM_RSRC2:TGID_Y_EN: 0
; COMPUTE_PGM_RSRC2:TGID_Z_EN: 0
; COMPUTE_PGM_RSRC2:TIDIG_COMP_CNT: 0
	.section	.text._Z26warp_inclusive_scan_kernelIfLj64ELj4EENSt9enable_ifIXsr10test_utilsE35device_test_enabled_for_warp_size_vIXT1_EEEvE4typeEPT_S4_,"axG",@progbits,_Z26warp_inclusive_scan_kernelIfLj64ELj4EENSt9enable_ifIXsr10test_utilsE35device_test_enabled_for_warp_size_vIXT1_EEEvE4typeEPT_S4_,comdat
	.protected	_Z26warp_inclusive_scan_kernelIfLj64ELj4EENSt9enable_ifIXsr10test_utilsE35device_test_enabled_for_warp_size_vIXT1_EEEvE4typeEPT_S4_ ; -- Begin function _Z26warp_inclusive_scan_kernelIfLj64ELj4EENSt9enable_ifIXsr10test_utilsE35device_test_enabled_for_warp_size_vIXT1_EEEvE4typeEPT_S4_
	.globl	_Z26warp_inclusive_scan_kernelIfLj64ELj4EENSt9enable_ifIXsr10test_utilsE35device_test_enabled_for_warp_size_vIXT1_EEEvE4typeEPT_S4_
	.p2align	8
	.type	_Z26warp_inclusive_scan_kernelIfLj64ELj4EENSt9enable_ifIXsr10test_utilsE35device_test_enabled_for_warp_size_vIXT1_EEEvE4typeEPT_S4_,@function
_Z26warp_inclusive_scan_kernelIfLj64ELj4EENSt9enable_ifIXsr10test_utilsE35device_test_enabled_for_warp_size_vIXT1_EEEvE4typeEPT_S4_: ; @_Z26warp_inclusive_scan_kernelIfLj64ELj4EENSt9enable_ifIXsr10test_utilsE35device_test_enabled_for_warp_size_vIXT1_EEEvE4typeEPT_S4_
; %bb.0:
	s_clause 0x1
	s_load_b32 s4, s[0:1], 0x1c
	s_load_b128 s[0:3], s[0:1], 0x0
	s_waitcnt lgkmcnt(0)
	s_and_b32 s4, s4, 0xffff
	s_delay_alu instid0(SALU_CYCLE_1) | instskip(SKIP_1) | instid1(VALU_DEP_1)
	v_mad_u64_u32 v[1:2], null, s15, s4, v[0:1]
	v_mov_b32_e32 v2, 0
	v_lshlrev_b64 v[0:1], 2, v[1:2]
	s_delay_alu instid0(VALU_DEP_1) | instskip(NEXT) | instid1(VALU_DEP_2)
	v_add_co_u32 v2, vcc_lo, s0, v0
	v_add_co_ci_u32_e32 v3, vcc_lo, s1, v1, vcc_lo
	global_load_b32 v2, v[2:3], off
	v_mbcnt_lo_u32_b32 v3, -1, 0
	s_delay_alu instid0(VALU_DEP_1) | instskip(NEXT) | instid1(VALU_DEP_1)
	v_and_b32_e32 v3, 3, v3
	v_cmp_eq_u32_e32 vcc_lo, 0, v3
	s_waitcnt vmcnt(0)
	v_mov_b32_dpp v4, v2 row_shr:1 row_mask:0xf bank_mask:0xf
	s_delay_alu instid0(VALU_DEP_1) | instskip(NEXT) | instid1(VALU_DEP_1)
	v_add_f32_e32 v4, v2, v4
	v_cndmask_b32_e32 v2, v4, v2, vcc_lo
	v_cmp_lt_u32_e32 vcc_lo, 1, v3
	s_delay_alu instid0(VALU_DEP_2) | instskip(NEXT) | instid1(VALU_DEP_1)
	v_mov_b32_dpp v4, v2 row_shr:2 row_mask:0xf bank_mask:0xf
	v_add_f32_e32 v4, v2, v4
	s_delay_alu instid0(VALU_DEP_1)
	v_cndmask_b32_e32 v2, v2, v4, vcc_lo
	v_add_co_u32 v0, vcc_lo, s2, v0
	v_add_co_ci_u32_e32 v1, vcc_lo, s3, v1, vcc_lo
	global_store_b32 v[0:1], v2, off
	s_nop 0
	s_sendmsg sendmsg(MSG_DEALLOC_VGPRS)
	s_endpgm
	.section	.rodata,"a",@progbits
	.p2align	6, 0x0
	.amdhsa_kernel _Z26warp_inclusive_scan_kernelIfLj64ELj4EENSt9enable_ifIXsr10test_utilsE35device_test_enabled_for_warp_size_vIXT1_EEEvE4typeEPT_S4_
		.amdhsa_group_segment_fixed_size 0
		.amdhsa_private_segment_fixed_size 0
		.amdhsa_kernarg_size 272
		.amdhsa_user_sgpr_count 15
		.amdhsa_user_sgpr_dispatch_ptr 0
		.amdhsa_user_sgpr_queue_ptr 0
		.amdhsa_user_sgpr_kernarg_segment_ptr 1
		.amdhsa_user_sgpr_dispatch_id 0
		.amdhsa_user_sgpr_private_segment_size 0
		.amdhsa_wavefront_size32 1
		.amdhsa_uses_dynamic_stack 0
		.amdhsa_enable_private_segment 0
		.amdhsa_system_sgpr_workgroup_id_x 1
		.amdhsa_system_sgpr_workgroup_id_y 0
		.amdhsa_system_sgpr_workgroup_id_z 0
		.amdhsa_system_sgpr_workgroup_info 0
		.amdhsa_system_vgpr_workitem_id 0
		.amdhsa_next_free_vgpr 5
		.amdhsa_next_free_sgpr 16
		.amdhsa_reserve_vcc 1
		.amdhsa_float_round_mode_32 0
		.amdhsa_float_round_mode_16_64 0
		.amdhsa_float_denorm_mode_32 3
		.amdhsa_float_denorm_mode_16_64 3
		.amdhsa_dx10_clamp 1
		.amdhsa_ieee_mode 1
		.amdhsa_fp16_overflow 0
		.amdhsa_workgroup_processor_mode 1
		.amdhsa_memory_ordered 1
		.amdhsa_forward_progress 0
		.amdhsa_shared_vgpr_count 0
		.amdhsa_exception_fp_ieee_invalid_op 0
		.amdhsa_exception_fp_denorm_src 0
		.amdhsa_exception_fp_ieee_div_zero 0
		.amdhsa_exception_fp_ieee_overflow 0
		.amdhsa_exception_fp_ieee_underflow 0
		.amdhsa_exception_fp_ieee_inexact 0
		.amdhsa_exception_int_div_zero 0
	.end_amdhsa_kernel
	.section	.text._Z26warp_inclusive_scan_kernelIfLj64ELj4EENSt9enable_ifIXsr10test_utilsE35device_test_enabled_for_warp_size_vIXT1_EEEvE4typeEPT_S4_,"axG",@progbits,_Z26warp_inclusive_scan_kernelIfLj64ELj4EENSt9enable_ifIXsr10test_utilsE35device_test_enabled_for_warp_size_vIXT1_EEEvE4typeEPT_S4_,comdat
.Lfunc_end44:
	.size	_Z26warp_inclusive_scan_kernelIfLj64ELj4EENSt9enable_ifIXsr10test_utilsE35device_test_enabled_for_warp_size_vIXT1_EEEvE4typeEPT_S4_, .Lfunc_end44-_Z26warp_inclusive_scan_kernelIfLj64ELj4EENSt9enable_ifIXsr10test_utilsE35device_test_enabled_for_warp_size_vIXT1_EEEvE4typeEPT_S4_
                                        ; -- End function
	.section	.AMDGPU.csdata,"",@progbits
; Kernel info:
; codeLenInByte = 184
; NumSgprs: 18
; NumVgprs: 5
; ScratchSize: 0
; MemoryBound: 0
; FloatMode: 240
; IeeeMode: 1
; LDSByteSize: 0 bytes/workgroup (compile time only)
; SGPRBlocks: 2
; VGPRBlocks: 0
; NumSGPRsForWavesPerEU: 18
; NumVGPRsForWavesPerEU: 5
; Occupancy: 16
; WaveLimiterHint : 0
; COMPUTE_PGM_RSRC2:SCRATCH_EN: 0
; COMPUTE_PGM_RSRC2:USER_SGPR: 15
; COMPUTE_PGM_RSRC2:TRAP_HANDLER: 0
; COMPUTE_PGM_RSRC2:TGID_X_EN: 1
; COMPUTE_PGM_RSRC2:TGID_Y_EN: 0
; COMPUTE_PGM_RSRC2:TGID_Z_EN: 0
; COMPUTE_PGM_RSRC2:TIDIG_COMP_CNT: 0
	.section	.text._Z26warp_inclusive_scan_kernelIfLj32ELj2EENSt9enable_ifIXsr10test_utilsE35device_test_enabled_for_warp_size_vIXT1_EEEvE4typeEPT_S4_,"axG",@progbits,_Z26warp_inclusive_scan_kernelIfLj32ELj2EENSt9enable_ifIXsr10test_utilsE35device_test_enabled_for_warp_size_vIXT1_EEEvE4typeEPT_S4_,comdat
	.protected	_Z26warp_inclusive_scan_kernelIfLj32ELj2EENSt9enable_ifIXsr10test_utilsE35device_test_enabled_for_warp_size_vIXT1_EEEvE4typeEPT_S4_ ; -- Begin function _Z26warp_inclusive_scan_kernelIfLj32ELj2EENSt9enable_ifIXsr10test_utilsE35device_test_enabled_for_warp_size_vIXT1_EEEvE4typeEPT_S4_
	.globl	_Z26warp_inclusive_scan_kernelIfLj32ELj2EENSt9enable_ifIXsr10test_utilsE35device_test_enabled_for_warp_size_vIXT1_EEEvE4typeEPT_S4_
	.p2align	8
	.type	_Z26warp_inclusive_scan_kernelIfLj32ELj2EENSt9enable_ifIXsr10test_utilsE35device_test_enabled_for_warp_size_vIXT1_EEEvE4typeEPT_S4_,@function
_Z26warp_inclusive_scan_kernelIfLj32ELj2EENSt9enable_ifIXsr10test_utilsE35device_test_enabled_for_warp_size_vIXT1_EEEvE4typeEPT_S4_: ; @_Z26warp_inclusive_scan_kernelIfLj32ELj2EENSt9enable_ifIXsr10test_utilsE35device_test_enabled_for_warp_size_vIXT1_EEEvE4typeEPT_S4_
; %bb.0:
	s_clause 0x1
	s_load_b32 s4, s[0:1], 0x1c
	s_load_b128 s[0:3], s[0:1], 0x0
	s_waitcnt lgkmcnt(0)
	s_and_b32 s4, s4, 0xffff
	s_delay_alu instid0(SALU_CYCLE_1) | instskip(SKIP_1) | instid1(VALU_DEP_1)
	v_mad_u64_u32 v[1:2], null, s15, s4, v[0:1]
	v_mov_b32_e32 v2, 0
	v_lshlrev_b64 v[0:1], 2, v[1:2]
	s_delay_alu instid0(VALU_DEP_1) | instskip(NEXT) | instid1(VALU_DEP_2)
	v_add_co_u32 v2, vcc_lo, s0, v0
	v_add_co_ci_u32_e32 v3, vcc_lo, s1, v1, vcc_lo
	global_load_b32 v2, v[2:3], off
	v_mbcnt_lo_u32_b32 v3, -1, 0
	s_delay_alu instid0(VALU_DEP_1) | instskip(NEXT) | instid1(VALU_DEP_1)
	v_and_b32_e32 v3, 1, v3
	v_cmp_eq_u32_e32 vcc_lo, 0, v3
	s_waitcnt vmcnt(0)
	v_mov_b32_dpp v4, v2 row_shr:1 row_mask:0xf bank_mask:0xf
	s_delay_alu instid0(VALU_DEP_1) | instskip(NEXT) | instid1(VALU_DEP_1)
	v_add_f32_e32 v4, v2, v4
	v_cndmask_b32_e32 v2, v4, v2, vcc_lo
	v_add_co_u32 v0, vcc_lo, s2, v0
	v_add_co_ci_u32_e32 v1, vcc_lo, s3, v1, vcc_lo
	global_store_b32 v[0:1], v2, off
	s_nop 0
	s_sendmsg sendmsg(MSG_DEALLOC_VGPRS)
	s_endpgm
	.section	.rodata,"a",@progbits
	.p2align	6, 0x0
	.amdhsa_kernel _Z26warp_inclusive_scan_kernelIfLj32ELj2EENSt9enable_ifIXsr10test_utilsE35device_test_enabled_for_warp_size_vIXT1_EEEvE4typeEPT_S4_
		.amdhsa_group_segment_fixed_size 0
		.amdhsa_private_segment_fixed_size 0
		.amdhsa_kernarg_size 272
		.amdhsa_user_sgpr_count 15
		.amdhsa_user_sgpr_dispatch_ptr 0
		.amdhsa_user_sgpr_queue_ptr 0
		.amdhsa_user_sgpr_kernarg_segment_ptr 1
		.amdhsa_user_sgpr_dispatch_id 0
		.amdhsa_user_sgpr_private_segment_size 0
		.amdhsa_wavefront_size32 1
		.amdhsa_uses_dynamic_stack 0
		.amdhsa_enable_private_segment 0
		.amdhsa_system_sgpr_workgroup_id_x 1
		.amdhsa_system_sgpr_workgroup_id_y 0
		.amdhsa_system_sgpr_workgroup_id_z 0
		.amdhsa_system_sgpr_workgroup_info 0
		.amdhsa_system_vgpr_workitem_id 0
		.amdhsa_next_free_vgpr 5
		.amdhsa_next_free_sgpr 16
		.amdhsa_reserve_vcc 1
		.amdhsa_float_round_mode_32 0
		.amdhsa_float_round_mode_16_64 0
		.amdhsa_float_denorm_mode_32 3
		.amdhsa_float_denorm_mode_16_64 3
		.amdhsa_dx10_clamp 1
		.amdhsa_ieee_mode 1
		.amdhsa_fp16_overflow 0
		.amdhsa_workgroup_processor_mode 1
		.amdhsa_memory_ordered 1
		.amdhsa_forward_progress 0
		.amdhsa_shared_vgpr_count 0
		.amdhsa_exception_fp_ieee_invalid_op 0
		.amdhsa_exception_fp_denorm_src 0
		.amdhsa_exception_fp_ieee_div_zero 0
		.amdhsa_exception_fp_ieee_overflow 0
		.amdhsa_exception_fp_ieee_underflow 0
		.amdhsa_exception_fp_ieee_inexact 0
		.amdhsa_exception_int_div_zero 0
	.end_amdhsa_kernel
	.section	.text._Z26warp_inclusive_scan_kernelIfLj32ELj2EENSt9enable_ifIXsr10test_utilsE35device_test_enabled_for_warp_size_vIXT1_EEEvE4typeEPT_S4_,"axG",@progbits,_Z26warp_inclusive_scan_kernelIfLj32ELj2EENSt9enable_ifIXsr10test_utilsE35device_test_enabled_for_warp_size_vIXT1_EEEvE4typeEPT_S4_,comdat
.Lfunc_end45:
	.size	_Z26warp_inclusive_scan_kernelIfLj32ELj2EENSt9enable_ifIXsr10test_utilsE35device_test_enabled_for_warp_size_vIXT1_EEEvE4typeEPT_S4_, .Lfunc_end45-_Z26warp_inclusive_scan_kernelIfLj32ELj2EENSt9enable_ifIXsr10test_utilsE35device_test_enabled_for_warp_size_vIXT1_EEEvE4typeEPT_S4_
                                        ; -- End function
	.section	.AMDGPU.csdata,"",@progbits
; Kernel info:
; codeLenInByte = 156
; NumSgprs: 18
; NumVgprs: 5
; ScratchSize: 0
; MemoryBound: 0
; FloatMode: 240
; IeeeMode: 1
; LDSByteSize: 0 bytes/workgroup (compile time only)
; SGPRBlocks: 2
; VGPRBlocks: 0
; NumSGPRsForWavesPerEU: 18
; NumVGPRsForWavesPerEU: 5
; Occupancy: 16
; WaveLimiterHint : 0
; COMPUTE_PGM_RSRC2:SCRATCH_EN: 0
; COMPUTE_PGM_RSRC2:USER_SGPR: 15
; COMPUTE_PGM_RSRC2:TRAP_HANDLER: 0
; COMPUTE_PGM_RSRC2:TGID_X_EN: 1
; COMPUTE_PGM_RSRC2:TGID_Y_EN: 0
; COMPUTE_PGM_RSRC2:TGID_Z_EN: 0
; COMPUTE_PGM_RSRC2:TIDIG_COMP_CNT: 0
	.section	.text._Z26warp_inclusive_scan_kernelIfLj64ELj2EENSt9enable_ifIXsr10test_utilsE35device_test_enabled_for_warp_size_vIXT1_EEEvE4typeEPT_S4_,"axG",@progbits,_Z26warp_inclusive_scan_kernelIfLj64ELj2EENSt9enable_ifIXsr10test_utilsE35device_test_enabled_for_warp_size_vIXT1_EEEvE4typeEPT_S4_,comdat
	.protected	_Z26warp_inclusive_scan_kernelIfLj64ELj2EENSt9enable_ifIXsr10test_utilsE35device_test_enabled_for_warp_size_vIXT1_EEEvE4typeEPT_S4_ ; -- Begin function _Z26warp_inclusive_scan_kernelIfLj64ELj2EENSt9enable_ifIXsr10test_utilsE35device_test_enabled_for_warp_size_vIXT1_EEEvE4typeEPT_S4_
	.globl	_Z26warp_inclusive_scan_kernelIfLj64ELj2EENSt9enable_ifIXsr10test_utilsE35device_test_enabled_for_warp_size_vIXT1_EEEvE4typeEPT_S4_
	.p2align	8
	.type	_Z26warp_inclusive_scan_kernelIfLj64ELj2EENSt9enable_ifIXsr10test_utilsE35device_test_enabled_for_warp_size_vIXT1_EEEvE4typeEPT_S4_,@function
_Z26warp_inclusive_scan_kernelIfLj64ELj2EENSt9enable_ifIXsr10test_utilsE35device_test_enabled_for_warp_size_vIXT1_EEEvE4typeEPT_S4_: ; @_Z26warp_inclusive_scan_kernelIfLj64ELj2EENSt9enable_ifIXsr10test_utilsE35device_test_enabled_for_warp_size_vIXT1_EEEvE4typeEPT_S4_
; %bb.0:
	s_clause 0x1
	s_load_b32 s4, s[0:1], 0x1c
	s_load_b128 s[0:3], s[0:1], 0x0
	s_waitcnt lgkmcnt(0)
	s_and_b32 s4, s4, 0xffff
	s_delay_alu instid0(SALU_CYCLE_1) | instskip(SKIP_1) | instid1(VALU_DEP_1)
	v_mad_u64_u32 v[1:2], null, s15, s4, v[0:1]
	v_mov_b32_e32 v2, 0
	v_lshlrev_b64 v[0:1], 2, v[1:2]
	s_delay_alu instid0(VALU_DEP_1) | instskip(NEXT) | instid1(VALU_DEP_2)
	v_add_co_u32 v2, vcc_lo, s0, v0
	v_add_co_ci_u32_e32 v3, vcc_lo, s1, v1, vcc_lo
	global_load_b32 v2, v[2:3], off
	v_mbcnt_lo_u32_b32 v3, -1, 0
	s_delay_alu instid0(VALU_DEP_1) | instskip(NEXT) | instid1(VALU_DEP_1)
	v_and_b32_e32 v3, 1, v3
	v_cmp_eq_u32_e32 vcc_lo, 0, v3
	s_waitcnt vmcnt(0)
	v_mov_b32_dpp v4, v2 row_shr:1 row_mask:0xf bank_mask:0xf
	s_delay_alu instid0(VALU_DEP_1) | instskip(NEXT) | instid1(VALU_DEP_1)
	v_add_f32_e32 v4, v2, v4
	v_cndmask_b32_e32 v2, v4, v2, vcc_lo
	v_add_co_u32 v0, vcc_lo, s2, v0
	v_add_co_ci_u32_e32 v1, vcc_lo, s3, v1, vcc_lo
	global_store_b32 v[0:1], v2, off
	s_nop 0
	s_sendmsg sendmsg(MSG_DEALLOC_VGPRS)
	s_endpgm
	.section	.rodata,"a",@progbits
	.p2align	6, 0x0
	.amdhsa_kernel _Z26warp_inclusive_scan_kernelIfLj64ELj2EENSt9enable_ifIXsr10test_utilsE35device_test_enabled_for_warp_size_vIXT1_EEEvE4typeEPT_S4_
		.amdhsa_group_segment_fixed_size 0
		.amdhsa_private_segment_fixed_size 0
		.amdhsa_kernarg_size 272
		.amdhsa_user_sgpr_count 15
		.amdhsa_user_sgpr_dispatch_ptr 0
		.amdhsa_user_sgpr_queue_ptr 0
		.amdhsa_user_sgpr_kernarg_segment_ptr 1
		.amdhsa_user_sgpr_dispatch_id 0
		.amdhsa_user_sgpr_private_segment_size 0
		.amdhsa_wavefront_size32 1
		.amdhsa_uses_dynamic_stack 0
		.amdhsa_enable_private_segment 0
		.amdhsa_system_sgpr_workgroup_id_x 1
		.amdhsa_system_sgpr_workgroup_id_y 0
		.amdhsa_system_sgpr_workgroup_id_z 0
		.amdhsa_system_sgpr_workgroup_info 0
		.amdhsa_system_vgpr_workitem_id 0
		.amdhsa_next_free_vgpr 5
		.amdhsa_next_free_sgpr 16
		.amdhsa_reserve_vcc 1
		.amdhsa_float_round_mode_32 0
		.amdhsa_float_round_mode_16_64 0
		.amdhsa_float_denorm_mode_32 3
		.amdhsa_float_denorm_mode_16_64 3
		.amdhsa_dx10_clamp 1
		.amdhsa_ieee_mode 1
		.amdhsa_fp16_overflow 0
		.amdhsa_workgroup_processor_mode 1
		.amdhsa_memory_ordered 1
		.amdhsa_forward_progress 0
		.amdhsa_shared_vgpr_count 0
		.amdhsa_exception_fp_ieee_invalid_op 0
		.amdhsa_exception_fp_denorm_src 0
		.amdhsa_exception_fp_ieee_div_zero 0
		.amdhsa_exception_fp_ieee_overflow 0
		.amdhsa_exception_fp_ieee_underflow 0
		.amdhsa_exception_fp_ieee_inexact 0
		.amdhsa_exception_int_div_zero 0
	.end_amdhsa_kernel
	.section	.text._Z26warp_inclusive_scan_kernelIfLj64ELj2EENSt9enable_ifIXsr10test_utilsE35device_test_enabled_for_warp_size_vIXT1_EEEvE4typeEPT_S4_,"axG",@progbits,_Z26warp_inclusive_scan_kernelIfLj64ELj2EENSt9enable_ifIXsr10test_utilsE35device_test_enabled_for_warp_size_vIXT1_EEEvE4typeEPT_S4_,comdat
.Lfunc_end46:
	.size	_Z26warp_inclusive_scan_kernelIfLj64ELj2EENSt9enable_ifIXsr10test_utilsE35device_test_enabled_for_warp_size_vIXT1_EEEvE4typeEPT_S4_, .Lfunc_end46-_Z26warp_inclusive_scan_kernelIfLj64ELj2EENSt9enable_ifIXsr10test_utilsE35device_test_enabled_for_warp_size_vIXT1_EEEvE4typeEPT_S4_
                                        ; -- End function
	.section	.AMDGPU.csdata,"",@progbits
; Kernel info:
; codeLenInByte = 156
; NumSgprs: 18
; NumVgprs: 5
; ScratchSize: 0
; MemoryBound: 0
; FloatMode: 240
; IeeeMode: 1
; LDSByteSize: 0 bytes/workgroup (compile time only)
; SGPRBlocks: 2
; VGPRBlocks: 0
; NumSGPRsForWavesPerEU: 18
; NumVGPRsForWavesPerEU: 5
; Occupancy: 16
; WaveLimiterHint : 0
; COMPUTE_PGM_RSRC2:SCRATCH_EN: 0
; COMPUTE_PGM_RSRC2:USER_SGPR: 15
; COMPUTE_PGM_RSRC2:TRAP_HANDLER: 0
; COMPUTE_PGM_RSRC2:TGID_X_EN: 1
; COMPUTE_PGM_RSRC2:TGID_Y_EN: 0
; COMPUTE_PGM_RSRC2:TGID_Z_EN: 0
; COMPUTE_PGM_RSRC2:TIDIG_COMP_CNT: 0
	.section	.text._Z26warp_inclusive_scan_kernelIiLj256ELj64EENSt9enable_ifIXntsr10test_utilsE35device_test_enabled_for_warp_size_vIXT1_EEEvE4typeEPT_S4_,"axG",@progbits,_Z26warp_inclusive_scan_kernelIiLj256ELj64EENSt9enable_ifIXntsr10test_utilsE35device_test_enabled_for_warp_size_vIXT1_EEEvE4typeEPT_S4_,comdat
	.protected	_Z26warp_inclusive_scan_kernelIiLj256ELj64EENSt9enable_ifIXntsr10test_utilsE35device_test_enabled_for_warp_size_vIXT1_EEEvE4typeEPT_S4_ ; -- Begin function _Z26warp_inclusive_scan_kernelIiLj256ELj64EENSt9enable_ifIXntsr10test_utilsE35device_test_enabled_for_warp_size_vIXT1_EEEvE4typeEPT_S4_
	.globl	_Z26warp_inclusive_scan_kernelIiLj256ELj64EENSt9enable_ifIXntsr10test_utilsE35device_test_enabled_for_warp_size_vIXT1_EEEvE4typeEPT_S4_
	.p2align	8
	.type	_Z26warp_inclusive_scan_kernelIiLj256ELj64EENSt9enable_ifIXntsr10test_utilsE35device_test_enabled_for_warp_size_vIXT1_EEEvE4typeEPT_S4_,@function
_Z26warp_inclusive_scan_kernelIiLj256ELj64EENSt9enable_ifIXntsr10test_utilsE35device_test_enabled_for_warp_size_vIXT1_EEEvE4typeEPT_S4_: ; @_Z26warp_inclusive_scan_kernelIiLj256ELj64EENSt9enable_ifIXntsr10test_utilsE35device_test_enabled_for_warp_size_vIXT1_EEEvE4typeEPT_S4_
; %bb.0:
	s_endpgm
	.section	.rodata,"a",@progbits
	.p2align	6, 0x0
	.amdhsa_kernel _Z26warp_inclusive_scan_kernelIiLj256ELj64EENSt9enable_ifIXntsr10test_utilsE35device_test_enabled_for_warp_size_vIXT1_EEEvE4typeEPT_S4_
		.amdhsa_group_segment_fixed_size 0
		.amdhsa_private_segment_fixed_size 0
		.amdhsa_kernarg_size 16
		.amdhsa_user_sgpr_count 15
		.amdhsa_user_sgpr_dispatch_ptr 0
		.amdhsa_user_sgpr_queue_ptr 0
		.amdhsa_user_sgpr_kernarg_segment_ptr 1
		.amdhsa_user_sgpr_dispatch_id 0
		.amdhsa_user_sgpr_private_segment_size 0
		.amdhsa_wavefront_size32 1
		.amdhsa_uses_dynamic_stack 0
		.amdhsa_enable_private_segment 0
		.amdhsa_system_sgpr_workgroup_id_x 1
		.amdhsa_system_sgpr_workgroup_id_y 0
		.amdhsa_system_sgpr_workgroup_id_z 0
		.amdhsa_system_sgpr_workgroup_info 0
		.amdhsa_system_vgpr_workitem_id 0
		.amdhsa_next_free_vgpr 1
		.amdhsa_next_free_sgpr 1
		.amdhsa_reserve_vcc 0
		.amdhsa_float_round_mode_32 0
		.amdhsa_float_round_mode_16_64 0
		.amdhsa_float_denorm_mode_32 3
		.amdhsa_float_denorm_mode_16_64 3
		.amdhsa_dx10_clamp 1
		.amdhsa_ieee_mode 1
		.amdhsa_fp16_overflow 0
		.amdhsa_workgroup_processor_mode 1
		.amdhsa_memory_ordered 1
		.amdhsa_forward_progress 0
		.amdhsa_shared_vgpr_count 0
		.amdhsa_exception_fp_ieee_invalid_op 0
		.amdhsa_exception_fp_denorm_src 0
		.amdhsa_exception_fp_ieee_div_zero 0
		.amdhsa_exception_fp_ieee_overflow 0
		.amdhsa_exception_fp_ieee_underflow 0
		.amdhsa_exception_fp_ieee_inexact 0
		.amdhsa_exception_int_div_zero 0
	.end_amdhsa_kernel
	.section	.text._Z26warp_inclusive_scan_kernelIiLj256ELj64EENSt9enable_ifIXntsr10test_utilsE35device_test_enabled_for_warp_size_vIXT1_EEEvE4typeEPT_S4_,"axG",@progbits,_Z26warp_inclusive_scan_kernelIiLj256ELj64EENSt9enable_ifIXntsr10test_utilsE35device_test_enabled_for_warp_size_vIXT1_EEEvE4typeEPT_S4_,comdat
.Lfunc_end47:
	.size	_Z26warp_inclusive_scan_kernelIiLj256ELj64EENSt9enable_ifIXntsr10test_utilsE35device_test_enabled_for_warp_size_vIXT1_EEEvE4typeEPT_S4_, .Lfunc_end47-_Z26warp_inclusive_scan_kernelIiLj256ELj64EENSt9enable_ifIXntsr10test_utilsE35device_test_enabled_for_warp_size_vIXT1_EEEvE4typeEPT_S4_
                                        ; -- End function
	.section	.AMDGPU.csdata,"",@progbits
; Kernel info:
; codeLenInByte = 4
; NumSgprs: 0
; NumVgprs: 0
; ScratchSize: 0
; MemoryBound: 0
; FloatMode: 240
; IeeeMode: 1
; LDSByteSize: 0 bytes/workgroup (compile time only)
; SGPRBlocks: 0
; VGPRBlocks: 0
; NumSGPRsForWavesPerEU: 1
; NumVGPRsForWavesPerEU: 1
; Occupancy: 16
; WaveLimiterHint : 0
; COMPUTE_PGM_RSRC2:SCRATCH_EN: 0
; COMPUTE_PGM_RSRC2:USER_SGPR: 15
; COMPUTE_PGM_RSRC2:TRAP_HANDLER: 0
; COMPUTE_PGM_RSRC2:TGID_X_EN: 1
; COMPUTE_PGM_RSRC2:TGID_Y_EN: 0
; COMPUTE_PGM_RSRC2:TGID_Z_EN: 0
; COMPUTE_PGM_RSRC2:TIDIG_COMP_CNT: 0
	.section	.text._Z26warp_inclusive_scan_kernelIiLj128ELj32EENSt9enable_ifIXsr10test_utilsE35device_test_enabled_for_warp_size_vIXT1_EEEvE4typeEPT_S4_,"axG",@progbits,_Z26warp_inclusive_scan_kernelIiLj128ELj32EENSt9enable_ifIXsr10test_utilsE35device_test_enabled_for_warp_size_vIXT1_EEEvE4typeEPT_S4_,comdat
	.protected	_Z26warp_inclusive_scan_kernelIiLj128ELj32EENSt9enable_ifIXsr10test_utilsE35device_test_enabled_for_warp_size_vIXT1_EEEvE4typeEPT_S4_ ; -- Begin function _Z26warp_inclusive_scan_kernelIiLj128ELj32EENSt9enable_ifIXsr10test_utilsE35device_test_enabled_for_warp_size_vIXT1_EEEvE4typeEPT_S4_
	.globl	_Z26warp_inclusive_scan_kernelIiLj128ELj32EENSt9enable_ifIXsr10test_utilsE35device_test_enabled_for_warp_size_vIXT1_EEEvE4typeEPT_S4_
	.p2align	8
	.type	_Z26warp_inclusive_scan_kernelIiLj128ELj32EENSt9enable_ifIXsr10test_utilsE35device_test_enabled_for_warp_size_vIXT1_EEEvE4typeEPT_S4_,@function
_Z26warp_inclusive_scan_kernelIiLj128ELj32EENSt9enable_ifIXsr10test_utilsE35device_test_enabled_for_warp_size_vIXT1_EEEvE4typeEPT_S4_: ; @_Z26warp_inclusive_scan_kernelIiLj128ELj32EENSt9enable_ifIXsr10test_utilsE35device_test_enabled_for_warp_size_vIXT1_EEEvE4typeEPT_S4_
; %bb.0:
	s_clause 0x1
	s_load_b32 s4, s[0:1], 0x1c
	s_load_b128 s[0:3], s[0:1], 0x0
	s_waitcnt lgkmcnt(0)
	s_and_b32 s4, s4, 0xffff
	s_delay_alu instid0(SALU_CYCLE_1) | instskip(SKIP_1) | instid1(VALU_DEP_1)
	v_mad_u64_u32 v[1:2], null, s15, s4, v[0:1]
	v_mov_b32_e32 v2, 0
	v_lshlrev_b64 v[0:1], 2, v[1:2]
	s_delay_alu instid0(VALU_DEP_1) | instskip(NEXT) | instid1(VALU_DEP_2)
	v_add_co_u32 v2, vcc_lo, s0, v0
	v_add_co_ci_u32_e32 v3, vcc_lo, s1, v1, vcc_lo
	global_load_b32 v2, v[2:3], off
	v_mbcnt_lo_u32_b32 v3, -1, 0
	s_delay_alu instid0(VALU_DEP_1) | instskip(SKIP_1) | instid1(VALU_DEP_2)
	v_and_b32_e32 v4, 15, v3
	v_bfe_i32 v3, v3, 4, 1
	v_cmp_ne_u32_e32 vcc_lo, 0, v4
	s_waitcnt vmcnt(0)
	v_mov_b32_dpp v5, v2 row_shr:1 row_mask:0xf bank_mask:0xf
	s_delay_alu instid0(VALU_DEP_1) | instskip(SKIP_1) | instid1(VALU_DEP_2)
	v_cndmask_b32_e32 v5, 0, v5, vcc_lo
	v_cmp_lt_u32_e32 vcc_lo, 1, v4
	v_add_nc_u32_e32 v2, v5, v2
	s_delay_alu instid0(VALU_DEP_1) | instskip(NEXT) | instid1(VALU_DEP_1)
	v_mov_b32_dpp v5, v2 row_shr:2 row_mask:0xf bank_mask:0xf
	v_cndmask_b32_e32 v5, 0, v5, vcc_lo
	v_cmp_lt_u32_e32 vcc_lo, 3, v4
	s_delay_alu instid0(VALU_DEP_2) | instskip(NEXT) | instid1(VALU_DEP_1)
	v_add_nc_u32_e32 v2, v2, v5
	v_mov_b32_dpp v5, v2 row_shr:4 row_mask:0xf bank_mask:0xf
	s_delay_alu instid0(VALU_DEP_1) | instskip(SKIP_1) | instid1(VALU_DEP_2)
	v_cndmask_b32_e32 v5, 0, v5, vcc_lo
	v_cmp_lt_u32_e32 vcc_lo, 7, v4
	v_add_nc_u32_e32 v2, v2, v5
	s_delay_alu instid0(VALU_DEP_1) | instskip(NEXT) | instid1(VALU_DEP_1)
	v_mov_b32_dpp v5, v2 row_shr:8 row_mask:0xf bank_mask:0xf
	v_cndmask_b32_e32 v4, 0, v5, vcc_lo
	v_add_co_u32 v0, vcc_lo, s2, v0
	v_add_co_ci_u32_e32 v1, vcc_lo, s3, v1, vcc_lo
	s_delay_alu instid0(VALU_DEP_3) | instskip(SKIP_3) | instid1(VALU_DEP_1)
	v_add_nc_u32_e32 v2, v2, v4
	ds_swizzle_b32 v4, v2 offset:swizzle(BROADCAST,32,15)
	s_waitcnt lgkmcnt(0)
	v_and_b32_e32 v3, v3, v4
	v_add_nc_u32_e32 v2, v2, v3
	global_store_b32 v[0:1], v2, off
	s_nop 0
	s_sendmsg sendmsg(MSG_DEALLOC_VGPRS)
	s_endpgm
	.section	.rodata,"a",@progbits
	.p2align	6, 0x0
	.amdhsa_kernel _Z26warp_inclusive_scan_kernelIiLj128ELj32EENSt9enable_ifIXsr10test_utilsE35device_test_enabled_for_warp_size_vIXT1_EEEvE4typeEPT_S4_
		.amdhsa_group_segment_fixed_size 0
		.amdhsa_private_segment_fixed_size 0
		.amdhsa_kernarg_size 272
		.amdhsa_user_sgpr_count 15
		.amdhsa_user_sgpr_dispatch_ptr 0
		.amdhsa_user_sgpr_queue_ptr 0
		.amdhsa_user_sgpr_kernarg_segment_ptr 1
		.amdhsa_user_sgpr_dispatch_id 0
		.amdhsa_user_sgpr_private_segment_size 0
		.amdhsa_wavefront_size32 1
		.amdhsa_uses_dynamic_stack 0
		.amdhsa_enable_private_segment 0
		.amdhsa_system_sgpr_workgroup_id_x 1
		.amdhsa_system_sgpr_workgroup_id_y 0
		.amdhsa_system_sgpr_workgroup_id_z 0
		.amdhsa_system_sgpr_workgroup_info 0
		.amdhsa_system_vgpr_workitem_id 0
		.amdhsa_next_free_vgpr 6
		.amdhsa_next_free_sgpr 16
		.amdhsa_reserve_vcc 1
		.amdhsa_float_round_mode_32 0
		.amdhsa_float_round_mode_16_64 0
		.amdhsa_float_denorm_mode_32 3
		.amdhsa_float_denorm_mode_16_64 3
		.amdhsa_dx10_clamp 1
		.amdhsa_ieee_mode 1
		.amdhsa_fp16_overflow 0
		.amdhsa_workgroup_processor_mode 1
		.amdhsa_memory_ordered 1
		.amdhsa_forward_progress 0
		.amdhsa_shared_vgpr_count 0
		.amdhsa_exception_fp_ieee_invalid_op 0
		.amdhsa_exception_fp_denorm_src 0
		.amdhsa_exception_fp_ieee_div_zero 0
		.amdhsa_exception_fp_ieee_overflow 0
		.amdhsa_exception_fp_ieee_underflow 0
		.amdhsa_exception_fp_ieee_inexact 0
		.amdhsa_exception_int_div_zero 0
	.end_amdhsa_kernel
	.section	.text._Z26warp_inclusive_scan_kernelIiLj128ELj32EENSt9enable_ifIXsr10test_utilsE35device_test_enabled_for_warp_size_vIXT1_EEEvE4typeEPT_S4_,"axG",@progbits,_Z26warp_inclusive_scan_kernelIiLj128ELj32EENSt9enable_ifIXsr10test_utilsE35device_test_enabled_for_warp_size_vIXT1_EEEvE4typeEPT_S4_,comdat
.Lfunc_end48:
	.size	_Z26warp_inclusive_scan_kernelIiLj128ELj32EENSt9enable_ifIXsr10test_utilsE35device_test_enabled_for_warp_size_vIXT1_EEEvE4typeEPT_S4_, .Lfunc_end48-_Z26warp_inclusive_scan_kernelIiLj128ELj32EENSt9enable_ifIXsr10test_utilsE35device_test_enabled_for_warp_size_vIXT1_EEEvE4typeEPT_S4_
                                        ; -- End function
	.section	.AMDGPU.csdata,"",@progbits
; Kernel info:
; codeLenInByte = 264
; NumSgprs: 18
; NumVgprs: 6
; ScratchSize: 0
; MemoryBound: 0
; FloatMode: 240
; IeeeMode: 1
; LDSByteSize: 0 bytes/workgroup (compile time only)
; SGPRBlocks: 2
; VGPRBlocks: 0
; NumSGPRsForWavesPerEU: 18
; NumVGPRsForWavesPerEU: 6
; Occupancy: 16
; WaveLimiterHint : 0
; COMPUTE_PGM_RSRC2:SCRATCH_EN: 0
; COMPUTE_PGM_RSRC2:USER_SGPR: 15
; COMPUTE_PGM_RSRC2:TRAP_HANDLER: 0
; COMPUTE_PGM_RSRC2:TGID_X_EN: 1
; COMPUTE_PGM_RSRC2:TGID_Y_EN: 0
; COMPUTE_PGM_RSRC2:TGID_Z_EN: 0
; COMPUTE_PGM_RSRC2:TIDIG_COMP_CNT: 0
	.section	.text._Z26warp_inclusive_scan_kernelIiLj64ELj16EENSt9enable_ifIXsr10test_utilsE35device_test_enabled_for_warp_size_vIXT1_EEEvE4typeEPT_S4_,"axG",@progbits,_Z26warp_inclusive_scan_kernelIiLj64ELj16EENSt9enable_ifIXsr10test_utilsE35device_test_enabled_for_warp_size_vIXT1_EEEvE4typeEPT_S4_,comdat
	.protected	_Z26warp_inclusive_scan_kernelIiLj64ELj16EENSt9enable_ifIXsr10test_utilsE35device_test_enabled_for_warp_size_vIXT1_EEEvE4typeEPT_S4_ ; -- Begin function _Z26warp_inclusive_scan_kernelIiLj64ELj16EENSt9enable_ifIXsr10test_utilsE35device_test_enabled_for_warp_size_vIXT1_EEEvE4typeEPT_S4_
	.globl	_Z26warp_inclusive_scan_kernelIiLj64ELj16EENSt9enable_ifIXsr10test_utilsE35device_test_enabled_for_warp_size_vIXT1_EEEvE4typeEPT_S4_
	.p2align	8
	.type	_Z26warp_inclusive_scan_kernelIiLj64ELj16EENSt9enable_ifIXsr10test_utilsE35device_test_enabled_for_warp_size_vIXT1_EEEvE4typeEPT_S4_,@function
_Z26warp_inclusive_scan_kernelIiLj64ELj16EENSt9enable_ifIXsr10test_utilsE35device_test_enabled_for_warp_size_vIXT1_EEEvE4typeEPT_S4_: ; @_Z26warp_inclusive_scan_kernelIiLj64ELj16EENSt9enable_ifIXsr10test_utilsE35device_test_enabled_for_warp_size_vIXT1_EEEvE4typeEPT_S4_
; %bb.0:
	s_clause 0x1
	s_load_b32 s4, s[0:1], 0x1c
	s_load_b128 s[0:3], s[0:1], 0x0
	s_waitcnt lgkmcnt(0)
	s_and_b32 s4, s4, 0xffff
	s_delay_alu instid0(SALU_CYCLE_1) | instskip(SKIP_1) | instid1(VALU_DEP_1)
	v_mad_u64_u32 v[1:2], null, s15, s4, v[0:1]
	v_mov_b32_e32 v2, 0
	v_lshlrev_b64 v[0:1], 2, v[1:2]
	s_delay_alu instid0(VALU_DEP_1) | instskip(NEXT) | instid1(VALU_DEP_2)
	v_add_co_u32 v2, vcc_lo, s0, v0
	v_add_co_ci_u32_e32 v3, vcc_lo, s1, v1, vcc_lo
	global_load_b32 v2, v[2:3], off
	v_mbcnt_lo_u32_b32 v3, -1, 0
	s_delay_alu instid0(VALU_DEP_1) | instskip(NEXT) | instid1(VALU_DEP_1)
	v_and_b32_e32 v3, 15, v3
	v_cmp_ne_u32_e32 vcc_lo, 0, v3
	s_waitcnt vmcnt(0)
	v_mov_b32_dpp v4, v2 row_shr:1 row_mask:0xf bank_mask:0xf
	s_delay_alu instid0(VALU_DEP_1) | instskip(SKIP_1) | instid1(VALU_DEP_2)
	v_cndmask_b32_e32 v4, 0, v4, vcc_lo
	v_cmp_lt_u32_e32 vcc_lo, 1, v3
	v_add_nc_u32_e32 v2, v4, v2
	s_delay_alu instid0(VALU_DEP_1) | instskip(NEXT) | instid1(VALU_DEP_1)
	v_mov_b32_dpp v4, v2 row_shr:2 row_mask:0xf bank_mask:0xf
	v_cndmask_b32_e32 v4, 0, v4, vcc_lo
	v_cmp_lt_u32_e32 vcc_lo, 3, v3
	s_delay_alu instid0(VALU_DEP_2) | instskip(NEXT) | instid1(VALU_DEP_1)
	v_add_nc_u32_e32 v2, v2, v4
	v_mov_b32_dpp v4, v2 row_shr:4 row_mask:0xf bank_mask:0xf
	s_delay_alu instid0(VALU_DEP_1) | instskip(SKIP_1) | instid1(VALU_DEP_2)
	v_cndmask_b32_e32 v4, 0, v4, vcc_lo
	v_cmp_lt_u32_e32 vcc_lo, 7, v3
	v_add_nc_u32_e32 v2, v2, v4
	s_delay_alu instid0(VALU_DEP_1) | instskip(NEXT) | instid1(VALU_DEP_1)
	v_mov_b32_dpp v4, v2 row_shr:8 row_mask:0xf bank_mask:0xf
	v_cndmask_b32_e32 v3, 0, v4, vcc_lo
	v_add_co_u32 v0, vcc_lo, s2, v0
	v_add_co_ci_u32_e32 v1, vcc_lo, s3, v1, vcc_lo
	s_delay_alu instid0(VALU_DEP_3)
	v_add_nc_u32_e32 v2, v2, v3
	global_store_b32 v[0:1], v2, off
	s_nop 0
	s_sendmsg sendmsg(MSG_DEALLOC_VGPRS)
	s_endpgm
	.section	.rodata,"a",@progbits
	.p2align	6, 0x0
	.amdhsa_kernel _Z26warp_inclusive_scan_kernelIiLj64ELj16EENSt9enable_ifIXsr10test_utilsE35device_test_enabled_for_warp_size_vIXT1_EEEvE4typeEPT_S4_
		.amdhsa_group_segment_fixed_size 0
		.amdhsa_private_segment_fixed_size 0
		.amdhsa_kernarg_size 272
		.amdhsa_user_sgpr_count 15
		.amdhsa_user_sgpr_dispatch_ptr 0
		.amdhsa_user_sgpr_queue_ptr 0
		.amdhsa_user_sgpr_kernarg_segment_ptr 1
		.amdhsa_user_sgpr_dispatch_id 0
		.amdhsa_user_sgpr_private_segment_size 0
		.amdhsa_wavefront_size32 1
		.amdhsa_uses_dynamic_stack 0
		.amdhsa_enable_private_segment 0
		.amdhsa_system_sgpr_workgroup_id_x 1
		.amdhsa_system_sgpr_workgroup_id_y 0
		.amdhsa_system_sgpr_workgroup_id_z 0
		.amdhsa_system_sgpr_workgroup_info 0
		.amdhsa_system_vgpr_workitem_id 0
		.amdhsa_next_free_vgpr 5
		.amdhsa_next_free_sgpr 16
		.amdhsa_reserve_vcc 1
		.amdhsa_float_round_mode_32 0
		.amdhsa_float_round_mode_16_64 0
		.amdhsa_float_denorm_mode_32 3
		.amdhsa_float_denorm_mode_16_64 3
		.amdhsa_dx10_clamp 1
		.amdhsa_ieee_mode 1
		.amdhsa_fp16_overflow 0
		.amdhsa_workgroup_processor_mode 1
		.amdhsa_memory_ordered 1
		.amdhsa_forward_progress 0
		.amdhsa_shared_vgpr_count 0
		.amdhsa_exception_fp_ieee_invalid_op 0
		.amdhsa_exception_fp_denorm_src 0
		.amdhsa_exception_fp_ieee_div_zero 0
		.amdhsa_exception_fp_ieee_overflow 0
		.amdhsa_exception_fp_ieee_underflow 0
		.amdhsa_exception_fp_ieee_inexact 0
		.amdhsa_exception_int_div_zero 0
	.end_amdhsa_kernel
	.section	.text._Z26warp_inclusive_scan_kernelIiLj64ELj16EENSt9enable_ifIXsr10test_utilsE35device_test_enabled_for_warp_size_vIXT1_EEEvE4typeEPT_S4_,"axG",@progbits,_Z26warp_inclusive_scan_kernelIiLj64ELj16EENSt9enable_ifIXsr10test_utilsE35device_test_enabled_for_warp_size_vIXT1_EEEvE4typeEPT_S4_,comdat
.Lfunc_end49:
	.size	_Z26warp_inclusive_scan_kernelIiLj64ELj16EENSt9enable_ifIXsr10test_utilsE35device_test_enabled_for_warp_size_vIXT1_EEEvE4typeEPT_S4_, .Lfunc_end49-_Z26warp_inclusive_scan_kernelIiLj64ELj16EENSt9enable_ifIXsr10test_utilsE35device_test_enabled_for_warp_size_vIXT1_EEEvE4typeEPT_S4_
                                        ; -- End function
	.section	.AMDGPU.csdata,"",@progbits
; Kernel info:
; codeLenInByte = 236
; NumSgprs: 18
; NumVgprs: 5
; ScratchSize: 0
; MemoryBound: 0
; FloatMode: 240
; IeeeMode: 1
; LDSByteSize: 0 bytes/workgroup (compile time only)
; SGPRBlocks: 2
; VGPRBlocks: 0
; NumSGPRsForWavesPerEU: 18
; NumVGPRsForWavesPerEU: 5
; Occupancy: 16
; WaveLimiterHint : 0
; COMPUTE_PGM_RSRC2:SCRATCH_EN: 0
; COMPUTE_PGM_RSRC2:USER_SGPR: 15
; COMPUTE_PGM_RSRC2:TRAP_HANDLER: 0
; COMPUTE_PGM_RSRC2:TGID_X_EN: 1
; COMPUTE_PGM_RSRC2:TGID_Y_EN: 0
; COMPUTE_PGM_RSRC2:TGID_Z_EN: 0
; COMPUTE_PGM_RSRC2:TIDIG_COMP_CNT: 0
	.section	.text._Z26warp_inclusive_scan_kernelIiLj32ELj8EENSt9enable_ifIXsr10test_utilsE35device_test_enabled_for_warp_size_vIXT1_EEEvE4typeEPT_S4_,"axG",@progbits,_Z26warp_inclusive_scan_kernelIiLj32ELj8EENSt9enable_ifIXsr10test_utilsE35device_test_enabled_for_warp_size_vIXT1_EEEvE4typeEPT_S4_,comdat
	.protected	_Z26warp_inclusive_scan_kernelIiLj32ELj8EENSt9enable_ifIXsr10test_utilsE35device_test_enabled_for_warp_size_vIXT1_EEEvE4typeEPT_S4_ ; -- Begin function _Z26warp_inclusive_scan_kernelIiLj32ELj8EENSt9enable_ifIXsr10test_utilsE35device_test_enabled_for_warp_size_vIXT1_EEEvE4typeEPT_S4_
	.globl	_Z26warp_inclusive_scan_kernelIiLj32ELj8EENSt9enable_ifIXsr10test_utilsE35device_test_enabled_for_warp_size_vIXT1_EEEvE4typeEPT_S4_
	.p2align	8
	.type	_Z26warp_inclusive_scan_kernelIiLj32ELj8EENSt9enable_ifIXsr10test_utilsE35device_test_enabled_for_warp_size_vIXT1_EEEvE4typeEPT_S4_,@function
_Z26warp_inclusive_scan_kernelIiLj32ELj8EENSt9enable_ifIXsr10test_utilsE35device_test_enabled_for_warp_size_vIXT1_EEEvE4typeEPT_S4_: ; @_Z26warp_inclusive_scan_kernelIiLj32ELj8EENSt9enable_ifIXsr10test_utilsE35device_test_enabled_for_warp_size_vIXT1_EEEvE4typeEPT_S4_
; %bb.0:
	s_clause 0x1
	s_load_b32 s4, s[0:1], 0x1c
	s_load_b128 s[0:3], s[0:1], 0x0
	s_waitcnt lgkmcnt(0)
	s_and_b32 s4, s4, 0xffff
	s_delay_alu instid0(SALU_CYCLE_1) | instskip(SKIP_1) | instid1(VALU_DEP_1)
	v_mad_u64_u32 v[1:2], null, s15, s4, v[0:1]
	v_mov_b32_e32 v2, 0
	v_lshlrev_b64 v[0:1], 2, v[1:2]
	s_delay_alu instid0(VALU_DEP_1) | instskip(NEXT) | instid1(VALU_DEP_2)
	v_add_co_u32 v2, vcc_lo, s0, v0
	v_add_co_ci_u32_e32 v3, vcc_lo, s1, v1, vcc_lo
	global_load_b32 v2, v[2:3], off
	v_mbcnt_lo_u32_b32 v3, -1, 0
	s_delay_alu instid0(VALU_DEP_1) | instskip(NEXT) | instid1(VALU_DEP_1)
	v_and_b32_e32 v3, 7, v3
	v_cmp_ne_u32_e32 vcc_lo, 0, v3
	s_waitcnt vmcnt(0)
	v_mov_b32_dpp v4, v2 row_shr:1 row_mask:0xf bank_mask:0xf
	s_delay_alu instid0(VALU_DEP_1) | instskip(SKIP_1) | instid1(VALU_DEP_2)
	v_cndmask_b32_e32 v4, 0, v4, vcc_lo
	v_cmp_lt_u32_e32 vcc_lo, 1, v3
	v_add_nc_u32_e32 v2, v4, v2
	s_delay_alu instid0(VALU_DEP_1) | instskip(NEXT) | instid1(VALU_DEP_1)
	v_mov_b32_dpp v4, v2 row_shr:2 row_mask:0xf bank_mask:0xf
	v_cndmask_b32_e32 v4, 0, v4, vcc_lo
	v_cmp_lt_u32_e32 vcc_lo, 3, v3
	s_delay_alu instid0(VALU_DEP_2) | instskip(NEXT) | instid1(VALU_DEP_1)
	v_add_nc_u32_e32 v2, v2, v4
	v_mov_b32_dpp v4, v2 row_shr:4 row_mask:0xf bank_mask:0xf
	s_delay_alu instid0(VALU_DEP_1) | instskip(SKIP_2) | instid1(VALU_DEP_3)
	v_cndmask_b32_e32 v3, 0, v4, vcc_lo
	v_add_co_u32 v0, vcc_lo, s2, v0
	v_add_co_ci_u32_e32 v1, vcc_lo, s3, v1, vcc_lo
	v_add_nc_u32_e32 v2, v2, v3
	global_store_b32 v[0:1], v2, off
	s_nop 0
	s_sendmsg sendmsg(MSG_DEALLOC_VGPRS)
	s_endpgm
	.section	.rodata,"a",@progbits
	.p2align	6, 0x0
	.amdhsa_kernel _Z26warp_inclusive_scan_kernelIiLj32ELj8EENSt9enable_ifIXsr10test_utilsE35device_test_enabled_for_warp_size_vIXT1_EEEvE4typeEPT_S4_
		.amdhsa_group_segment_fixed_size 0
		.amdhsa_private_segment_fixed_size 0
		.amdhsa_kernarg_size 272
		.amdhsa_user_sgpr_count 15
		.amdhsa_user_sgpr_dispatch_ptr 0
		.amdhsa_user_sgpr_queue_ptr 0
		.amdhsa_user_sgpr_kernarg_segment_ptr 1
		.amdhsa_user_sgpr_dispatch_id 0
		.amdhsa_user_sgpr_private_segment_size 0
		.amdhsa_wavefront_size32 1
		.amdhsa_uses_dynamic_stack 0
		.amdhsa_enable_private_segment 0
		.amdhsa_system_sgpr_workgroup_id_x 1
		.amdhsa_system_sgpr_workgroup_id_y 0
		.amdhsa_system_sgpr_workgroup_id_z 0
		.amdhsa_system_sgpr_workgroup_info 0
		.amdhsa_system_vgpr_workitem_id 0
		.amdhsa_next_free_vgpr 5
		.amdhsa_next_free_sgpr 16
		.amdhsa_reserve_vcc 1
		.amdhsa_float_round_mode_32 0
		.amdhsa_float_round_mode_16_64 0
		.amdhsa_float_denorm_mode_32 3
		.amdhsa_float_denorm_mode_16_64 3
		.amdhsa_dx10_clamp 1
		.amdhsa_ieee_mode 1
		.amdhsa_fp16_overflow 0
		.amdhsa_workgroup_processor_mode 1
		.amdhsa_memory_ordered 1
		.amdhsa_forward_progress 0
		.amdhsa_shared_vgpr_count 0
		.amdhsa_exception_fp_ieee_invalid_op 0
		.amdhsa_exception_fp_denorm_src 0
		.amdhsa_exception_fp_ieee_div_zero 0
		.amdhsa_exception_fp_ieee_overflow 0
		.amdhsa_exception_fp_ieee_underflow 0
		.amdhsa_exception_fp_ieee_inexact 0
		.amdhsa_exception_int_div_zero 0
	.end_amdhsa_kernel
	.section	.text._Z26warp_inclusive_scan_kernelIiLj32ELj8EENSt9enable_ifIXsr10test_utilsE35device_test_enabled_for_warp_size_vIXT1_EEEvE4typeEPT_S4_,"axG",@progbits,_Z26warp_inclusive_scan_kernelIiLj32ELj8EENSt9enable_ifIXsr10test_utilsE35device_test_enabled_for_warp_size_vIXT1_EEEvE4typeEPT_S4_,comdat
.Lfunc_end50:
	.size	_Z26warp_inclusive_scan_kernelIiLj32ELj8EENSt9enable_ifIXsr10test_utilsE35device_test_enabled_for_warp_size_vIXT1_EEEvE4typeEPT_S4_, .Lfunc_end50-_Z26warp_inclusive_scan_kernelIiLj32ELj8EENSt9enable_ifIXsr10test_utilsE35device_test_enabled_for_warp_size_vIXT1_EEEvE4typeEPT_S4_
                                        ; -- End function
	.section	.AMDGPU.csdata,"",@progbits
; Kernel info:
; codeLenInByte = 208
; NumSgprs: 18
; NumVgprs: 5
; ScratchSize: 0
; MemoryBound: 0
; FloatMode: 240
; IeeeMode: 1
; LDSByteSize: 0 bytes/workgroup (compile time only)
; SGPRBlocks: 2
; VGPRBlocks: 0
; NumSGPRsForWavesPerEU: 18
; NumVGPRsForWavesPerEU: 5
; Occupancy: 16
; WaveLimiterHint : 0
; COMPUTE_PGM_RSRC2:SCRATCH_EN: 0
; COMPUTE_PGM_RSRC2:USER_SGPR: 15
; COMPUTE_PGM_RSRC2:TRAP_HANDLER: 0
; COMPUTE_PGM_RSRC2:TGID_X_EN: 1
; COMPUTE_PGM_RSRC2:TGID_Y_EN: 0
; COMPUTE_PGM_RSRC2:TGID_Z_EN: 0
; COMPUTE_PGM_RSRC2:TIDIG_COMP_CNT: 0
	.section	.text._Z26warp_inclusive_scan_kernelIiLj64ELj8EENSt9enable_ifIXsr10test_utilsE35device_test_enabled_for_warp_size_vIXT1_EEEvE4typeEPT_S4_,"axG",@progbits,_Z26warp_inclusive_scan_kernelIiLj64ELj8EENSt9enable_ifIXsr10test_utilsE35device_test_enabled_for_warp_size_vIXT1_EEEvE4typeEPT_S4_,comdat
	.protected	_Z26warp_inclusive_scan_kernelIiLj64ELj8EENSt9enable_ifIXsr10test_utilsE35device_test_enabled_for_warp_size_vIXT1_EEEvE4typeEPT_S4_ ; -- Begin function _Z26warp_inclusive_scan_kernelIiLj64ELj8EENSt9enable_ifIXsr10test_utilsE35device_test_enabled_for_warp_size_vIXT1_EEEvE4typeEPT_S4_
	.globl	_Z26warp_inclusive_scan_kernelIiLj64ELj8EENSt9enable_ifIXsr10test_utilsE35device_test_enabled_for_warp_size_vIXT1_EEEvE4typeEPT_S4_
	.p2align	8
	.type	_Z26warp_inclusive_scan_kernelIiLj64ELj8EENSt9enable_ifIXsr10test_utilsE35device_test_enabled_for_warp_size_vIXT1_EEEvE4typeEPT_S4_,@function
_Z26warp_inclusive_scan_kernelIiLj64ELj8EENSt9enable_ifIXsr10test_utilsE35device_test_enabled_for_warp_size_vIXT1_EEEvE4typeEPT_S4_: ; @_Z26warp_inclusive_scan_kernelIiLj64ELj8EENSt9enable_ifIXsr10test_utilsE35device_test_enabled_for_warp_size_vIXT1_EEEvE4typeEPT_S4_
; %bb.0:
	s_clause 0x1
	s_load_b32 s4, s[0:1], 0x1c
	s_load_b128 s[0:3], s[0:1], 0x0
	s_waitcnt lgkmcnt(0)
	s_and_b32 s4, s4, 0xffff
	s_delay_alu instid0(SALU_CYCLE_1) | instskip(SKIP_1) | instid1(VALU_DEP_1)
	v_mad_u64_u32 v[1:2], null, s15, s4, v[0:1]
	v_mov_b32_e32 v2, 0
	v_lshlrev_b64 v[0:1], 2, v[1:2]
	s_delay_alu instid0(VALU_DEP_1) | instskip(NEXT) | instid1(VALU_DEP_2)
	v_add_co_u32 v2, vcc_lo, s0, v0
	v_add_co_ci_u32_e32 v3, vcc_lo, s1, v1, vcc_lo
	global_load_b32 v2, v[2:3], off
	v_mbcnt_lo_u32_b32 v3, -1, 0
	s_delay_alu instid0(VALU_DEP_1) | instskip(NEXT) | instid1(VALU_DEP_1)
	v_and_b32_e32 v3, 7, v3
	v_cmp_ne_u32_e32 vcc_lo, 0, v3
	s_waitcnt vmcnt(0)
	v_mov_b32_dpp v4, v2 row_shr:1 row_mask:0xf bank_mask:0xf
	s_delay_alu instid0(VALU_DEP_1) | instskip(SKIP_1) | instid1(VALU_DEP_2)
	v_cndmask_b32_e32 v4, 0, v4, vcc_lo
	v_cmp_lt_u32_e32 vcc_lo, 1, v3
	v_add_nc_u32_e32 v2, v4, v2
	s_delay_alu instid0(VALU_DEP_1) | instskip(NEXT) | instid1(VALU_DEP_1)
	v_mov_b32_dpp v4, v2 row_shr:2 row_mask:0xf bank_mask:0xf
	v_cndmask_b32_e32 v4, 0, v4, vcc_lo
	v_cmp_lt_u32_e32 vcc_lo, 3, v3
	s_delay_alu instid0(VALU_DEP_2) | instskip(NEXT) | instid1(VALU_DEP_1)
	v_add_nc_u32_e32 v2, v2, v4
	v_mov_b32_dpp v4, v2 row_shr:4 row_mask:0xf bank_mask:0xf
	s_delay_alu instid0(VALU_DEP_1) | instskip(SKIP_2) | instid1(VALU_DEP_3)
	v_cndmask_b32_e32 v3, 0, v4, vcc_lo
	v_add_co_u32 v0, vcc_lo, s2, v0
	v_add_co_ci_u32_e32 v1, vcc_lo, s3, v1, vcc_lo
	v_add_nc_u32_e32 v2, v2, v3
	global_store_b32 v[0:1], v2, off
	s_nop 0
	s_sendmsg sendmsg(MSG_DEALLOC_VGPRS)
	s_endpgm
	.section	.rodata,"a",@progbits
	.p2align	6, 0x0
	.amdhsa_kernel _Z26warp_inclusive_scan_kernelIiLj64ELj8EENSt9enable_ifIXsr10test_utilsE35device_test_enabled_for_warp_size_vIXT1_EEEvE4typeEPT_S4_
		.amdhsa_group_segment_fixed_size 0
		.amdhsa_private_segment_fixed_size 0
		.amdhsa_kernarg_size 272
		.amdhsa_user_sgpr_count 15
		.amdhsa_user_sgpr_dispatch_ptr 0
		.amdhsa_user_sgpr_queue_ptr 0
		.amdhsa_user_sgpr_kernarg_segment_ptr 1
		.amdhsa_user_sgpr_dispatch_id 0
		.amdhsa_user_sgpr_private_segment_size 0
		.amdhsa_wavefront_size32 1
		.amdhsa_uses_dynamic_stack 0
		.amdhsa_enable_private_segment 0
		.amdhsa_system_sgpr_workgroup_id_x 1
		.amdhsa_system_sgpr_workgroup_id_y 0
		.amdhsa_system_sgpr_workgroup_id_z 0
		.amdhsa_system_sgpr_workgroup_info 0
		.amdhsa_system_vgpr_workitem_id 0
		.amdhsa_next_free_vgpr 5
		.amdhsa_next_free_sgpr 16
		.amdhsa_reserve_vcc 1
		.amdhsa_float_round_mode_32 0
		.amdhsa_float_round_mode_16_64 0
		.amdhsa_float_denorm_mode_32 3
		.amdhsa_float_denorm_mode_16_64 3
		.amdhsa_dx10_clamp 1
		.amdhsa_ieee_mode 1
		.amdhsa_fp16_overflow 0
		.amdhsa_workgroup_processor_mode 1
		.amdhsa_memory_ordered 1
		.amdhsa_forward_progress 0
		.amdhsa_shared_vgpr_count 0
		.amdhsa_exception_fp_ieee_invalid_op 0
		.amdhsa_exception_fp_denorm_src 0
		.amdhsa_exception_fp_ieee_div_zero 0
		.amdhsa_exception_fp_ieee_overflow 0
		.amdhsa_exception_fp_ieee_underflow 0
		.amdhsa_exception_fp_ieee_inexact 0
		.amdhsa_exception_int_div_zero 0
	.end_amdhsa_kernel
	.section	.text._Z26warp_inclusive_scan_kernelIiLj64ELj8EENSt9enable_ifIXsr10test_utilsE35device_test_enabled_for_warp_size_vIXT1_EEEvE4typeEPT_S4_,"axG",@progbits,_Z26warp_inclusive_scan_kernelIiLj64ELj8EENSt9enable_ifIXsr10test_utilsE35device_test_enabled_for_warp_size_vIXT1_EEEvE4typeEPT_S4_,comdat
.Lfunc_end51:
	.size	_Z26warp_inclusive_scan_kernelIiLj64ELj8EENSt9enable_ifIXsr10test_utilsE35device_test_enabled_for_warp_size_vIXT1_EEEvE4typeEPT_S4_, .Lfunc_end51-_Z26warp_inclusive_scan_kernelIiLj64ELj8EENSt9enable_ifIXsr10test_utilsE35device_test_enabled_for_warp_size_vIXT1_EEEvE4typeEPT_S4_
                                        ; -- End function
	.section	.AMDGPU.csdata,"",@progbits
; Kernel info:
; codeLenInByte = 208
; NumSgprs: 18
; NumVgprs: 5
; ScratchSize: 0
; MemoryBound: 0
; FloatMode: 240
; IeeeMode: 1
; LDSByteSize: 0 bytes/workgroup (compile time only)
; SGPRBlocks: 2
; VGPRBlocks: 0
; NumSGPRsForWavesPerEU: 18
; NumVGPRsForWavesPerEU: 5
; Occupancy: 16
; WaveLimiterHint : 0
; COMPUTE_PGM_RSRC2:SCRATCH_EN: 0
; COMPUTE_PGM_RSRC2:USER_SGPR: 15
; COMPUTE_PGM_RSRC2:TRAP_HANDLER: 0
; COMPUTE_PGM_RSRC2:TGID_X_EN: 1
; COMPUTE_PGM_RSRC2:TGID_Y_EN: 0
; COMPUTE_PGM_RSRC2:TGID_Z_EN: 0
; COMPUTE_PGM_RSRC2:TIDIG_COMP_CNT: 0
	.section	.text._Z26warp_inclusive_scan_kernelIiLj32ELj4EENSt9enable_ifIXsr10test_utilsE35device_test_enabled_for_warp_size_vIXT1_EEEvE4typeEPT_S4_,"axG",@progbits,_Z26warp_inclusive_scan_kernelIiLj32ELj4EENSt9enable_ifIXsr10test_utilsE35device_test_enabled_for_warp_size_vIXT1_EEEvE4typeEPT_S4_,comdat
	.protected	_Z26warp_inclusive_scan_kernelIiLj32ELj4EENSt9enable_ifIXsr10test_utilsE35device_test_enabled_for_warp_size_vIXT1_EEEvE4typeEPT_S4_ ; -- Begin function _Z26warp_inclusive_scan_kernelIiLj32ELj4EENSt9enable_ifIXsr10test_utilsE35device_test_enabled_for_warp_size_vIXT1_EEEvE4typeEPT_S4_
	.globl	_Z26warp_inclusive_scan_kernelIiLj32ELj4EENSt9enable_ifIXsr10test_utilsE35device_test_enabled_for_warp_size_vIXT1_EEEvE4typeEPT_S4_
	.p2align	8
	.type	_Z26warp_inclusive_scan_kernelIiLj32ELj4EENSt9enable_ifIXsr10test_utilsE35device_test_enabled_for_warp_size_vIXT1_EEEvE4typeEPT_S4_,@function
_Z26warp_inclusive_scan_kernelIiLj32ELj4EENSt9enable_ifIXsr10test_utilsE35device_test_enabled_for_warp_size_vIXT1_EEEvE4typeEPT_S4_: ; @_Z26warp_inclusive_scan_kernelIiLj32ELj4EENSt9enable_ifIXsr10test_utilsE35device_test_enabled_for_warp_size_vIXT1_EEEvE4typeEPT_S4_
; %bb.0:
	s_clause 0x1
	s_load_b32 s4, s[0:1], 0x1c
	s_load_b128 s[0:3], s[0:1], 0x0
	s_waitcnt lgkmcnt(0)
	s_and_b32 s4, s4, 0xffff
	s_delay_alu instid0(SALU_CYCLE_1) | instskip(SKIP_1) | instid1(VALU_DEP_1)
	v_mad_u64_u32 v[1:2], null, s15, s4, v[0:1]
	v_mov_b32_e32 v2, 0
	v_lshlrev_b64 v[0:1], 2, v[1:2]
	s_delay_alu instid0(VALU_DEP_1) | instskip(NEXT) | instid1(VALU_DEP_2)
	v_add_co_u32 v2, vcc_lo, s0, v0
	v_add_co_ci_u32_e32 v3, vcc_lo, s1, v1, vcc_lo
	global_load_b32 v2, v[2:3], off
	v_mbcnt_lo_u32_b32 v3, -1, 0
	s_delay_alu instid0(VALU_DEP_1) | instskip(NEXT) | instid1(VALU_DEP_1)
	v_and_b32_e32 v3, 3, v3
	v_cmp_ne_u32_e32 vcc_lo, 0, v3
	s_waitcnt vmcnt(0)
	v_mov_b32_dpp v4, v2 row_shr:1 row_mask:0xf bank_mask:0xf
	s_delay_alu instid0(VALU_DEP_1) | instskip(SKIP_1) | instid1(VALU_DEP_2)
	v_cndmask_b32_e32 v4, 0, v4, vcc_lo
	v_cmp_lt_u32_e32 vcc_lo, 1, v3
	v_add_nc_u32_e32 v2, v4, v2
	s_delay_alu instid0(VALU_DEP_1) | instskip(NEXT) | instid1(VALU_DEP_1)
	v_mov_b32_dpp v4, v2 row_shr:2 row_mask:0xf bank_mask:0xf
	v_cndmask_b32_e32 v3, 0, v4, vcc_lo
	v_add_co_u32 v0, vcc_lo, s2, v0
	v_add_co_ci_u32_e32 v1, vcc_lo, s3, v1, vcc_lo
	s_delay_alu instid0(VALU_DEP_3)
	v_add_nc_u32_e32 v2, v2, v3
	global_store_b32 v[0:1], v2, off
	s_nop 0
	s_sendmsg sendmsg(MSG_DEALLOC_VGPRS)
	s_endpgm
	.section	.rodata,"a",@progbits
	.p2align	6, 0x0
	.amdhsa_kernel _Z26warp_inclusive_scan_kernelIiLj32ELj4EENSt9enable_ifIXsr10test_utilsE35device_test_enabled_for_warp_size_vIXT1_EEEvE4typeEPT_S4_
		.amdhsa_group_segment_fixed_size 0
		.amdhsa_private_segment_fixed_size 0
		.amdhsa_kernarg_size 272
		.amdhsa_user_sgpr_count 15
		.amdhsa_user_sgpr_dispatch_ptr 0
		.amdhsa_user_sgpr_queue_ptr 0
		.amdhsa_user_sgpr_kernarg_segment_ptr 1
		.amdhsa_user_sgpr_dispatch_id 0
		.amdhsa_user_sgpr_private_segment_size 0
		.amdhsa_wavefront_size32 1
		.amdhsa_uses_dynamic_stack 0
		.amdhsa_enable_private_segment 0
		.amdhsa_system_sgpr_workgroup_id_x 1
		.amdhsa_system_sgpr_workgroup_id_y 0
		.amdhsa_system_sgpr_workgroup_id_z 0
		.amdhsa_system_sgpr_workgroup_info 0
		.amdhsa_system_vgpr_workitem_id 0
		.amdhsa_next_free_vgpr 5
		.amdhsa_next_free_sgpr 16
		.amdhsa_reserve_vcc 1
		.amdhsa_float_round_mode_32 0
		.amdhsa_float_round_mode_16_64 0
		.amdhsa_float_denorm_mode_32 3
		.amdhsa_float_denorm_mode_16_64 3
		.amdhsa_dx10_clamp 1
		.amdhsa_ieee_mode 1
		.amdhsa_fp16_overflow 0
		.amdhsa_workgroup_processor_mode 1
		.amdhsa_memory_ordered 1
		.amdhsa_forward_progress 0
		.amdhsa_shared_vgpr_count 0
		.amdhsa_exception_fp_ieee_invalid_op 0
		.amdhsa_exception_fp_denorm_src 0
		.amdhsa_exception_fp_ieee_div_zero 0
		.amdhsa_exception_fp_ieee_overflow 0
		.amdhsa_exception_fp_ieee_underflow 0
		.amdhsa_exception_fp_ieee_inexact 0
		.amdhsa_exception_int_div_zero 0
	.end_amdhsa_kernel
	.section	.text._Z26warp_inclusive_scan_kernelIiLj32ELj4EENSt9enable_ifIXsr10test_utilsE35device_test_enabled_for_warp_size_vIXT1_EEEvE4typeEPT_S4_,"axG",@progbits,_Z26warp_inclusive_scan_kernelIiLj32ELj4EENSt9enable_ifIXsr10test_utilsE35device_test_enabled_for_warp_size_vIXT1_EEEvE4typeEPT_S4_,comdat
.Lfunc_end52:
	.size	_Z26warp_inclusive_scan_kernelIiLj32ELj4EENSt9enable_ifIXsr10test_utilsE35device_test_enabled_for_warp_size_vIXT1_EEEvE4typeEPT_S4_, .Lfunc_end52-_Z26warp_inclusive_scan_kernelIiLj32ELj4EENSt9enable_ifIXsr10test_utilsE35device_test_enabled_for_warp_size_vIXT1_EEEvE4typeEPT_S4_
                                        ; -- End function
	.section	.AMDGPU.csdata,"",@progbits
; Kernel info:
; codeLenInByte = 184
; NumSgprs: 18
; NumVgprs: 5
; ScratchSize: 0
; MemoryBound: 0
; FloatMode: 240
; IeeeMode: 1
; LDSByteSize: 0 bytes/workgroup (compile time only)
; SGPRBlocks: 2
; VGPRBlocks: 0
; NumSGPRsForWavesPerEU: 18
; NumVGPRsForWavesPerEU: 5
; Occupancy: 16
; WaveLimiterHint : 0
; COMPUTE_PGM_RSRC2:SCRATCH_EN: 0
; COMPUTE_PGM_RSRC2:USER_SGPR: 15
; COMPUTE_PGM_RSRC2:TRAP_HANDLER: 0
; COMPUTE_PGM_RSRC2:TGID_X_EN: 1
; COMPUTE_PGM_RSRC2:TGID_Y_EN: 0
; COMPUTE_PGM_RSRC2:TGID_Z_EN: 0
; COMPUTE_PGM_RSRC2:TIDIG_COMP_CNT: 0
	.section	.text._Z26warp_inclusive_scan_kernelIiLj64ELj4EENSt9enable_ifIXsr10test_utilsE35device_test_enabled_for_warp_size_vIXT1_EEEvE4typeEPT_S4_,"axG",@progbits,_Z26warp_inclusive_scan_kernelIiLj64ELj4EENSt9enable_ifIXsr10test_utilsE35device_test_enabled_for_warp_size_vIXT1_EEEvE4typeEPT_S4_,comdat
	.protected	_Z26warp_inclusive_scan_kernelIiLj64ELj4EENSt9enable_ifIXsr10test_utilsE35device_test_enabled_for_warp_size_vIXT1_EEEvE4typeEPT_S4_ ; -- Begin function _Z26warp_inclusive_scan_kernelIiLj64ELj4EENSt9enable_ifIXsr10test_utilsE35device_test_enabled_for_warp_size_vIXT1_EEEvE4typeEPT_S4_
	.globl	_Z26warp_inclusive_scan_kernelIiLj64ELj4EENSt9enable_ifIXsr10test_utilsE35device_test_enabled_for_warp_size_vIXT1_EEEvE4typeEPT_S4_
	.p2align	8
	.type	_Z26warp_inclusive_scan_kernelIiLj64ELj4EENSt9enable_ifIXsr10test_utilsE35device_test_enabled_for_warp_size_vIXT1_EEEvE4typeEPT_S4_,@function
_Z26warp_inclusive_scan_kernelIiLj64ELj4EENSt9enable_ifIXsr10test_utilsE35device_test_enabled_for_warp_size_vIXT1_EEEvE4typeEPT_S4_: ; @_Z26warp_inclusive_scan_kernelIiLj64ELj4EENSt9enable_ifIXsr10test_utilsE35device_test_enabled_for_warp_size_vIXT1_EEEvE4typeEPT_S4_
; %bb.0:
	s_clause 0x1
	s_load_b32 s4, s[0:1], 0x1c
	s_load_b128 s[0:3], s[0:1], 0x0
	s_waitcnt lgkmcnt(0)
	s_and_b32 s4, s4, 0xffff
	s_delay_alu instid0(SALU_CYCLE_1) | instskip(SKIP_1) | instid1(VALU_DEP_1)
	v_mad_u64_u32 v[1:2], null, s15, s4, v[0:1]
	v_mov_b32_e32 v2, 0
	v_lshlrev_b64 v[0:1], 2, v[1:2]
	s_delay_alu instid0(VALU_DEP_1) | instskip(NEXT) | instid1(VALU_DEP_2)
	v_add_co_u32 v2, vcc_lo, s0, v0
	v_add_co_ci_u32_e32 v3, vcc_lo, s1, v1, vcc_lo
	global_load_b32 v2, v[2:3], off
	v_mbcnt_lo_u32_b32 v3, -1, 0
	s_delay_alu instid0(VALU_DEP_1) | instskip(NEXT) | instid1(VALU_DEP_1)
	v_and_b32_e32 v3, 3, v3
	v_cmp_ne_u32_e32 vcc_lo, 0, v3
	s_waitcnt vmcnt(0)
	v_mov_b32_dpp v4, v2 row_shr:1 row_mask:0xf bank_mask:0xf
	s_delay_alu instid0(VALU_DEP_1) | instskip(SKIP_1) | instid1(VALU_DEP_2)
	v_cndmask_b32_e32 v4, 0, v4, vcc_lo
	v_cmp_lt_u32_e32 vcc_lo, 1, v3
	v_add_nc_u32_e32 v2, v4, v2
	s_delay_alu instid0(VALU_DEP_1) | instskip(NEXT) | instid1(VALU_DEP_1)
	v_mov_b32_dpp v4, v2 row_shr:2 row_mask:0xf bank_mask:0xf
	v_cndmask_b32_e32 v3, 0, v4, vcc_lo
	v_add_co_u32 v0, vcc_lo, s2, v0
	v_add_co_ci_u32_e32 v1, vcc_lo, s3, v1, vcc_lo
	s_delay_alu instid0(VALU_DEP_3)
	v_add_nc_u32_e32 v2, v2, v3
	global_store_b32 v[0:1], v2, off
	s_nop 0
	s_sendmsg sendmsg(MSG_DEALLOC_VGPRS)
	s_endpgm
	.section	.rodata,"a",@progbits
	.p2align	6, 0x0
	.amdhsa_kernel _Z26warp_inclusive_scan_kernelIiLj64ELj4EENSt9enable_ifIXsr10test_utilsE35device_test_enabled_for_warp_size_vIXT1_EEEvE4typeEPT_S4_
		.amdhsa_group_segment_fixed_size 0
		.amdhsa_private_segment_fixed_size 0
		.amdhsa_kernarg_size 272
		.amdhsa_user_sgpr_count 15
		.amdhsa_user_sgpr_dispatch_ptr 0
		.amdhsa_user_sgpr_queue_ptr 0
		.amdhsa_user_sgpr_kernarg_segment_ptr 1
		.amdhsa_user_sgpr_dispatch_id 0
		.amdhsa_user_sgpr_private_segment_size 0
		.amdhsa_wavefront_size32 1
		.amdhsa_uses_dynamic_stack 0
		.amdhsa_enable_private_segment 0
		.amdhsa_system_sgpr_workgroup_id_x 1
		.amdhsa_system_sgpr_workgroup_id_y 0
		.amdhsa_system_sgpr_workgroup_id_z 0
		.amdhsa_system_sgpr_workgroup_info 0
		.amdhsa_system_vgpr_workitem_id 0
		.amdhsa_next_free_vgpr 5
		.amdhsa_next_free_sgpr 16
		.amdhsa_reserve_vcc 1
		.amdhsa_float_round_mode_32 0
		.amdhsa_float_round_mode_16_64 0
		.amdhsa_float_denorm_mode_32 3
		.amdhsa_float_denorm_mode_16_64 3
		.amdhsa_dx10_clamp 1
		.amdhsa_ieee_mode 1
		.amdhsa_fp16_overflow 0
		.amdhsa_workgroup_processor_mode 1
		.amdhsa_memory_ordered 1
		.amdhsa_forward_progress 0
		.amdhsa_shared_vgpr_count 0
		.amdhsa_exception_fp_ieee_invalid_op 0
		.amdhsa_exception_fp_denorm_src 0
		.amdhsa_exception_fp_ieee_div_zero 0
		.amdhsa_exception_fp_ieee_overflow 0
		.amdhsa_exception_fp_ieee_underflow 0
		.amdhsa_exception_fp_ieee_inexact 0
		.amdhsa_exception_int_div_zero 0
	.end_amdhsa_kernel
	.section	.text._Z26warp_inclusive_scan_kernelIiLj64ELj4EENSt9enable_ifIXsr10test_utilsE35device_test_enabled_for_warp_size_vIXT1_EEEvE4typeEPT_S4_,"axG",@progbits,_Z26warp_inclusive_scan_kernelIiLj64ELj4EENSt9enable_ifIXsr10test_utilsE35device_test_enabled_for_warp_size_vIXT1_EEEvE4typeEPT_S4_,comdat
.Lfunc_end53:
	.size	_Z26warp_inclusive_scan_kernelIiLj64ELj4EENSt9enable_ifIXsr10test_utilsE35device_test_enabled_for_warp_size_vIXT1_EEEvE4typeEPT_S4_, .Lfunc_end53-_Z26warp_inclusive_scan_kernelIiLj64ELj4EENSt9enable_ifIXsr10test_utilsE35device_test_enabled_for_warp_size_vIXT1_EEEvE4typeEPT_S4_
                                        ; -- End function
	.section	.AMDGPU.csdata,"",@progbits
; Kernel info:
; codeLenInByte = 184
; NumSgprs: 18
; NumVgprs: 5
; ScratchSize: 0
; MemoryBound: 0
; FloatMode: 240
; IeeeMode: 1
; LDSByteSize: 0 bytes/workgroup (compile time only)
; SGPRBlocks: 2
; VGPRBlocks: 0
; NumSGPRsForWavesPerEU: 18
; NumVGPRsForWavesPerEU: 5
; Occupancy: 16
; WaveLimiterHint : 0
; COMPUTE_PGM_RSRC2:SCRATCH_EN: 0
; COMPUTE_PGM_RSRC2:USER_SGPR: 15
; COMPUTE_PGM_RSRC2:TRAP_HANDLER: 0
; COMPUTE_PGM_RSRC2:TGID_X_EN: 1
; COMPUTE_PGM_RSRC2:TGID_Y_EN: 0
; COMPUTE_PGM_RSRC2:TGID_Z_EN: 0
; COMPUTE_PGM_RSRC2:TIDIG_COMP_CNT: 0
	.section	.text._Z26warp_inclusive_scan_kernelIiLj32ELj2EENSt9enable_ifIXsr10test_utilsE35device_test_enabled_for_warp_size_vIXT1_EEEvE4typeEPT_S4_,"axG",@progbits,_Z26warp_inclusive_scan_kernelIiLj32ELj2EENSt9enable_ifIXsr10test_utilsE35device_test_enabled_for_warp_size_vIXT1_EEEvE4typeEPT_S4_,comdat
	.protected	_Z26warp_inclusive_scan_kernelIiLj32ELj2EENSt9enable_ifIXsr10test_utilsE35device_test_enabled_for_warp_size_vIXT1_EEEvE4typeEPT_S4_ ; -- Begin function _Z26warp_inclusive_scan_kernelIiLj32ELj2EENSt9enable_ifIXsr10test_utilsE35device_test_enabled_for_warp_size_vIXT1_EEEvE4typeEPT_S4_
	.globl	_Z26warp_inclusive_scan_kernelIiLj32ELj2EENSt9enable_ifIXsr10test_utilsE35device_test_enabled_for_warp_size_vIXT1_EEEvE4typeEPT_S4_
	.p2align	8
	.type	_Z26warp_inclusive_scan_kernelIiLj32ELj2EENSt9enable_ifIXsr10test_utilsE35device_test_enabled_for_warp_size_vIXT1_EEEvE4typeEPT_S4_,@function
_Z26warp_inclusive_scan_kernelIiLj32ELj2EENSt9enable_ifIXsr10test_utilsE35device_test_enabled_for_warp_size_vIXT1_EEEvE4typeEPT_S4_: ; @_Z26warp_inclusive_scan_kernelIiLj32ELj2EENSt9enable_ifIXsr10test_utilsE35device_test_enabled_for_warp_size_vIXT1_EEEvE4typeEPT_S4_
; %bb.0:
	s_clause 0x1
	s_load_b32 s4, s[0:1], 0x1c
	s_load_b128 s[0:3], s[0:1], 0x0
	s_waitcnt lgkmcnt(0)
	s_and_b32 s4, s4, 0xffff
	s_delay_alu instid0(SALU_CYCLE_1) | instskip(SKIP_1) | instid1(VALU_DEP_1)
	v_mad_u64_u32 v[1:2], null, s15, s4, v[0:1]
	v_mov_b32_e32 v2, 0
	v_lshlrev_b64 v[0:1], 2, v[1:2]
	s_delay_alu instid0(VALU_DEP_1) | instskip(NEXT) | instid1(VALU_DEP_2)
	v_add_co_u32 v2, vcc_lo, s0, v0
	v_add_co_ci_u32_e32 v3, vcc_lo, s1, v1, vcc_lo
	v_add_co_u32 v0, vcc_lo, s2, v0
	v_add_co_ci_u32_e32 v1, vcc_lo, s3, v1, vcc_lo
	global_load_b32 v2, v[2:3], off
	v_mbcnt_lo_u32_b32 v3, -1, 0
	s_delay_alu instid0(VALU_DEP_1) | instskip(SKIP_2) | instid1(VALU_DEP_1)
	v_bfe_i32 v3, v3, 0, 1
	s_waitcnt vmcnt(0)
	v_mov_b32_dpp v4, v2 row_shr:1 row_mask:0xf bank_mask:0xf
	v_and_b32_e32 v3, v3, v4
	s_delay_alu instid0(VALU_DEP_1)
	v_add_nc_u32_e32 v2, v3, v2
	global_store_b32 v[0:1], v2, off
	s_nop 0
	s_sendmsg sendmsg(MSG_DEALLOC_VGPRS)
	s_endpgm
	.section	.rodata,"a",@progbits
	.p2align	6, 0x0
	.amdhsa_kernel _Z26warp_inclusive_scan_kernelIiLj32ELj2EENSt9enable_ifIXsr10test_utilsE35device_test_enabled_for_warp_size_vIXT1_EEEvE4typeEPT_S4_
		.amdhsa_group_segment_fixed_size 0
		.amdhsa_private_segment_fixed_size 0
		.amdhsa_kernarg_size 272
		.amdhsa_user_sgpr_count 15
		.amdhsa_user_sgpr_dispatch_ptr 0
		.amdhsa_user_sgpr_queue_ptr 0
		.amdhsa_user_sgpr_kernarg_segment_ptr 1
		.amdhsa_user_sgpr_dispatch_id 0
		.amdhsa_user_sgpr_private_segment_size 0
		.amdhsa_wavefront_size32 1
		.amdhsa_uses_dynamic_stack 0
		.amdhsa_enable_private_segment 0
		.amdhsa_system_sgpr_workgroup_id_x 1
		.amdhsa_system_sgpr_workgroup_id_y 0
		.amdhsa_system_sgpr_workgroup_id_z 0
		.amdhsa_system_sgpr_workgroup_info 0
		.amdhsa_system_vgpr_workitem_id 0
		.amdhsa_next_free_vgpr 5
		.amdhsa_next_free_sgpr 16
		.amdhsa_reserve_vcc 1
		.amdhsa_float_round_mode_32 0
		.amdhsa_float_round_mode_16_64 0
		.amdhsa_float_denorm_mode_32 3
		.amdhsa_float_denorm_mode_16_64 3
		.amdhsa_dx10_clamp 1
		.amdhsa_ieee_mode 1
		.amdhsa_fp16_overflow 0
		.amdhsa_workgroup_processor_mode 1
		.amdhsa_memory_ordered 1
		.amdhsa_forward_progress 0
		.amdhsa_shared_vgpr_count 0
		.amdhsa_exception_fp_ieee_invalid_op 0
		.amdhsa_exception_fp_denorm_src 0
		.amdhsa_exception_fp_ieee_div_zero 0
		.amdhsa_exception_fp_ieee_overflow 0
		.amdhsa_exception_fp_ieee_underflow 0
		.amdhsa_exception_fp_ieee_inexact 0
		.amdhsa_exception_int_div_zero 0
	.end_amdhsa_kernel
	.section	.text._Z26warp_inclusive_scan_kernelIiLj32ELj2EENSt9enable_ifIXsr10test_utilsE35device_test_enabled_for_warp_size_vIXT1_EEEvE4typeEPT_S4_,"axG",@progbits,_Z26warp_inclusive_scan_kernelIiLj32ELj2EENSt9enable_ifIXsr10test_utilsE35device_test_enabled_for_warp_size_vIXT1_EEEvE4typeEPT_S4_,comdat
.Lfunc_end54:
	.size	_Z26warp_inclusive_scan_kernelIiLj32ELj2EENSt9enable_ifIXsr10test_utilsE35device_test_enabled_for_warp_size_vIXT1_EEEvE4typeEPT_S4_, .Lfunc_end54-_Z26warp_inclusive_scan_kernelIiLj32ELj2EENSt9enable_ifIXsr10test_utilsE35device_test_enabled_for_warp_size_vIXT1_EEEvE4typeEPT_S4_
                                        ; -- End function
	.section	.AMDGPU.csdata,"",@progbits
; Kernel info:
; codeLenInByte = 156
; NumSgprs: 18
; NumVgprs: 5
; ScratchSize: 0
; MemoryBound: 0
; FloatMode: 240
; IeeeMode: 1
; LDSByteSize: 0 bytes/workgroup (compile time only)
; SGPRBlocks: 2
; VGPRBlocks: 0
; NumSGPRsForWavesPerEU: 18
; NumVGPRsForWavesPerEU: 5
; Occupancy: 16
; WaveLimiterHint : 0
; COMPUTE_PGM_RSRC2:SCRATCH_EN: 0
; COMPUTE_PGM_RSRC2:USER_SGPR: 15
; COMPUTE_PGM_RSRC2:TRAP_HANDLER: 0
; COMPUTE_PGM_RSRC2:TGID_X_EN: 1
; COMPUTE_PGM_RSRC2:TGID_Y_EN: 0
; COMPUTE_PGM_RSRC2:TGID_Z_EN: 0
; COMPUTE_PGM_RSRC2:TIDIG_COMP_CNT: 0
	.section	.text._Z26warp_inclusive_scan_kernelIiLj64ELj2EENSt9enable_ifIXsr10test_utilsE35device_test_enabled_for_warp_size_vIXT1_EEEvE4typeEPT_S4_,"axG",@progbits,_Z26warp_inclusive_scan_kernelIiLj64ELj2EENSt9enable_ifIXsr10test_utilsE35device_test_enabled_for_warp_size_vIXT1_EEEvE4typeEPT_S4_,comdat
	.protected	_Z26warp_inclusive_scan_kernelIiLj64ELj2EENSt9enable_ifIXsr10test_utilsE35device_test_enabled_for_warp_size_vIXT1_EEEvE4typeEPT_S4_ ; -- Begin function _Z26warp_inclusive_scan_kernelIiLj64ELj2EENSt9enable_ifIXsr10test_utilsE35device_test_enabled_for_warp_size_vIXT1_EEEvE4typeEPT_S4_
	.globl	_Z26warp_inclusive_scan_kernelIiLj64ELj2EENSt9enable_ifIXsr10test_utilsE35device_test_enabled_for_warp_size_vIXT1_EEEvE4typeEPT_S4_
	.p2align	8
	.type	_Z26warp_inclusive_scan_kernelIiLj64ELj2EENSt9enable_ifIXsr10test_utilsE35device_test_enabled_for_warp_size_vIXT1_EEEvE4typeEPT_S4_,@function
_Z26warp_inclusive_scan_kernelIiLj64ELj2EENSt9enable_ifIXsr10test_utilsE35device_test_enabled_for_warp_size_vIXT1_EEEvE4typeEPT_S4_: ; @_Z26warp_inclusive_scan_kernelIiLj64ELj2EENSt9enable_ifIXsr10test_utilsE35device_test_enabled_for_warp_size_vIXT1_EEEvE4typeEPT_S4_
; %bb.0:
	s_clause 0x1
	s_load_b32 s4, s[0:1], 0x1c
	s_load_b128 s[0:3], s[0:1], 0x0
	s_waitcnt lgkmcnt(0)
	s_and_b32 s4, s4, 0xffff
	s_delay_alu instid0(SALU_CYCLE_1) | instskip(SKIP_1) | instid1(VALU_DEP_1)
	v_mad_u64_u32 v[1:2], null, s15, s4, v[0:1]
	v_mov_b32_e32 v2, 0
	v_lshlrev_b64 v[0:1], 2, v[1:2]
	s_delay_alu instid0(VALU_DEP_1) | instskip(NEXT) | instid1(VALU_DEP_2)
	v_add_co_u32 v2, vcc_lo, s0, v0
	v_add_co_ci_u32_e32 v3, vcc_lo, s1, v1, vcc_lo
	v_add_co_u32 v0, vcc_lo, s2, v0
	v_add_co_ci_u32_e32 v1, vcc_lo, s3, v1, vcc_lo
	global_load_b32 v2, v[2:3], off
	v_mbcnt_lo_u32_b32 v3, -1, 0
	s_delay_alu instid0(VALU_DEP_1) | instskip(SKIP_2) | instid1(VALU_DEP_1)
	v_bfe_i32 v3, v3, 0, 1
	s_waitcnt vmcnt(0)
	v_mov_b32_dpp v4, v2 row_shr:1 row_mask:0xf bank_mask:0xf
	v_and_b32_e32 v3, v3, v4
	s_delay_alu instid0(VALU_DEP_1)
	v_add_nc_u32_e32 v2, v3, v2
	global_store_b32 v[0:1], v2, off
	s_nop 0
	s_sendmsg sendmsg(MSG_DEALLOC_VGPRS)
	s_endpgm
	.section	.rodata,"a",@progbits
	.p2align	6, 0x0
	.amdhsa_kernel _Z26warp_inclusive_scan_kernelIiLj64ELj2EENSt9enable_ifIXsr10test_utilsE35device_test_enabled_for_warp_size_vIXT1_EEEvE4typeEPT_S4_
		.amdhsa_group_segment_fixed_size 0
		.amdhsa_private_segment_fixed_size 0
		.amdhsa_kernarg_size 272
		.amdhsa_user_sgpr_count 15
		.amdhsa_user_sgpr_dispatch_ptr 0
		.amdhsa_user_sgpr_queue_ptr 0
		.amdhsa_user_sgpr_kernarg_segment_ptr 1
		.amdhsa_user_sgpr_dispatch_id 0
		.amdhsa_user_sgpr_private_segment_size 0
		.amdhsa_wavefront_size32 1
		.amdhsa_uses_dynamic_stack 0
		.amdhsa_enable_private_segment 0
		.amdhsa_system_sgpr_workgroup_id_x 1
		.amdhsa_system_sgpr_workgroup_id_y 0
		.amdhsa_system_sgpr_workgroup_id_z 0
		.amdhsa_system_sgpr_workgroup_info 0
		.amdhsa_system_vgpr_workitem_id 0
		.amdhsa_next_free_vgpr 5
		.amdhsa_next_free_sgpr 16
		.amdhsa_reserve_vcc 1
		.amdhsa_float_round_mode_32 0
		.amdhsa_float_round_mode_16_64 0
		.amdhsa_float_denorm_mode_32 3
		.amdhsa_float_denorm_mode_16_64 3
		.amdhsa_dx10_clamp 1
		.amdhsa_ieee_mode 1
		.amdhsa_fp16_overflow 0
		.amdhsa_workgroup_processor_mode 1
		.amdhsa_memory_ordered 1
		.amdhsa_forward_progress 0
		.amdhsa_shared_vgpr_count 0
		.amdhsa_exception_fp_ieee_invalid_op 0
		.amdhsa_exception_fp_denorm_src 0
		.amdhsa_exception_fp_ieee_div_zero 0
		.amdhsa_exception_fp_ieee_overflow 0
		.amdhsa_exception_fp_ieee_underflow 0
		.amdhsa_exception_fp_ieee_inexact 0
		.amdhsa_exception_int_div_zero 0
	.end_amdhsa_kernel
	.section	.text._Z26warp_inclusive_scan_kernelIiLj64ELj2EENSt9enable_ifIXsr10test_utilsE35device_test_enabled_for_warp_size_vIXT1_EEEvE4typeEPT_S4_,"axG",@progbits,_Z26warp_inclusive_scan_kernelIiLj64ELj2EENSt9enable_ifIXsr10test_utilsE35device_test_enabled_for_warp_size_vIXT1_EEEvE4typeEPT_S4_,comdat
.Lfunc_end55:
	.size	_Z26warp_inclusive_scan_kernelIiLj64ELj2EENSt9enable_ifIXsr10test_utilsE35device_test_enabled_for_warp_size_vIXT1_EEEvE4typeEPT_S4_, .Lfunc_end55-_Z26warp_inclusive_scan_kernelIiLj64ELj2EENSt9enable_ifIXsr10test_utilsE35device_test_enabled_for_warp_size_vIXT1_EEEvE4typeEPT_S4_
                                        ; -- End function
	.section	.AMDGPU.csdata,"",@progbits
; Kernel info:
; codeLenInByte = 156
; NumSgprs: 18
; NumVgprs: 5
; ScratchSize: 0
; MemoryBound: 0
; FloatMode: 240
; IeeeMode: 1
; LDSByteSize: 0 bytes/workgroup (compile time only)
; SGPRBlocks: 2
; VGPRBlocks: 0
; NumSGPRsForWavesPerEU: 18
; NumVGPRsForWavesPerEU: 5
; Occupancy: 16
; WaveLimiterHint : 0
; COMPUTE_PGM_RSRC2:SCRATCH_EN: 0
; COMPUTE_PGM_RSRC2:USER_SGPR: 15
; COMPUTE_PGM_RSRC2:TRAP_HANDLER: 0
; COMPUTE_PGM_RSRC2:TGID_X_EN: 1
; COMPUTE_PGM_RSRC2:TGID_Y_EN: 0
; COMPUTE_PGM_RSRC2:TGID_Z_EN: 0
; COMPUTE_PGM_RSRC2:TIDIG_COMP_CNT: 0
	.section	.text._Z33warp_inclusive_scan_reduce_kernelIfLj1ELj61EENSt9enable_ifIXntsr10test_utilsE35device_test_enabled_for_warp_size_vIXT1_EEEvE4typeEPT_S4_S4_,"axG",@progbits,_Z33warp_inclusive_scan_reduce_kernelIfLj1ELj61EENSt9enable_ifIXntsr10test_utilsE35device_test_enabled_for_warp_size_vIXT1_EEEvE4typeEPT_S4_S4_,comdat
	.protected	_Z33warp_inclusive_scan_reduce_kernelIfLj1ELj61EENSt9enable_ifIXntsr10test_utilsE35device_test_enabled_for_warp_size_vIXT1_EEEvE4typeEPT_S4_S4_ ; -- Begin function _Z33warp_inclusive_scan_reduce_kernelIfLj1ELj61EENSt9enable_ifIXntsr10test_utilsE35device_test_enabled_for_warp_size_vIXT1_EEEvE4typeEPT_S4_S4_
	.globl	_Z33warp_inclusive_scan_reduce_kernelIfLj1ELj61EENSt9enable_ifIXntsr10test_utilsE35device_test_enabled_for_warp_size_vIXT1_EEEvE4typeEPT_S4_S4_
	.p2align	8
	.type	_Z33warp_inclusive_scan_reduce_kernelIfLj1ELj61EENSt9enable_ifIXntsr10test_utilsE35device_test_enabled_for_warp_size_vIXT1_EEEvE4typeEPT_S4_S4_,@function
_Z33warp_inclusive_scan_reduce_kernelIfLj1ELj61EENSt9enable_ifIXntsr10test_utilsE35device_test_enabled_for_warp_size_vIXT1_EEEvE4typeEPT_S4_S4_: ; @_Z33warp_inclusive_scan_reduce_kernelIfLj1ELj61EENSt9enable_ifIXntsr10test_utilsE35device_test_enabled_for_warp_size_vIXT1_EEEvE4typeEPT_S4_S4_
; %bb.0:
	s_endpgm
	.section	.rodata,"a",@progbits
	.p2align	6, 0x0
	.amdhsa_kernel _Z33warp_inclusive_scan_reduce_kernelIfLj1ELj61EENSt9enable_ifIXntsr10test_utilsE35device_test_enabled_for_warp_size_vIXT1_EEEvE4typeEPT_S4_S4_
		.amdhsa_group_segment_fixed_size 0
		.amdhsa_private_segment_fixed_size 0
		.amdhsa_kernarg_size 24
		.amdhsa_user_sgpr_count 15
		.amdhsa_user_sgpr_dispatch_ptr 0
		.amdhsa_user_sgpr_queue_ptr 0
		.amdhsa_user_sgpr_kernarg_segment_ptr 1
		.amdhsa_user_sgpr_dispatch_id 0
		.amdhsa_user_sgpr_private_segment_size 0
		.amdhsa_wavefront_size32 1
		.amdhsa_uses_dynamic_stack 0
		.amdhsa_enable_private_segment 0
		.amdhsa_system_sgpr_workgroup_id_x 1
		.amdhsa_system_sgpr_workgroup_id_y 0
		.amdhsa_system_sgpr_workgroup_id_z 0
		.amdhsa_system_sgpr_workgroup_info 0
		.amdhsa_system_vgpr_workitem_id 0
		.amdhsa_next_free_vgpr 1
		.amdhsa_next_free_sgpr 1
		.amdhsa_reserve_vcc 0
		.amdhsa_float_round_mode_32 0
		.amdhsa_float_round_mode_16_64 0
		.amdhsa_float_denorm_mode_32 3
		.amdhsa_float_denorm_mode_16_64 3
		.amdhsa_dx10_clamp 1
		.amdhsa_ieee_mode 1
		.amdhsa_fp16_overflow 0
		.amdhsa_workgroup_processor_mode 1
		.amdhsa_memory_ordered 1
		.amdhsa_forward_progress 0
		.amdhsa_shared_vgpr_count 0
		.amdhsa_exception_fp_ieee_invalid_op 0
		.amdhsa_exception_fp_denorm_src 0
		.amdhsa_exception_fp_ieee_div_zero 0
		.amdhsa_exception_fp_ieee_overflow 0
		.amdhsa_exception_fp_ieee_underflow 0
		.amdhsa_exception_fp_ieee_inexact 0
		.amdhsa_exception_int_div_zero 0
	.end_amdhsa_kernel
	.section	.text._Z33warp_inclusive_scan_reduce_kernelIfLj1ELj61EENSt9enable_ifIXntsr10test_utilsE35device_test_enabled_for_warp_size_vIXT1_EEEvE4typeEPT_S4_S4_,"axG",@progbits,_Z33warp_inclusive_scan_reduce_kernelIfLj1ELj61EENSt9enable_ifIXntsr10test_utilsE35device_test_enabled_for_warp_size_vIXT1_EEEvE4typeEPT_S4_S4_,comdat
.Lfunc_end56:
	.size	_Z33warp_inclusive_scan_reduce_kernelIfLj1ELj61EENSt9enable_ifIXntsr10test_utilsE35device_test_enabled_for_warp_size_vIXT1_EEEvE4typeEPT_S4_S4_, .Lfunc_end56-_Z33warp_inclusive_scan_reduce_kernelIfLj1ELj61EENSt9enable_ifIXntsr10test_utilsE35device_test_enabled_for_warp_size_vIXT1_EEEvE4typeEPT_S4_S4_
                                        ; -- End function
	.section	.AMDGPU.csdata,"",@progbits
; Kernel info:
; codeLenInByte = 4
; NumSgprs: 0
; NumVgprs: 0
; ScratchSize: 0
; MemoryBound: 0
; FloatMode: 240
; IeeeMode: 1
; LDSByteSize: 0 bytes/workgroup (compile time only)
; SGPRBlocks: 0
; VGPRBlocks: 0
; NumSGPRsForWavesPerEU: 1
; NumVGPRsForWavesPerEU: 1
; Occupancy: 16
; WaveLimiterHint : 0
; COMPUTE_PGM_RSRC2:SCRATCH_EN: 0
; COMPUTE_PGM_RSRC2:USER_SGPR: 15
; COMPUTE_PGM_RSRC2:TRAP_HANDLER: 0
; COMPUTE_PGM_RSRC2:TGID_X_EN: 1
; COMPUTE_PGM_RSRC2:TGID_Y_EN: 0
; COMPUTE_PGM_RSRC2:TGID_Z_EN: 0
; COMPUTE_PGM_RSRC2:TIDIG_COMP_CNT: 0
	.section	.text._Z33warp_inclusive_scan_reduce_kernelIfLj61ELj61EENSt9enable_ifIXntsr10test_utilsE35device_test_enabled_for_warp_size_vIXT1_EEEvE4typeEPT_S4_S4_,"axG",@progbits,_Z33warp_inclusive_scan_reduce_kernelIfLj61ELj61EENSt9enable_ifIXntsr10test_utilsE35device_test_enabled_for_warp_size_vIXT1_EEEvE4typeEPT_S4_S4_,comdat
	.protected	_Z33warp_inclusive_scan_reduce_kernelIfLj61ELj61EENSt9enable_ifIXntsr10test_utilsE35device_test_enabled_for_warp_size_vIXT1_EEEvE4typeEPT_S4_S4_ ; -- Begin function _Z33warp_inclusive_scan_reduce_kernelIfLj61ELj61EENSt9enable_ifIXntsr10test_utilsE35device_test_enabled_for_warp_size_vIXT1_EEEvE4typeEPT_S4_S4_
	.globl	_Z33warp_inclusive_scan_reduce_kernelIfLj61ELj61EENSt9enable_ifIXntsr10test_utilsE35device_test_enabled_for_warp_size_vIXT1_EEEvE4typeEPT_S4_S4_
	.p2align	8
	.type	_Z33warp_inclusive_scan_reduce_kernelIfLj61ELj61EENSt9enable_ifIXntsr10test_utilsE35device_test_enabled_for_warp_size_vIXT1_EEEvE4typeEPT_S4_S4_,@function
_Z33warp_inclusive_scan_reduce_kernelIfLj61ELj61EENSt9enable_ifIXntsr10test_utilsE35device_test_enabled_for_warp_size_vIXT1_EEEvE4typeEPT_S4_S4_: ; @_Z33warp_inclusive_scan_reduce_kernelIfLj61ELj61EENSt9enable_ifIXntsr10test_utilsE35device_test_enabled_for_warp_size_vIXT1_EEEvE4typeEPT_S4_S4_
; %bb.0:
	s_endpgm
	.section	.rodata,"a",@progbits
	.p2align	6, 0x0
	.amdhsa_kernel _Z33warp_inclusive_scan_reduce_kernelIfLj61ELj61EENSt9enable_ifIXntsr10test_utilsE35device_test_enabled_for_warp_size_vIXT1_EEEvE4typeEPT_S4_S4_
		.amdhsa_group_segment_fixed_size 0
		.amdhsa_private_segment_fixed_size 0
		.amdhsa_kernarg_size 24
		.amdhsa_user_sgpr_count 15
		.amdhsa_user_sgpr_dispatch_ptr 0
		.amdhsa_user_sgpr_queue_ptr 0
		.amdhsa_user_sgpr_kernarg_segment_ptr 1
		.amdhsa_user_sgpr_dispatch_id 0
		.amdhsa_user_sgpr_private_segment_size 0
		.amdhsa_wavefront_size32 1
		.amdhsa_uses_dynamic_stack 0
		.amdhsa_enable_private_segment 0
		.amdhsa_system_sgpr_workgroup_id_x 1
		.amdhsa_system_sgpr_workgroup_id_y 0
		.amdhsa_system_sgpr_workgroup_id_z 0
		.amdhsa_system_sgpr_workgroup_info 0
		.amdhsa_system_vgpr_workitem_id 0
		.amdhsa_next_free_vgpr 1
		.amdhsa_next_free_sgpr 1
		.amdhsa_reserve_vcc 0
		.amdhsa_float_round_mode_32 0
		.amdhsa_float_round_mode_16_64 0
		.amdhsa_float_denorm_mode_32 3
		.amdhsa_float_denorm_mode_16_64 3
		.amdhsa_dx10_clamp 1
		.amdhsa_ieee_mode 1
		.amdhsa_fp16_overflow 0
		.amdhsa_workgroup_processor_mode 1
		.amdhsa_memory_ordered 1
		.amdhsa_forward_progress 0
		.amdhsa_shared_vgpr_count 0
		.amdhsa_exception_fp_ieee_invalid_op 0
		.amdhsa_exception_fp_denorm_src 0
		.amdhsa_exception_fp_ieee_div_zero 0
		.amdhsa_exception_fp_ieee_overflow 0
		.amdhsa_exception_fp_ieee_underflow 0
		.amdhsa_exception_fp_ieee_inexact 0
		.amdhsa_exception_int_div_zero 0
	.end_amdhsa_kernel
	.section	.text._Z33warp_inclusive_scan_reduce_kernelIfLj61ELj61EENSt9enable_ifIXntsr10test_utilsE35device_test_enabled_for_warp_size_vIXT1_EEEvE4typeEPT_S4_S4_,"axG",@progbits,_Z33warp_inclusive_scan_reduce_kernelIfLj61ELj61EENSt9enable_ifIXntsr10test_utilsE35device_test_enabled_for_warp_size_vIXT1_EEEvE4typeEPT_S4_S4_,comdat
.Lfunc_end57:
	.size	_Z33warp_inclusive_scan_reduce_kernelIfLj61ELj61EENSt9enable_ifIXntsr10test_utilsE35device_test_enabled_for_warp_size_vIXT1_EEEvE4typeEPT_S4_S4_, .Lfunc_end57-_Z33warp_inclusive_scan_reduce_kernelIfLj61ELj61EENSt9enable_ifIXntsr10test_utilsE35device_test_enabled_for_warp_size_vIXT1_EEEvE4typeEPT_S4_S4_
                                        ; -- End function
	.section	.AMDGPU.csdata,"",@progbits
; Kernel info:
; codeLenInByte = 4
; NumSgprs: 0
; NumVgprs: 0
; ScratchSize: 0
; MemoryBound: 0
; FloatMode: 240
; IeeeMode: 1
; LDSByteSize: 0 bytes/workgroup (compile time only)
; SGPRBlocks: 0
; VGPRBlocks: 0
; NumSGPRsForWavesPerEU: 1
; NumVGPRsForWavesPerEU: 1
; Occupancy: 16
; WaveLimiterHint : 0
; COMPUTE_PGM_RSRC2:SCRATCH_EN: 0
; COMPUTE_PGM_RSRC2:USER_SGPR: 15
; COMPUTE_PGM_RSRC2:TRAP_HANDLER: 0
; COMPUTE_PGM_RSRC2:TGID_X_EN: 1
; COMPUTE_PGM_RSRC2:TGID_Y_EN: 0
; COMPUTE_PGM_RSRC2:TGID_Z_EN: 0
; COMPUTE_PGM_RSRC2:TIDIG_COMP_CNT: 0
	.section	.text._Z33warp_inclusive_scan_reduce_kernelIfLj1ELj37EENSt9enable_ifIXntsr10test_utilsE35device_test_enabled_for_warp_size_vIXT1_EEEvE4typeEPT_S4_S4_,"axG",@progbits,_Z33warp_inclusive_scan_reduce_kernelIfLj1ELj37EENSt9enable_ifIXntsr10test_utilsE35device_test_enabled_for_warp_size_vIXT1_EEEvE4typeEPT_S4_S4_,comdat
	.protected	_Z33warp_inclusive_scan_reduce_kernelIfLj1ELj37EENSt9enable_ifIXntsr10test_utilsE35device_test_enabled_for_warp_size_vIXT1_EEEvE4typeEPT_S4_S4_ ; -- Begin function _Z33warp_inclusive_scan_reduce_kernelIfLj1ELj37EENSt9enable_ifIXntsr10test_utilsE35device_test_enabled_for_warp_size_vIXT1_EEEvE4typeEPT_S4_S4_
	.globl	_Z33warp_inclusive_scan_reduce_kernelIfLj1ELj37EENSt9enable_ifIXntsr10test_utilsE35device_test_enabled_for_warp_size_vIXT1_EEEvE4typeEPT_S4_S4_
	.p2align	8
	.type	_Z33warp_inclusive_scan_reduce_kernelIfLj1ELj37EENSt9enable_ifIXntsr10test_utilsE35device_test_enabled_for_warp_size_vIXT1_EEEvE4typeEPT_S4_S4_,@function
_Z33warp_inclusive_scan_reduce_kernelIfLj1ELj37EENSt9enable_ifIXntsr10test_utilsE35device_test_enabled_for_warp_size_vIXT1_EEEvE4typeEPT_S4_S4_: ; @_Z33warp_inclusive_scan_reduce_kernelIfLj1ELj37EENSt9enable_ifIXntsr10test_utilsE35device_test_enabled_for_warp_size_vIXT1_EEEvE4typeEPT_S4_S4_
; %bb.0:
	s_endpgm
	.section	.rodata,"a",@progbits
	.p2align	6, 0x0
	.amdhsa_kernel _Z33warp_inclusive_scan_reduce_kernelIfLj1ELj37EENSt9enable_ifIXntsr10test_utilsE35device_test_enabled_for_warp_size_vIXT1_EEEvE4typeEPT_S4_S4_
		.amdhsa_group_segment_fixed_size 0
		.amdhsa_private_segment_fixed_size 0
		.amdhsa_kernarg_size 24
		.amdhsa_user_sgpr_count 15
		.amdhsa_user_sgpr_dispatch_ptr 0
		.amdhsa_user_sgpr_queue_ptr 0
		.amdhsa_user_sgpr_kernarg_segment_ptr 1
		.amdhsa_user_sgpr_dispatch_id 0
		.amdhsa_user_sgpr_private_segment_size 0
		.amdhsa_wavefront_size32 1
		.amdhsa_uses_dynamic_stack 0
		.amdhsa_enable_private_segment 0
		.amdhsa_system_sgpr_workgroup_id_x 1
		.amdhsa_system_sgpr_workgroup_id_y 0
		.amdhsa_system_sgpr_workgroup_id_z 0
		.amdhsa_system_sgpr_workgroup_info 0
		.amdhsa_system_vgpr_workitem_id 0
		.amdhsa_next_free_vgpr 1
		.amdhsa_next_free_sgpr 1
		.amdhsa_reserve_vcc 0
		.amdhsa_float_round_mode_32 0
		.amdhsa_float_round_mode_16_64 0
		.amdhsa_float_denorm_mode_32 3
		.amdhsa_float_denorm_mode_16_64 3
		.amdhsa_dx10_clamp 1
		.amdhsa_ieee_mode 1
		.amdhsa_fp16_overflow 0
		.amdhsa_workgroup_processor_mode 1
		.amdhsa_memory_ordered 1
		.amdhsa_forward_progress 0
		.amdhsa_shared_vgpr_count 0
		.amdhsa_exception_fp_ieee_invalid_op 0
		.amdhsa_exception_fp_denorm_src 0
		.amdhsa_exception_fp_ieee_div_zero 0
		.amdhsa_exception_fp_ieee_overflow 0
		.amdhsa_exception_fp_ieee_underflow 0
		.amdhsa_exception_fp_ieee_inexact 0
		.amdhsa_exception_int_div_zero 0
	.end_amdhsa_kernel
	.section	.text._Z33warp_inclusive_scan_reduce_kernelIfLj1ELj37EENSt9enable_ifIXntsr10test_utilsE35device_test_enabled_for_warp_size_vIXT1_EEEvE4typeEPT_S4_S4_,"axG",@progbits,_Z33warp_inclusive_scan_reduce_kernelIfLj1ELj37EENSt9enable_ifIXntsr10test_utilsE35device_test_enabled_for_warp_size_vIXT1_EEEvE4typeEPT_S4_S4_,comdat
.Lfunc_end58:
	.size	_Z33warp_inclusive_scan_reduce_kernelIfLj1ELj37EENSt9enable_ifIXntsr10test_utilsE35device_test_enabled_for_warp_size_vIXT1_EEEvE4typeEPT_S4_S4_, .Lfunc_end58-_Z33warp_inclusive_scan_reduce_kernelIfLj1ELj37EENSt9enable_ifIXntsr10test_utilsE35device_test_enabled_for_warp_size_vIXT1_EEEvE4typeEPT_S4_S4_
                                        ; -- End function
	.section	.AMDGPU.csdata,"",@progbits
; Kernel info:
; codeLenInByte = 4
; NumSgprs: 0
; NumVgprs: 0
; ScratchSize: 0
; MemoryBound: 0
; FloatMode: 240
; IeeeMode: 1
; LDSByteSize: 0 bytes/workgroup (compile time only)
; SGPRBlocks: 0
; VGPRBlocks: 0
; NumSGPRsForWavesPerEU: 1
; NumVGPRsForWavesPerEU: 1
; Occupancy: 16
; WaveLimiterHint : 0
; COMPUTE_PGM_RSRC2:SCRATCH_EN: 0
; COMPUTE_PGM_RSRC2:USER_SGPR: 15
; COMPUTE_PGM_RSRC2:TRAP_HANDLER: 0
; COMPUTE_PGM_RSRC2:TGID_X_EN: 1
; COMPUTE_PGM_RSRC2:TGID_Y_EN: 0
; COMPUTE_PGM_RSRC2:TGID_Z_EN: 0
; COMPUTE_PGM_RSRC2:TIDIG_COMP_CNT: 0
	.section	.text._Z33warp_inclusive_scan_reduce_kernelIfLj37ELj37EENSt9enable_ifIXntsr10test_utilsE35device_test_enabled_for_warp_size_vIXT1_EEEvE4typeEPT_S4_S4_,"axG",@progbits,_Z33warp_inclusive_scan_reduce_kernelIfLj37ELj37EENSt9enable_ifIXntsr10test_utilsE35device_test_enabled_for_warp_size_vIXT1_EEEvE4typeEPT_S4_S4_,comdat
	.protected	_Z33warp_inclusive_scan_reduce_kernelIfLj37ELj37EENSt9enable_ifIXntsr10test_utilsE35device_test_enabled_for_warp_size_vIXT1_EEEvE4typeEPT_S4_S4_ ; -- Begin function _Z33warp_inclusive_scan_reduce_kernelIfLj37ELj37EENSt9enable_ifIXntsr10test_utilsE35device_test_enabled_for_warp_size_vIXT1_EEEvE4typeEPT_S4_S4_
	.globl	_Z33warp_inclusive_scan_reduce_kernelIfLj37ELj37EENSt9enable_ifIXntsr10test_utilsE35device_test_enabled_for_warp_size_vIXT1_EEEvE4typeEPT_S4_S4_
	.p2align	8
	.type	_Z33warp_inclusive_scan_reduce_kernelIfLj37ELj37EENSt9enable_ifIXntsr10test_utilsE35device_test_enabled_for_warp_size_vIXT1_EEEvE4typeEPT_S4_S4_,@function
_Z33warp_inclusive_scan_reduce_kernelIfLj37ELj37EENSt9enable_ifIXntsr10test_utilsE35device_test_enabled_for_warp_size_vIXT1_EEEvE4typeEPT_S4_S4_: ; @_Z33warp_inclusive_scan_reduce_kernelIfLj37ELj37EENSt9enable_ifIXntsr10test_utilsE35device_test_enabled_for_warp_size_vIXT1_EEEvE4typeEPT_S4_S4_
; %bb.0:
	s_endpgm
	.section	.rodata,"a",@progbits
	.p2align	6, 0x0
	.amdhsa_kernel _Z33warp_inclusive_scan_reduce_kernelIfLj37ELj37EENSt9enable_ifIXntsr10test_utilsE35device_test_enabled_for_warp_size_vIXT1_EEEvE4typeEPT_S4_S4_
		.amdhsa_group_segment_fixed_size 0
		.amdhsa_private_segment_fixed_size 0
		.amdhsa_kernarg_size 24
		.amdhsa_user_sgpr_count 15
		.amdhsa_user_sgpr_dispatch_ptr 0
		.amdhsa_user_sgpr_queue_ptr 0
		.amdhsa_user_sgpr_kernarg_segment_ptr 1
		.amdhsa_user_sgpr_dispatch_id 0
		.amdhsa_user_sgpr_private_segment_size 0
		.amdhsa_wavefront_size32 1
		.amdhsa_uses_dynamic_stack 0
		.amdhsa_enable_private_segment 0
		.amdhsa_system_sgpr_workgroup_id_x 1
		.amdhsa_system_sgpr_workgroup_id_y 0
		.amdhsa_system_sgpr_workgroup_id_z 0
		.amdhsa_system_sgpr_workgroup_info 0
		.amdhsa_system_vgpr_workitem_id 0
		.amdhsa_next_free_vgpr 1
		.amdhsa_next_free_sgpr 1
		.amdhsa_reserve_vcc 0
		.amdhsa_float_round_mode_32 0
		.amdhsa_float_round_mode_16_64 0
		.amdhsa_float_denorm_mode_32 3
		.amdhsa_float_denorm_mode_16_64 3
		.amdhsa_dx10_clamp 1
		.amdhsa_ieee_mode 1
		.amdhsa_fp16_overflow 0
		.amdhsa_workgroup_processor_mode 1
		.amdhsa_memory_ordered 1
		.amdhsa_forward_progress 0
		.amdhsa_shared_vgpr_count 0
		.amdhsa_exception_fp_ieee_invalid_op 0
		.amdhsa_exception_fp_denorm_src 0
		.amdhsa_exception_fp_ieee_div_zero 0
		.amdhsa_exception_fp_ieee_overflow 0
		.amdhsa_exception_fp_ieee_underflow 0
		.amdhsa_exception_fp_ieee_inexact 0
		.amdhsa_exception_int_div_zero 0
	.end_amdhsa_kernel
	.section	.text._Z33warp_inclusive_scan_reduce_kernelIfLj37ELj37EENSt9enable_ifIXntsr10test_utilsE35device_test_enabled_for_warp_size_vIXT1_EEEvE4typeEPT_S4_S4_,"axG",@progbits,_Z33warp_inclusive_scan_reduce_kernelIfLj37ELj37EENSt9enable_ifIXntsr10test_utilsE35device_test_enabled_for_warp_size_vIXT1_EEEvE4typeEPT_S4_S4_,comdat
.Lfunc_end59:
	.size	_Z33warp_inclusive_scan_reduce_kernelIfLj37ELj37EENSt9enable_ifIXntsr10test_utilsE35device_test_enabled_for_warp_size_vIXT1_EEEvE4typeEPT_S4_S4_, .Lfunc_end59-_Z33warp_inclusive_scan_reduce_kernelIfLj37ELj37EENSt9enable_ifIXntsr10test_utilsE35device_test_enabled_for_warp_size_vIXT1_EEEvE4typeEPT_S4_S4_
                                        ; -- End function
	.section	.AMDGPU.csdata,"",@progbits
; Kernel info:
; codeLenInByte = 4
; NumSgprs: 0
; NumVgprs: 0
; ScratchSize: 0
; MemoryBound: 0
; FloatMode: 240
; IeeeMode: 1
; LDSByteSize: 0 bytes/workgroup (compile time only)
; SGPRBlocks: 0
; VGPRBlocks: 0
; NumSGPRsForWavesPerEU: 1
; NumVGPRsForWavesPerEU: 1
; Occupancy: 16
; WaveLimiterHint : 0
; COMPUTE_PGM_RSRC2:SCRATCH_EN: 0
; COMPUTE_PGM_RSRC2:USER_SGPR: 15
; COMPUTE_PGM_RSRC2:TRAP_HANDLER: 0
; COMPUTE_PGM_RSRC2:TGID_X_EN: 1
; COMPUTE_PGM_RSRC2:TGID_Y_EN: 0
; COMPUTE_PGM_RSRC2:TGID_Z_EN: 0
; COMPUTE_PGM_RSRC2:TIDIG_COMP_CNT: 0
	.section	.text._Z33warp_inclusive_scan_reduce_kernelIfLj30ELj15EENSt9enable_ifIXsr10test_utilsE35device_test_enabled_for_warp_size_vIXT1_EEEvE4typeEPT_S4_S4_,"axG",@progbits,_Z33warp_inclusive_scan_reduce_kernelIfLj30ELj15EENSt9enable_ifIXsr10test_utilsE35device_test_enabled_for_warp_size_vIXT1_EEEvE4typeEPT_S4_S4_,comdat
	.protected	_Z33warp_inclusive_scan_reduce_kernelIfLj30ELj15EENSt9enable_ifIXsr10test_utilsE35device_test_enabled_for_warp_size_vIXT1_EEEvE4typeEPT_S4_S4_ ; -- Begin function _Z33warp_inclusive_scan_reduce_kernelIfLj30ELj15EENSt9enable_ifIXsr10test_utilsE35device_test_enabled_for_warp_size_vIXT1_EEEvE4typeEPT_S4_S4_
	.globl	_Z33warp_inclusive_scan_reduce_kernelIfLj30ELj15EENSt9enable_ifIXsr10test_utilsE35device_test_enabled_for_warp_size_vIXT1_EEEvE4typeEPT_S4_S4_
	.p2align	8
	.type	_Z33warp_inclusive_scan_reduce_kernelIfLj30ELj15EENSt9enable_ifIXsr10test_utilsE35device_test_enabled_for_warp_size_vIXT1_EEEvE4typeEPT_S4_S4_,@function
_Z33warp_inclusive_scan_reduce_kernelIfLj30ELj15EENSt9enable_ifIXsr10test_utilsE35device_test_enabled_for_warp_size_vIXT1_EEEvE4typeEPT_S4_S4_: ; @_Z33warp_inclusive_scan_reduce_kernelIfLj30ELj15EENSt9enable_ifIXsr10test_utilsE35device_test_enabled_for_warp_size_vIXT1_EEEvE4typeEPT_S4_S4_
; %bb.0:
	s_clause 0x1
	s_load_b128 s[4:7], s[0:1], 0x0
	s_load_b64 s[2:3], s[0:1], 0x10
	v_mad_u64_u32 v[1:2], null, s15, 30, v[0:1]
	v_mov_b32_e32 v2, 0
	v_mul_u32_u24_e32 v8, 0x1112, v0
	s_bitcmp1_b32 s15, 0
	s_mov_b32 s1, -1
	s_cselect_b32 s0, -1, 0
	s_delay_alu instid0(VALU_DEP_3) | instskip(SKIP_1) | instid1(VALU_DEP_1)
	v_lshlrev_b64 v[2:3], 2, v[1:2]
	s_waitcnt lgkmcnt(0)
	v_add_co_u32 v4, vcc_lo, s4, v2
	s_delay_alu instid0(VALU_DEP_2) | instskip(SKIP_3) | instid1(VALU_DEP_1)
	v_add_co_ci_u32_e32 v5, vcc_lo, s5, v3, vcc_lo
	s_and_b32 vcc_lo, exec_lo, s0
	global_load_b32 v5, v[4:5], off
	v_mbcnt_lo_u32_b32 v4, -1, 0
	v_mul_hi_u32 v6, 0x11111112, v4
	s_delay_alu instid0(VALU_DEP_1) | instskip(NEXT) | instid1(VALU_DEP_1)
	v_mul_u32_u24_e32 v6, 15, v6
	v_sub_nc_u32_e32 v7, v4, v6
	v_lshrrev_b32_e32 v4, 16, v8
	s_delay_alu instid0(VALU_DEP_2) | instskip(SKIP_1) | instid1(VALU_DEP_2)
	v_lshlrev_b32_e32 v6, 2, v7
	v_cmp_ne_u32_e64 s0, 0, v7
	v_mad_u32_u24 v6, v4, 60, v6
	s_waitcnt vmcnt(0)
	ds_store_b32 v6, v5
	s_cbranch_vccz .LBB60_18
; %bb.1:
	v_mov_b32_e32 v8, v5
	; wave barrier
	s_and_saveexec_b32 s1, s0
	s_cbranch_execz .LBB60_3
; %bb.2:
	v_add_nc_u32_e32 v8, -4, v6
	ds_load_b32 v8, v8
	s_waitcnt lgkmcnt(0)
	v_add_f32_e32 v8, v5, v8
.LBB60_3:
	s_or_b32 exec_lo, exec_lo, s1
	; wave barrier
	s_and_saveexec_b32 s1, s0
	s_cbranch_execz .LBB60_5
; %bb.4:
	ds_store_b32 v6, v8
.LBB60_5:
	s_or_b32 exec_lo, exec_lo, s1
	v_cmp_lt_u32_e32 vcc_lo, 1, v7
	; wave barrier
	s_and_saveexec_b32 s1, vcc_lo
	s_cbranch_execz .LBB60_7
; %bb.6:
	v_add_nc_u32_e32 v9, -8, v6
	ds_load_b32 v9, v9
	s_waitcnt lgkmcnt(0)
	v_add_f32_e32 v8, v8, v9
.LBB60_7:
	s_or_b32 exec_lo, exec_lo, s1
	; wave barrier
	s_and_saveexec_b32 s1, vcc_lo
	s_cbranch_execz .LBB60_9
; %bb.8:
	ds_store_b32 v6, v8
.LBB60_9:
	s_or_b32 exec_lo, exec_lo, s1
	v_cmp_lt_u32_e32 vcc_lo, 3, v7
	; wave barrier
	s_and_saveexec_b32 s1, vcc_lo
	s_cbranch_execz .LBB60_11
; %bb.10:
	v_add_nc_u32_e32 v9, -16, v6
	ds_load_b32 v9, v9
	s_waitcnt lgkmcnt(0)
	v_add_f32_e32 v8, v8, v9
.LBB60_11:
	s_or_b32 exec_lo, exec_lo, s1
	; wave barrier
	s_and_saveexec_b32 s1, vcc_lo
	s_cbranch_execz .LBB60_13
; %bb.12:
	ds_store_b32 v6, v8
.LBB60_13:
	s_or_b32 exec_lo, exec_lo, s1
	v_cmp_lt_u32_e32 vcc_lo, 7, v7
	; wave barrier
	s_and_saveexec_b32 s1, vcc_lo
	s_cbranch_execz .LBB60_15
; %bb.14:
	v_subrev_nc_u32_e32 v9, 32, v6
	ds_load_b32 v9, v9
	s_waitcnt lgkmcnt(0)
	v_add_f32_e32 v8, v8, v9
.LBB60_15:
	s_or_b32 exec_lo, exec_lo, s1
	; wave barrier
	s_and_saveexec_b32 s1, vcc_lo
	s_cbranch_execz .LBB60_17
; %bb.16:
	ds_store_b32 v6, v8
.LBB60_17:
	s_or_b32 exec_lo, exec_lo, s1
	; wave barrier
	s_branch .LBB60_36
.LBB60_18:
                                        ; implicit-def: $vgpr8
	s_and_b32 vcc_lo, exec_lo, s1
	s_cbranch_vccz .LBB60_36
; %bb.19:
	; wave barrier
	s_and_saveexec_b32 s1, s0
	s_cbranch_execz .LBB60_21
; %bb.20:
	v_add_nc_u32_e32 v8, -4, v6
	ds_load_b32 v8, v8
	s_waitcnt lgkmcnt(0)
	v_add_f32_e32 v5, v5, v8
.LBB60_21:
	s_or_b32 exec_lo, exec_lo, s1
	; wave barrier
	s_and_saveexec_b32 s1, s0
	s_cbranch_execz .LBB60_23
; %bb.22:
	ds_store_b32 v6, v5
.LBB60_23:
	s_or_b32 exec_lo, exec_lo, s1
	v_cmp_lt_u32_e32 vcc_lo, 1, v7
	; wave barrier
	s_and_saveexec_b32 s0, vcc_lo
	s_cbranch_execz .LBB60_25
; %bb.24:
	v_add_nc_u32_e32 v8, -8, v6
	ds_load_b32 v8, v8
	s_waitcnt lgkmcnt(0)
	v_add_f32_e32 v5, v5, v8
.LBB60_25:
	s_or_b32 exec_lo, exec_lo, s0
	; wave barrier
	s_and_saveexec_b32 s0, vcc_lo
	s_cbranch_execz .LBB60_27
; %bb.26:
	ds_store_b32 v6, v5
.LBB60_27:
	s_or_b32 exec_lo, exec_lo, s0
	v_cmp_lt_u32_e32 vcc_lo, 3, v7
	; wave barrier
	s_and_saveexec_b32 s0, vcc_lo
	s_cbranch_execz .LBB60_29
; %bb.28:
	v_add_nc_u32_e32 v8, -16, v6
	ds_load_b32 v8, v8
	s_waitcnt lgkmcnt(0)
	v_add_f32_e32 v5, v5, v8
.LBB60_29:
	s_or_b32 exec_lo, exec_lo, s0
	; wave barrier
	s_and_saveexec_b32 s0, vcc_lo
	s_cbranch_execz .LBB60_31
; %bb.30:
	ds_store_b32 v6, v5
.LBB60_31:
	s_or_b32 exec_lo, exec_lo, s0
	v_cmp_lt_u32_e32 vcc_lo, 7, v7
	; wave barrier
	s_and_saveexec_b32 s0, vcc_lo
	s_cbranch_execz .LBB60_33
; %bb.32:
	v_subrev_nc_u32_e32 v7, 32, v6
	ds_load_b32 v7, v7
	s_waitcnt lgkmcnt(0)
	v_add_f32_e32 v5, v5, v7
.LBB60_33:
	s_or_b32 exec_lo, exec_lo, s0
	; wave barrier
	s_and_saveexec_b32 s0, vcc_lo
	s_cbranch_execz .LBB60_35
; %bb.34:
	ds_store_b32 v6, v5
.LBB60_35:
	s_or_b32 exec_lo, exec_lo, s0
	v_mov_b32_e32 v8, v5
	; wave barrier
.LBB60_36:
	v_mul_u32_u24_e32 v5, 60, v4
	v_mul_lo_u16 v4, v4, 15
	v_add_co_u32 v2, vcc_lo, s6, v2
	v_add_co_ci_u32_e32 v3, vcc_lo, s7, v3, vcc_lo
	s_delay_alu instid0(VALU_DEP_3)
	v_sub_nc_u16 v0, v0, v4
	s_mov_b32 s0, exec_lo
	global_store_b32 v[2:3], v8, off
	v_cmpx_eq_u16_e32 0, v0
	s_cbranch_execz .LBB60_38
; %bb.37:
	ds_load_b32 v0, v5 offset:56
	v_mul_hi_u32 v1, 0x88888889, v1
	s_delay_alu instid0(VALU_DEP_1) | instskip(NEXT) | instid1(VALU_DEP_1)
	v_lshrrev_b32_e32 v1, 1, v1
	v_and_b32_e32 v1, 0x7ffffffc, v1
	s_waitcnt lgkmcnt(0)
	global_store_b32 v1, v0, s[2:3]
.LBB60_38:
	s_nop 0
	s_sendmsg sendmsg(MSG_DEALLOC_VGPRS)
	s_endpgm
	.section	.rodata,"a",@progbits
	.p2align	6, 0x0
	.amdhsa_kernel _Z33warp_inclusive_scan_reduce_kernelIfLj30ELj15EENSt9enable_ifIXsr10test_utilsE35device_test_enabled_for_warp_size_vIXT1_EEEvE4typeEPT_S4_S4_
		.amdhsa_group_segment_fixed_size 120
		.amdhsa_private_segment_fixed_size 0
		.amdhsa_kernarg_size 24
		.amdhsa_user_sgpr_count 15
		.amdhsa_user_sgpr_dispatch_ptr 0
		.amdhsa_user_sgpr_queue_ptr 0
		.amdhsa_user_sgpr_kernarg_segment_ptr 1
		.amdhsa_user_sgpr_dispatch_id 0
		.amdhsa_user_sgpr_private_segment_size 0
		.amdhsa_wavefront_size32 1
		.amdhsa_uses_dynamic_stack 0
		.amdhsa_enable_private_segment 0
		.amdhsa_system_sgpr_workgroup_id_x 1
		.amdhsa_system_sgpr_workgroup_id_y 0
		.amdhsa_system_sgpr_workgroup_id_z 0
		.amdhsa_system_sgpr_workgroup_info 0
		.amdhsa_system_vgpr_workitem_id 0
		.amdhsa_next_free_vgpr 10
		.amdhsa_next_free_sgpr 16
		.amdhsa_reserve_vcc 1
		.amdhsa_float_round_mode_32 0
		.amdhsa_float_round_mode_16_64 0
		.amdhsa_float_denorm_mode_32 3
		.amdhsa_float_denorm_mode_16_64 3
		.amdhsa_dx10_clamp 1
		.amdhsa_ieee_mode 1
		.amdhsa_fp16_overflow 0
		.amdhsa_workgroup_processor_mode 1
		.amdhsa_memory_ordered 1
		.amdhsa_forward_progress 0
		.amdhsa_shared_vgpr_count 0
		.amdhsa_exception_fp_ieee_invalid_op 0
		.amdhsa_exception_fp_denorm_src 0
		.amdhsa_exception_fp_ieee_div_zero 0
		.amdhsa_exception_fp_ieee_overflow 0
		.amdhsa_exception_fp_ieee_underflow 0
		.amdhsa_exception_fp_ieee_inexact 0
		.amdhsa_exception_int_div_zero 0
	.end_amdhsa_kernel
	.section	.text._Z33warp_inclusive_scan_reduce_kernelIfLj30ELj15EENSt9enable_ifIXsr10test_utilsE35device_test_enabled_for_warp_size_vIXT1_EEEvE4typeEPT_S4_S4_,"axG",@progbits,_Z33warp_inclusive_scan_reduce_kernelIfLj30ELj15EENSt9enable_ifIXsr10test_utilsE35device_test_enabled_for_warp_size_vIXT1_EEEvE4typeEPT_S4_S4_,comdat
.Lfunc_end60:
	.size	_Z33warp_inclusive_scan_reduce_kernelIfLj30ELj15EENSt9enable_ifIXsr10test_utilsE35device_test_enabled_for_warp_size_vIXT1_EEEvE4typeEPT_S4_S4_, .Lfunc_end60-_Z33warp_inclusive_scan_reduce_kernelIfLj30ELj15EENSt9enable_ifIXsr10test_utilsE35device_test_enabled_for_warp_size_vIXT1_EEEvE4typeEPT_S4_S4_
                                        ; -- End function
	.section	.AMDGPU.csdata,"",@progbits
; Kernel info:
; codeLenInByte = 748
; NumSgprs: 18
; NumVgprs: 10
; ScratchSize: 0
; MemoryBound: 0
; FloatMode: 240
; IeeeMode: 1
; LDSByteSize: 120 bytes/workgroup (compile time only)
; SGPRBlocks: 2
; VGPRBlocks: 1
; NumSGPRsForWavesPerEU: 18
; NumVGPRsForWavesPerEU: 10
; Occupancy: 16
; WaveLimiterHint : 0
; COMPUTE_PGM_RSRC2:SCRATCH_EN: 0
; COMPUTE_PGM_RSRC2:USER_SGPR: 15
; COMPUTE_PGM_RSRC2:TRAP_HANDLER: 0
; COMPUTE_PGM_RSRC2:TGID_X_EN: 1
; COMPUTE_PGM_RSRC2:TGID_Y_EN: 0
; COMPUTE_PGM_RSRC2:TGID_Z_EN: 0
; COMPUTE_PGM_RSRC2:TIDIG_COMP_CNT: 0
	.section	.text._Z33warp_inclusive_scan_reduce_kernelIfLj60ELj15EENSt9enable_ifIXsr10test_utilsE35device_test_enabled_for_warp_size_vIXT1_EEEvE4typeEPT_S4_S4_,"axG",@progbits,_Z33warp_inclusive_scan_reduce_kernelIfLj60ELj15EENSt9enable_ifIXsr10test_utilsE35device_test_enabled_for_warp_size_vIXT1_EEEvE4typeEPT_S4_S4_,comdat
	.protected	_Z33warp_inclusive_scan_reduce_kernelIfLj60ELj15EENSt9enable_ifIXsr10test_utilsE35device_test_enabled_for_warp_size_vIXT1_EEEvE4typeEPT_S4_S4_ ; -- Begin function _Z33warp_inclusive_scan_reduce_kernelIfLj60ELj15EENSt9enable_ifIXsr10test_utilsE35device_test_enabled_for_warp_size_vIXT1_EEEvE4typeEPT_S4_S4_
	.globl	_Z33warp_inclusive_scan_reduce_kernelIfLj60ELj15EENSt9enable_ifIXsr10test_utilsE35device_test_enabled_for_warp_size_vIXT1_EEEvE4typeEPT_S4_S4_
	.p2align	8
	.type	_Z33warp_inclusive_scan_reduce_kernelIfLj60ELj15EENSt9enable_ifIXsr10test_utilsE35device_test_enabled_for_warp_size_vIXT1_EEEvE4typeEPT_S4_S4_,@function
_Z33warp_inclusive_scan_reduce_kernelIfLj60ELj15EENSt9enable_ifIXsr10test_utilsE35device_test_enabled_for_warp_size_vIXT1_EEEvE4typeEPT_S4_S4_: ; @_Z33warp_inclusive_scan_reduce_kernelIfLj60ELj15EENSt9enable_ifIXsr10test_utilsE35device_test_enabled_for_warp_size_vIXT1_EEEvE4typeEPT_S4_S4_
; %bb.0:
	s_clause 0x1
	s_load_b128 s[4:7], s[0:1], 0x0
	s_load_b64 s[2:3], s[0:1], 0x10
	v_mad_u64_u32 v[1:2], null, s15, 60, v[0:1]
	v_mov_b32_e32 v2, 0
	v_mul_u32_u24_e32 v8, 0x1112, v0
	s_bitcmp1_b32 s15, 0
	s_mov_b32 s1, -1
	s_cselect_b32 s0, -1, 0
	s_delay_alu instid0(VALU_DEP_3) | instskip(SKIP_1) | instid1(VALU_DEP_1)
	v_lshlrev_b64 v[2:3], 2, v[1:2]
	s_waitcnt lgkmcnt(0)
	v_add_co_u32 v4, vcc_lo, s4, v2
	s_delay_alu instid0(VALU_DEP_2) | instskip(SKIP_3) | instid1(VALU_DEP_1)
	v_add_co_ci_u32_e32 v5, vcc_lo, s5, v3, vcc_lo
	s_and_b32 vcc_lo, exec_lo, s0
	global_load_b32 v5, v[4:5], off
	v_mbcnt_lo_u32_b32 v4, -1, 0
	v_mul_hi_u32 v6, 0x11111112, v4
	s_delay_alu instid0(VALU_DEP_1) | instskip(NEXT) | instid1(VALU_DEP_1)
	v_mul_u32_u24_e32 v6, 15, v6
	v_sub_nc_u32_e32 v7, v4, v6
	v_lshrrev_b32_e32 v4, 16, v8
	s_delay_alu instid0(VALU_DEP_2) | instskip(SKIP_1) | instid1(VALU_DEP_2)
	v_lshlrev_b32_e32 v6, 2, v7
	v_cmp_ne_u32_e64 s0, 0, v7
	v_mad_u32_u24 v6, v4, 60, v6
	s_waitcnt vmcnt(0)
	ds_store_b32 v6, v5
	s_cbranch_vccz .LBB61_18
; %bb.1:
	v_mov_b32_e32 v8, v5
	; wave barrier
	s_and_saveexec_b32 s1, s0
	s_cbranch_execz .LBB61_3
; %bb.2:
	v_add_nc_u32_e32 v8, -4, v6
	ds_load_b32 v8, v8
	s_waitcnt lgkmcnt(0)
	v_add_f32_e32 v8, v5, v8
.LBB61_3:
	s_or_b32 exec_lo, exec_lo, s1
	; wave barrier
	s_and_saveexec_b32 s1, s0
	s_cbranch_execz .LBB61_5
; %bb.4:
	ds_store_b32 v6, v8
.LBB61_5:
	s_or_b32 exec_lo, exec_lo, s1
	v_cmp_lt_u32_e32 vcc_lo, 1, v7
	; wave barrier
	s_and_saveexec_b32 s1, vcc_lo
	s_cbranch_execz .LBB61_7
; %bb.6:
	v_add_nc_u32_e32 v9, -8, v6
	ds_load_b32 v9, v9
	s_waitcnt lgkmcnt(0)
	v_add_f32_e32 v8, v8, v9
.LBB61_7:
	s_or_b32 exec_lo, exec_lo, s1
	; wave barrier
	s_and_saveexec_b32 s1, vcc_lo
	s_cbranch_execz .LBB61_9
; %bb.8:
	ds_store_b32 v6, v8
.LBB61_9:
	s_or_b32 exec_lo, exec_lo, s1
	v_cmp_lt_u32_e32 vcc_lo, 3, v7
	; wave barrier
	s_and_saveexec_b32 s1, vcc_lo
	s_cbranch_execz .LBB61_11
; %bb.10:
	v_add_nc_u32_e32 v9, -16, v6
	ds_load_b32 v9, v9
	s_waitcnt lgkmcnt(0)
	v_add_f32_e32 v8, v8, v9
.LBB61_11:
	s_or_b32 exec_lo, exec_lo, s1
	; wave barrier
	s_and_saveexec_b32 s1, vcc_lo
	s_cbranch_execz .LBB61_13
; %bb.12:
	ds_store_b32 v6, v8
.LBB61_13:
	s_or_b32 exec_lo, exec_lo, s1
	v_cmp_lt_u32_e32 vcc_lo, 7, v7
	; wave barrier
	s_and_saveexec_b32 s1, vcc_lo
	s_cbranch_execz .LBB61_15
; %bb.14:
	v_subrev_nc_u32_e32 v9, 32, v6
	ds_load_b32 v9, v9
	s_waitcnt lgkmcnt(0)
	v_add_f32_e32 v8, v8, v9
.LBB61_15:
	s_or_b32 exec_lo, exec_lo, s1
	; wave barrier
	s_and_saveexec_b32 s1, vcc_lo
	s_cbranch_execz .LBB61_17
; %bb.16:
	ds_store_b32 v6, v8
.LBB61_17:
	s_or_b32 exec_lo, exec_lo, s1
	; wave barrier
	s_branch .LBB61_36
.LBB61_18:
                                        ; implicit-def: $vgpr8
	s_and_b32 vcc_lo, exec_lo, s1
	s_cbranch_vccz .LBB61_36
; %bb.19:
	; wave barrier
	s_and_saveexec_b32 s1, s0
	s_cbranch_execz .LBB61_21
; %bb.20:
	v_add_nc_u32_e32 v8, -4, v6
	ds_load_b32 v8, v8
	s_waitcnt lgkmcnt(0)
	v_add_f32_e32 v5, v5, v8
.LBB61_21:
	s_or_b32 exec_lo, exec_lo, s1
	; wave barrier
	s_and_saveexec_b32 s1, s0
	s_cbranch_execz .LBB61_23
; %bb.22:
	ds_store_b32 v6, v5
.LBB61_23:
	s_or_b32 exec_lo, exec_lo, s1
	v_cmp_lt_u32_e32 vcc_lo, 1, v7
	; wave barrier
	s_and_saveexec_b32 s0, vcc_lo
	s_cbranch_execz .LBB61_25
; %bb.24:
	v_add_nc_u32_e32 v8, -8, v6
	ds_load_b32 v8, v8
	s_waitcnt lgkmcnt(0)
	v_add_f32_e32 v5, v5, v8
.LBB61_25:
	s_or_b32 exec_lo, exec_lo, s0
	; wave barrier
	s_and_saveexec_b32 s0, vcc_lo
	s_cbranch_execz .LBB61_27
; %bb.26:
	ds_store_b32 v6, v5
.LBB61_27:
	s_or_b32 exec_lo, exec_lo, s0
	v_cmp_lt_u32_e32 vcc_lo, 3, v7
	; wave barrier
	s_and_saveexec_b32 s0, vcc_lo
	s_cbranch_execz .LBB61_29
; %bb.28:
	v_add_nc_u32_e32 v8, -16, v6
	ds_load_b32 v8, v8
	s_waitcnt lgkmcnt(0)
	v_add_f32_e32 v5, v5, v8
.LBB61_29:
	s_or_b32 exec_lo, exec_lo, s0
	; wave barrier
	s_and_saveexec_b32 s0, vcc_lo
	s_cbranch_execz .LBB61_31
; %bb.30:
	ds_store_b32 v6, v5
.LBB61_31:
	s_or_b32 exec_lo, exec_lo, s0
	v_cmp_lt_u32_e32 vcc_lo, 7, v7
	; wave barrier
	s_and_saveexec_b32 s0, vcc_lo
	s_cbranch_execz .LBB61_33
; %bb.32:
	v_subrev_nc_u32_e32 v7, 32, v6
	ds_load_b32 v7, v7
	s_waitcnt lgkmcnt(0)
	v_add_f32_e32 v5, v5, v7
.LBB61_33:
	s_or_b32 exec_lo, exec_lo, s0
	; wave barrier
	s_and_saveexec_b32 s0, vcc_lo
	s_cbranch_execz .LBB61_35
; %bb.34:
	ds_store_b32 v6, v5
.LBB61_35:
	s_or_b32 exec_lo, exec_lo, s0
	v_mov_b32_e32 v8, v5
	; wave barrier
.LBB61_36:
	v_mul_u32_u24_e32 v5, 60, v4
	v_mul_lo_u16 v4, v4, 15
	v_add_co_u32 v2, vcc_lo, s6, v2
	v_add_co_ci_u32_e32 v3, vcc_lo, s7, v3, vcc_lo
	s_delay_alu instid0(VALU_DEP_3)
	v_sub_nc_u16 v0, v0, v4
	s_mov_b32 s0, exec_lo
	global_store_b32 v[2:3], v8, off
	v_cmpx_eq_u16_e32 0, v0
	s_cbranch_execz .LBB61_38
; %bb.37:
	ds_load_b32 v0, v5 offset:56
	v_mul_hi_u32 v1, 0x88888889, v1
	s_delay_alu instid0(VALU_DEP_1) | instskip(NEXT) | instid1(VALU_DEP_1)
	v_lshrrev_b32_e32 v1, 1, v1
	v_and_b32_e32 v1, 0x7ffffffc, v1
	s_waitcnt lgkmcnt(0)
	global_store_b32 v1, v0, s[2:3]
.LBB61_38:
	s_nop 0
	s_sendmsg sendmsg(MSG_DEALLOC_VGPRS)
	s_endpgm
	.section	.rodata,"a",@progbits
	.p2align	6, 0x0
	.amdhsa_kernel _Z33warp_inclusive_scan_reduce_kernelIfLj60ELj15EENSt9enable_ifIXsr10test_utilsE35device_test_enabled_for_warp_size_vIXT1_EEEvE4typeEPT_S4_S4_
		.amdhsa_group_segment_fixed_size 240
		.amdhsa_private_segment_fixed_size 0
		.amdhsa_kernarg_size 24
		.amdhsa_user_sgpr_count 15
		.amdhsa_user_sgpr_dispatch_ptr 0
		.amdhsa_user_sgpr_queue_ptr 0
		.amdhsa_user_sgpr_kernarg_segment_ptr 1
		.amdhsa_user_sgpr_dispatch_id 0
		.amdhsa_user_sgpr_private_segment_size 0
		.amdhsa_wavefront_size32 1
		.amdhsa_uses_dynamic_stack 0
		.amdhsa_enable_private_segment 0
		.amdhsa_system_sgpr_workgroup_id_x 1
		.amdhsa_system_sgpr_workgroup_id_y 0
		.amdhsa_system_sgpr_workgroup_id_z 0
		.amdhsa_system_sgpr_workgroup_info 0
		.amdhsa_system_vgpr_workitem_id 0
		.amdhsa_next_free_vgpr 10
		.amdhsa_next_free_sgpr 16
		.amdhsa_reserve_vcc 1
		.amdhsa_float_round_mode_32 0
		.amdhsa_float_round_mode_16_64 0
		.amdhsa_float_denorm_mode_32 3
		.amdhsa_float_denorm_mode_16_64 3
		.amdhsa_dx10_clamp 1
		.amdhsa_ieee_mode 1
		.amdhsa_fp16_overflow 0
		.amdhsa_workgroup_processor_mode 1
		.amdhsa_memory_ordered 1
		.amdhsa_forward_progress 0
		.amdhsa_shared_vgpr_count 0
		.amdhsa_exception_fp_ieee_invalid_op 0
		.amdhsa_exception_fp_denorm_src 0
		.amdhsa_exception_fp_ieee_div_zero 0
		.amdhsa_exception_fp_ieee_overflow 0
		.amdhsa_exception_fp_ieee_underflow 0
		.amdhsa_exception_fp_ieee_inexact 0
		.amdhsa_exception_int_div_zero 0
	.end_amdhsa_kernel
	.section	.text._Z33warp_inclusive_scan_reduce_kernelIfLj60ELj15EENSt9enable_ifIXsr10test_utilsE35device_test_enabled_for_warp_size_vIXT1_EEEvE4typeEPT_S4_S4_,"axG",@progbits,_Z33warp_inclusive_scan_reduce_kernelIfLj60ELj15EENSt9enable_ifIXsr10test_utilsE35device_test_enabled_for_warp_size_vIXT1_EEEvE4typeEPT_S4_S4_,comdat
.Lfunc_end61:
	.size	_Z33warp_inclusive_scan_reduce_kernelIfLj60ELj15EENSt9enable_ifIXsr10test_utilsE35device_test_enabled_for_warp_size_vIXT1_EEEvE4typeEPT_S4_S4_, .Lfunc_end61-_Z33warp_inclusive_scan_reduce_kernelIfLj60ELj15EENSt9enable_ifIXsr10test_utilsE35device_test_enabled_for_warp_size_vIXT1_EEEvE4typeEPT_S4_S4_
                                        ; -- End function
	.section	.AMDGPU.csdata,"",@progbits
; Kernel info:
; codeLenInByte = 748
; NumSgprs: 18
; NumVgprs: 10
; ScratchSize: 0
; MemoryBound: 0
; FloatMode: 240
; IeeeMode: 1
; LDSByteSize: 240 bytes/workgroup (compile time only)
; SGPRBlocks: 2
; VGPRBlocks: 1
; NumSGPRsForWavesPerEU: 18
; NumVGPRsForWavesPerEU: 10
; Occupancy: 16
; WaveLimiterHint : 0
; COMPUTE_PGM_RSRC2:SCRATCH_EN: 0
; COMPUTE_PGM_RSRC2:USER_SGPR: 15
; COMPUTE_PGM_RSRC2:TRAP_HANDLER: 0
; COMPUTE_PGM_RSRC2:TGID_X_EN: 1
; COMPUTE_PGM_RSRC2:TGID_Y_EN: 0
; COMPUTE_PGM_RSRC2:TGID_Z_EN: 0
; COMPUTE_PGM_RSRC2:TIDIG_COMP_CNT: 0
	.section	.text._Z33warp_inclusive_scan_reduce_kernelIfLj28ELj7EENSt9enable_ifIXsr10test_utilsE35device_test_enabled_for_warp_size_vIXT1_EEEvE4typeEPT_S4_S4_,"axG",@progbits,_Z33warp_inclusive_scan_reduce_kernelIfLj28ELj7EENSt9enable_ifIXsr10test_utilsE35device_test_enabled_for_warp_size_vIXT1_EEEvE4typeEPT_S4_S4_,comdat
	.protected	_Z33warp_inclusive_scan_reduce_kernelIfLj28ELj7EENSt9enable_ifIXsr10test_utilsE35device_test_enabled_for_warp_size_vIXT1_EEEvE4typeEPT_S4_S4_ ; -- Begin function _Z33warp_inclusive_scan_reduce_kernelIfLj28ELj7EENSt9enable_ifIXsr10test_utilsE35device_test_enabled_for_warp_size_vIXT1_EEEvE4typeEPT_S4_S4_
	.globl	_Z33warp_inclusive_scan_reduce_kernelIfLj28ELj7EENSt9enable_ifIXsr10test_utilsE35device_test_enabled_for_warp_size_vIXT1_EEEvE4typeEPT_S4_S4_
	.p2align	8
	.type	_Z33warp_inclusive_scan_reduce_kernelIfLj28ELj7EENSt9enable_ifIXsr10test_utilsE35device_test_enabled_for_warp_size_vIXT1_EEEvE4typeEPT_S4_S4_,@function
_Z33warp_inclusive_scan_reduce_kernelIfLj28ELj7EENSt9enable_ifIXsr10test_utilsE35device_test_enabled_for_warp_size_vIXT1_EEEvE4typeEPT_S4_S4_: ; @_Z33warp_inclusive_scan_reduce_kernelIfLj28ELj7EENSt9enable_ifIXsr10test_utilsE35device_test_enabled_for_warp_size_vIXT1_EEEvE4typeEPT_S4_S4_
; %bb.0:
	s_clause 0x1
	s_load_b128 s[4:7], s[0:1], 0x0
	s_load_b64 s[2:3], s[0:1], 0x10
	v_mad_u64_u32 v[1:2], null, s15, 28, v[0:1]
	v_mov_b32_e32 v2, 0
	v_mul_u32_u24_e32 v8, 0x2493, v0
	s_bitcmp1_b32 s15, 0
	s_mov_b32 s1, -1
	s_cselect_b32 s0, -1, 0
	s_delay_alu instid0(VALU_DEP_3) | instskip(SKIP_1) | instid1(VALU_DEP_1)
	v_lshlrev_b64 v[2:3], 2, v[1:2]
	s_waitcnt lgkmcnt(0)
	v_add_co_u32 v4, vcc_lo, s4, v2
	s_delay_alu instid0(VALU_DEP_2) | instskip(SKIP_3) | instid1(VALU_DEP_1)
	v_add_co_ci_u32_e32 v5, vcc_lo, s5, v3, vcc_lo
	s_and_b32 vcc_lo, exec_lo, s0
	global_load_b32 v5, v[4:5], off
	v_mbcnt_lo_u32_b32 v4, -1, 0
	v_mul_hi_u32 v6, 0x24924925, v4
	s_delay_alu instid0(VALU_DEP_1) | instskip(NEXT) | instid1(VALU_DEP_1)
	v_mul_u32_u24_e32 v6, 7, v6
	v_sub_nc_u32_e32 v7, v4, v6
	v_lshrrev_b32_e32 v4, 16, v8
	s_delay_alu instid0(VALU_DEP_2) | instskip(SKIP_1) | instid1(VALU_DEP_2)
	v_lshlrev_b32_e32 v6, 2, v7
	v_cmp_ne_u32_e64 s0, 0, v7
	v_mad_u32_u24 v6, v4, 28, v6
	s_waitcnt vmcnt(0)
	ds_store_b32 v6, v5
	s_cbranch_vccz .LBB62_14
; %bb.1:
	v_mov_b32_e32 v8, v5
	; wave barrier
	s_and_saveexec_b32 s1, s0
	s_cbranch_execz .LBB62_3
; %bb.2:
	v_add_nc_u32_e32 v8, -4, v6
	ds_load_b32 v8, v8
	s_waitcnt lgkmcnt(0)
	v_add_f32_e32 v8, v5, v8
.LBB62_3:
	s_or_b32 exec_lo, exec_lo, s1
	; wave barrier
	s_and_saveexec_b32 s1, s0
	s_cbranch_execz .LBB62_5
; %bb.4:
	ds_store_b32 v6, v8
.LBB62_5:
	s_or_b32 exec_lo, exec_lo, s1
	v_cmp_lt_u32_e32 vcc_lo, 1, v7
	; wave barrier
	s_and_saveexec_b32 s1, vcc_lo
	s_cbranch_execz .LBB62_7
; %bb.6:
	v_add_nc_u32_e32 v9, -8, v6
	ds_load_b32 v9, v9
	s_waitcnt lgkmcnt(0)
	v_add_f32_e32 v8, v8, v9
.LBB62_7:
	s_or_b32 exec_lo, exec_lo, s1
	; wave barrier
	s_and_saveexec_b32 s1, vcc_lo
	s_cbranch_execz .LBB62_9
; %bb.8:
	ds_store_b32 v6, v8
.LBB62_9:
	s_or_b32 exec_lo, exec_lo, s1
	v_cmp_lt_u32_e32 vcc_lo, 3, v7
	; wave barrier
	s_and_saveexec_b32 s1, vcc_lo
	s_cbranch_execz .LBB62_11
; %bb.10:
	v_add_nc_u32_e32 v9, -16, v6
	ds_load_b32 v9, v9
	s_waitcnt lgkmcnt(0)
	v_add_f32_e32 v8, v8, v9
.LBB62_11:
	s_or_b32 exec_lo, exec_lo, s1
	; wave barrier
	s_and_saveexec_b32 s1, vcc_lo
	s_cbranch_execz .LBB62_13
; %bb.12:
	ds_store_b32 v6, v8
.LBB62_13:
	s_or_b32 exec_lo, exec_lo, s1
	; wave barrier
	s_branch .LBB62_28
.LBB62_14:
                                        ; implicit-def: $vgpr8
	s_and_b32 vcc_lo, exec_lo, s1
	s_cbranch_vccz .LBB62_28
; %bb.15:
	; wave barrier
	s_and_saveexec_b32 s1, s0
	s_cbranch_execz .LBB62_17
; %bb.16:
	v_add_nc_u32_e32 v8, -4, v6
	ds_load_b32 v8, v8
	s_waitcnt lgkmcnt(0)
	v_add_f32_e32 v5, v5, v8
.LBB62_17:
	s_or_b32 exec_lo, exec_lo, s1
	; wave barrier
	s_and_saveexec_b32 s1, s0
	s_cbranch_execz .LBB62_19
; %bb.18:
	ds_store_b32 v6, v5
.LBB62_19:
	s_or_b32 exec_lo, exec_lo, s1
	v_cmp_lt_u32_e32 vcc_lo, 1, v7
	; wave barrier
	s_and_saveexec_b32 s0, vcc_lo
	s_cbranch_execz .LBB62_21
; %bb.20:
	v_add_nc_u32_e32 v8, -8, v6
	ds_load_b32 v8, v8
	s_waitcnt lgkmcnt(0)
	v_add_f32_e32 v5, v5, v8
.LBB62_21:
	s_or_b32 exec_lo, exec_lo, s0
	; wave barrier
	s_and_saveexec_b32 s0, vcc_lo
	s_cbranch_execz .LBB62_23
; %bb.22:
	ds_store_b32 v6, v5
.LBB62_23:
	s_or_b32 exec_lo, exec_lo, s0
	v_cmp_lt_u32_e32 vcc_lo, 3, v7
	; wave barrier
	s_and_saveexec_b32 s0, vcc_lo
	s_cbranch_execz .LBB62_25
; %bb.24:
	v_add_nc_u32_e32 v7, -16, v6
	ds_load_b32 v7, v7
	s_waitcnt lgkmcnt(0)
	v_add_f32_e32 v5, v5, v7
.LBB62_25:
	s_or_b32 exec_lo, exec_lo, s0
	; wave barrier
	s_and_saveexec_b32 s0, vcc_lo
	s_cbranch_execz .LBB62_27
; %bb.26:
	ds_store_b32 v6, v5
.LBB62_27:
	s_or_b32 exec_lo, exec_lo, s0
	v_mov_b32_e32 v8, v5
	; wave barrier
.LBB62_28:
	v_mul_u32_u24_e32 v5, 28, v4
	v_mul_lo_u16 v4, v4, 7
	v_add_co_u32 v2, vcc_lo, s6, v2
	v_add_co_ci_u32_e32 v3, vcc_lo, s7, v3, vcc_lo
	s_delay_alu instid0(VALU_DEP_3)
	v_sub_nc_u16 v0, v0, v4
	s_mov_b32 s0, exec_lo
	global_store_b32 v[2:3], v8, off
	v_cmpx_eq_u16_e32 0, v0
	s_cbranch_execz .LBB62_30
; %bb.29:
	v_mul_hi_u32 v0, 0x24924925, v1
	ds_load_b32 v2, v5 offset:24
	v_sub_nc_u32_e32 v1, v1, v0
	s_delay_alu instid0(VALU_DEP_1) | instskip(NEXT) | instid1(VALU_DEP_1)
	v_lshrrev_b32_e32 v1, 1, v1
	v_add_nc_u32_e32 v0, v1, v0
	s_delay_alu instid0(VALU_DEP_1)
	v_and_b32_e32 v0, -4, v0
	s_waitcnt lgkmcnt(0)
	global_store_b32 v0, v2, s[2:3]
.LBB62_30:
	s_nop 0
	s_sendmsg sendmsg(MSG_DEALLOC_VGPRS)
	s_endpgm
	.section	.rodata,"a",@progbits
	.p2align	6, 0x0
	.amdhsa_kernel _Z33warp_inclusive_scan_reduce_kernelIfLj28ELj7EENSt9enable_ifIXsr10test_utilsE35device_test_enabled_for_warp_size_vIXT1_EEEvE4typeEPT_S4_S4_
		.amdhsa_group_segment_fixed_size 112
		.amdhsa_private_segment_fixed_size 0
		.amdhsa_kernarg_size 24
		.amdhsa_user_sgpr_count 15
		.amdhsa_user_sgpr_dispatch_ptr 0
		.amdhsa_user_sgpr_queue_ptr 0
		.amdhsa_user_sgpr_kernarg_segment_ptr 1
		.amdhsa_user_sgpr_dispatch_id 0
		.amdhsa_user_sgpr_private_segment_size 0
		.amdhsa_wavefront_size32 1
		.amdhsa_uses_dynamic_stack 0
		.amdhsa_enable_private_segment 0
		.amdhsa_system_sgpr_workgroup_id_x 1
		.amdhsa_system_sgpr_workgroup_id_y 0
		.amdhsa_system_sgpr_workgroup_id_z 0
		.amdhsa_system_sgpr_workgroup_info 0
		.amdhsa_system_vgpr_workitem_id 0
		.amdhsa_next_free_vgpr 10
		.amdhsa_next_free_sgpr 16
		.amdhsa_reserve_vcc 1
		.amdhsa_float_round_mode_32 0
		.amdhsa_float_round_mode_16_64 0
		.amdhsa_float_denorm_mode_32 3
		.amdhsa_float_denorm_mode_16_64 3
		.amdhsa_dx10_clamp 1
		.amdhsa_ieee_mode 1
		.amdhsa_fp16_overflow 0
		.amdhsa_workgroup_processor_mode 1
		.amdhsa_memory_ordered 1
		.amdhsa_forward_progress 0
		.amdhsa_shared_vgpr_count 0
		.amdhsa_exception_fp_ieee_invalid_op 0
		.amdhsa_exception_fp_denorm_src 0
		.amdhsa_exception_fp_ieee_div_zero 0
		.amdhsa_exception_fp_ieee_overflow 0
		.amdhsa_exception_fp_ieee_underflow 0
		.amdhsa_exception_fp_ieee_inexact 0
		.amdhsa_exception_int_div_zero 0
	.end_amdhsa_kernel
	.section	.text._Z33warp_inclusive_scan_reduce_kernelIfLj28ELj7EENSt9enable_ifIXsr10test_utilsE35device_test_enabled_for_warp_size_vIXT1_EEEvE4typeEPT_S4_S4_,"axG",@progbits,_Z33warp_inclusive_scan_reduce_kernelIfLj28ELj7EENSt9enable_ifIXsr10test_utilsE35device_test_enabled_for_warp_size_vIXT1_EEEvE4typeEPT_S4_S4_,comdat
.Lfunc_end62:
	.size	_Z33warp_inclusive_scan_reduce_kernelIfLj28ELj7EENSt9enable_ifIXsr10test_utilsE35device_test_enabled_for_warp_size_vIXT1_EEEvE4typeEPT_S4_S4_, .Lfunc_end62-_Z33warp_inclusive_scan_reduce_kernelIfLj28ELj7EENSt9enable_ifIXsr10test_utilsE35device_test_enabled_for_warp_size_vIXT1_EEEvE4typeEPT_S4_S4_
                                        ; -- End function
	.section	.AMDGPU.csdata,"",@progbits
; Kernel info:
; codeLenInByte = 644
; NumSgprs: 18
; NumVgprs: 10
; ScratchSize: 0
; MemoryBound: 0
; FloatMode: 240
; IeeeMode: 1
; LDSByteSize: 112 bytes/workgroup (compile time only)
; SGPRBlocks: 2
; VGPRBlocks: 1
; NumSGPRsForWavesPerEU: 18
; NumVGPRsForWavesPerEU: 10
; Occupancy: 16
; WaveLimiterHint : 0
; COMPUTE_PGM_RSRC2:SCRATCH_EN: 0
; COMPUTE_PGM_RSRC2:USER_SGPR: 15
; COMPUTE_PGM_RSRC2:TRAP_HANDLER: 0
; COMPUTE_PGM_RSRC2:TGID_X_EN: 1
; COMPUTE_PGM_RSRC2:TGID_Y_EN: 0
; COMPUTE_PGM_RSRC2:TGID_Z_EN: 0
; COMPUTE_PGM_RSRC2:TIDIG_COMP_CNT: 0
	.section	.text._Z33warp_inclusive_scan_reduce_kernelIfLj63ELj7EENSt9enable_ifIXsr10test_utilsE35device_test_enabled_for_warp_size_vIXT1_EEEvE4typeEPT_S4_S4_,"axG",@progbits,_Z33warp_inclusive_scan_reduce_kernelIfLj63ELj7EENSt9enable_ifIXsr10test_utilsE35device_test_enabled_for_warp_size_vIXT1_EEEvE4typeEPT_S4_S4_,comdat
	.protected	_Z33warp_inclusive_scan_reduce_kernelIfLj63ELj7EENSt9enable_ifIXsr10test_utilsE35device_test_enabled_for_warp_size_vIXT1_EEEvE4typeEPT_S4_S4_ ; -- Begin function _Z33warp_inclusive_scan_reduce_kernelIfLj63ELj7EENSt9enable_ifIXsr10test_utilsE35device_test_enabled_for_warp_size_vIXT1_EEEvE4typeEPT_S4_S4_
	.globl	_Z33warp_inclusive_scan_reduce_kernelIfLj63ELj7EENSt9enable_ifIXsr10test_utilsE35device_test_enabled_for_warp_size_vIXT1_EEEvE4typeEPT_S4_S4_
	.p2align	8
	.type	_Z33warp_inclusive_scan_reduce_kernelIfLj63ELj7EENSt9enable_ifIXsr10test_utilsE35device_test_enabled_for_warp_size_vIXT1_EEEvE4typeEPT_S4_S4_,@function
_Z33warp_inclusive_scan_reduce_kernelIfLj63ELj7EENSt9enable_ifIXsr10test_utilsE35device_test_enabled_for_warp_size_vIXT1_EEEvE4typeEPT_S4_S4_: ; @_Z33warp_inclusive_scan_reduce_kernelIfLj63ELj7EENSt9enable_ifIXsr10test_utilsE35device_test_enabled_for_warp_size_vIXT1_EEEvE4typeEPT_S4_S4_
; %bb.0:
	s_clause 0x1
	s_load_b128 s[4:7], s[0:1], 0x0
	s_load_b64 s[2:3], s[0:1], 0x10
	v_mad_u64_u32 v[1:2], null, s15, 63, v[0:1]
	v_mov_b32_e32 v2, 0
	v_mul_u32_u24_e32 v8, 0x2493, v0
	s_bitcmp1_b32 s15, 0
	s_mov_b32 s1, -1
	s_cselect_b32 s0, -1, 0
	s_delay_alu instid0(VALU_DEP_3) | instskip(SKIP_1) | instid1(VALU_DEP_1)
	v_lshlrev_b64 v[2:3], 2, v[1:2]
	s_waitcnt lgkmcnt(0)
	v_add_co_u32 v4, vcc_lo, s4, v2
	s_delay_alu instid0(VALU_DEP_2) | instskip(SKIP_3) | instid1(VALU_DEP_1)
	v_add_co_ci_u32_e32 v5, vcc_lo, s5, v3, vcc_lo
	s_and_b32 vcc_lo, exec_lo, s0
	global_load_b32 v5, v[4:5], off
	v_mbcnt_lo_u32_b32 v4, -1, 0
	v_mul_hi_u32 v6, 0x24924925, v4
	s_delay_alu instid0(VALU_DEP_1) | instskip(NEXT) | instid1(VALU_DEP_1)
	v_mul_u32_u24_e32 v6, 7, v6
	v_sub_nc_u32_e32 v7, v4, v6
	v_lshrrev_b32_e32 v4, 16, v8
	s_delay_alu instid0(VALU_DEP_2) | instskip(SKIP_1) | instid1(VALU_DEP_2)
	v_lshlrev_b32_e32 v6, 2, v7
	v_cmp_ne_u32_e64 s0, 0, v7
	v_mad_u32_u24 v6, v4, 28, v6
	s_waitcnt vmcnt(0)
	ds_store_b32 v6, v5
	s_cbranch_vccz .LBB63_14
; %bb.1:
	v_mov_b32_e32 v8, v5
	; wave barrier
	s_and_saveexec_b32 s1, s0
	s_cbranch_execz .LBB63_3
; %bb.2:
	v_add_nc_u32_e32 v8, -4, v6
	ds_load_b32 v8, v8
	s_waitcnt lgkmcnt(0)
	v_add_f32_e32 v8, v5, v8
.LBB63_3:
	s_or_b32 exec_lo, exec_lo, s1
	; wave barrier
	s_and_saveexec_b32 s1, s0
	s_cbranch_execz .LBB63_5
; %bb.4:
	ds_store_b32 v6, v8
.LBB63_5:
	s_or_b32 exec_lo, exec_lo, s1
	v_cmp_lt_u32_e32 vcc_lo, 1, v7
	; wave barrier
	s_and_saveexec_b32 s1, vcc_lo
	s_cbranch_execz .LBB63_7
; %bb.6:
	v_add_nc_u32_e32 v9, -8, v6
	ds_load_b32 v9, v9
	s_waitcnt lgkmcnt(0)
	v_add_f32_e32 v8, v8, v9
.LBB63_7:
	s_or_b32 exec_lo, exec_lo, s1
	; wave barrier
	s_and_saveexec_b32 s1, vcc_lo
	s_cbranch_execz .LBB63_9
; %bb.8:
	ds_store_b32 v6, v8
.LBB63_9:
	s_or_b32 exec_lo, exec_lo, s1
	v_cmp_lt_u32_e32 vcc_lo, 3, v7
	; wave barrier
	s_and_saveexec_b32 s1, vcc_lo
	s_cbranch_execz .LBB63_11
; %bb.10:
	v_add_nc_u32_e32 v9, -16, v6
	ds_load_b32 v9, v9
	s_waitcnt lgkmcnt(0)
	v_add_f32_e32 v8, v8, v9
.LBB63_11:
	s_or_b32 exec_lo, exec_lo, s1
	; wave barrier
	s_and_saveexec_b32 s1, vcc_lo
	s_cbranch_execz .LBB63_13
; %bb.12:
	ds_store_b32 v6, v8
.LBB63_13:
	s_or_b32 exec_lo, exec_lo, s1
	; wave barrier
	s_branch .LBB63_28
.LBB63_14:
                                        ; implicit-def: $vgpr8
	s_and_b32 vcc_lo, exec_lo, s1
	s_cbranch_vccz .LBB63_28
; %bb.15:
	; wave barrier
	s_and_saveexec_b32 s1, s0
	s_cbranch_execz .LBB63_17
; %bb.16:
	v_add_nc_u32_e32 v8, -4, v6
	ds_load_b32 v8, v8
	s_waitcnt lgkmcnt(0)
	v_add_f32_e32 v5, v5, v8
.LBB63_17:
	s_or_b32 exec_lo, exec_lo, s1
	; wave barrier
	s_and_saveexec_b32 s1, s0
	s_cbranch_execz .LBB63_19
; %bb.18:
	ds_store_b32 v6, v5
.LBB63_19:
	s_or_b32 exec_lo, exec_lo, s1
	v_cmp_lt_u32_e32 vcc_lo, 1, v7
	; wave barrier
	s_and_saveexec_b32 s0, vcc_lo
	s_cbranch_execz .LBB63_21
; %bb.20:
	v_add_nc_u32_e32 v8, -8, v6
	ds_load_b32 v8, v8
	s_waitcnt lgkmcnt(0)
	v_add_f32_e32 v5, v5, v8
.LBB63_21:
	s_or_b32 exec_lo, exec_lo, s0
	; wave barrier
	s_and_saveexec_b32 s0, vcc_lo
	s_cbranch_execz .LBB63_23
; %bb.22:
	ds_store_b32 v6, v5
.LBB63_23:
	s_or_b32 exec_lo, exec_lo, s0
	v_cmp_lt_u32_e32 vcc_lo, 3, v7
	; wave barrier
	s_and_saveexec_b32 s0, vcc_lo
	s_cbranch_execz .LBB63_25
; %bb.24:
	v_add_nc_u32_e32 v7, -16, v6
	ds_load_b32 v7, v7
	s_waitcnt lgkmcnt(0)
	v_add_f32_e32 v5, v5, v7
.LBB63_25:
	s_or_b32 exec_lo, exec_lo, s0
	; wave barrier
	s_and_saveexec_b32 s0, vcc_lo
	s_cbranch_execz .LBB63_27
; %bb.26:
	ds_store_b32 v6, v5
.LBB63_27:
	s_or_b32 exec_lo, exec_lo, s0
	v_mov_b32_e32 v8, v5
	; wave barrier
.LBB63_28:
	v_mul_u32_u24_e32 v5, 28, v4
	v_mul_lo_u16 v4, v4, 7
	v_add_co_u32 v2, vcc_lo, s6, v2
	v_add_co_ci_u32_e32 v3, vcc_lo, s7, v3, vcc_lo
	s_delay_alu instid0(VALU_DEP_3)
	v_sub_nc_u16 v0, v0, v4
	s_mov_b32 s0, exec_lo
	global_store_b32 v[2:3], v8, off
	v_cmpx_eq_u16_e32 0, v0
	s_cbranch_execz .LBB63_30
; %bb.29:
	v_mul_hi_u32 v0, 0x24924925, v1
	ds_load_b32 v2, v5 offset:24
	v_sub_nc_u32_e32 v1, v1, v0
	s_delay_alu instid0(VALU_DEP_1) | instskip(NEXT) | instid1(VALU_DEP_1)
	v_lshrrev_b32_e32 v1, 1, v1
	v_add_nc_u32_e32 v0, v1, v0
	s_delay_alu instid0(VALU_DEP_1)
	v_and_b32_e32 v0, -4, v0
	s_waitcnt lgkmcnt(0)
	global_store_b32 v0, v2, s[2:3]
.LBB63_30:
	s_nop 0
	s_sendmsg sendmsg(MSG_DEALLOC_VGPRS)
	s_endpgm
	.section	.rodata,"a",@progbits
	.p2align	6, 0x0
	.amdhsa_kernel _Z33warp_inclusive_scan_reduce_kernelIfLj63ELj7EENSt9enable_ifIXsr10test_utilsE35device_test_enabled_for_warp_size_vIXT1_EEEvE4typeEPT_S4_S4_
		.amdhsa_group_segment_fixed_size 252
		.amdhsa_private_segment_fixed_size 0
		.amdhsa_kernarg_size 24
		.amdhsa_user_sgpr_count 15
		.amdhsa_user_sgpr_dispatch_ptr 0
		.amdhsa_user_sgpr_queue_ptr 0
		.amdhsa_user_sgpr_kernarg_segment_ptr 1
		.amdhsa_user_sgpr_dispatch_id 0
		.amdhsa_user_sgpr_private_segment_size 0
		.amdhsa_wavefront_size32 1
		.amdhsa_uses_dynamic_stack 0
		.amdhsa_enable_private_segment 0
		.amdhsa_system_sgpr_workgroup_id_x 1
		.amdhsa_system_sgpr_workgroup_id_y 0
		.amdhsa_system_sgpr_workgroup_id_z 0
		.amdhsa_system_sgpr_workgroup_info 0
		.amdhsa_system_vgpr_workitem_id 0
		.amdhsa_next_free_vgpr 10
		.amdhsa_next_free_sgpr 16
		.amdhsa_reserve_vcc 1
		.amdhsa_float_round_mode_32 0
		.amdhsa_float_round_mode_16_64 0
		.amdhsa_float_denorm_mode_32 3
		.amdhsa_float_denorm_mode_16_64 3
		.amdhsa_dx10_clamp 1
		.amdhsa_ieee_mode 1
		.amdhsa_fp16_overflow 0
		.amdhsa_workgroup_processor_mode 1
		.amdhsa_memory_ordered 1
		.amdhsa_forward_progress 0
		.amdhsa_shared_vgpr_count 0
		.amdhsa_exception_fp_ieee_invalid_op 0
		.amdhsa_exception_fp_denorm_src 0
		.amdhsa_exception_fp_ieee_div_zero 0
		.amdhsa_exception_fp_ieee_overflow 0
		.amdhsa_exception_fp_ieee_underflow 0
		.amdhsa_exception_fp_ieee_inexact 0
		.amdhsa_exception_int_div_zero 0
	.end_amdhsa_kernel
	.section	.text._Z33warp_inclusive_scan_reduce_kernelIfLj63ELj7EENSt9enable_ifIXsr10test_utilsE35device_test_enabled_for_warp_size_vIXT1_EEEvE4typeEPT_S4_S4_,"axG",@progbits,_Z33warp_inclusive_scan_reduce_kernelIfLj63ELj7EENSt9enable_ifIXsr10test_utilsE35device_test_enabled_for_warp_size_vIXT1_EEEvE4typeEPT_S4_S4_,comdat
.Lfunc_end63:
	.size	_Z33warp_inclusive_scan_reduce_kernelIfLj63ELj7EENSt9enable_ifIXsr10test_utilsE35device_test_enabled_for_warp_size_vIXT1_EEEvE4typeEPT_S4_S4_, .Lfunc_end63-_Z33warp_inclusive_scan_reduce_kernelIfLj63ELj7EENSt9enable_ifIXsr10test_utilsE35device_test_enabled_for_warp_size_vIXT1_EEEvE4typeEPT_S4_S4_
                                        ; -- End function
	.section	.AMDGPU.csdata,"",@progbits
; Kernel info:
; codeLenInByte = 644
; NumSgprs: 18
; NumVgprs: 10
; ScratchSize: 0
; MemoryBound: 0
; FloatMode: 240
; IeeeMode: 1
; LDSByteSize: 252 bytes/workgroup (compile time only)
; SGPRBlocks: 2
; VGPRBlocks: 1
; NumSGPRsForWavesPerEU: 18
; NumVGPRsForWavesPerEU: 10
; Occupancy: 16
; WaveLimiterHint : 0
; COMPUTE_PGM_RSRC2:SCRATCH_EN: 0
; COMPUTE_PGM_RSRC2:USER_SGPR: 15
; COMPUTE_PGM_RSRC2:TRAP_HANDLER: 0
; COMPUTE_PGM_RSRC2:TGID_X_EN: 1
; COMPUTE_PGM_RSRC2:TGID_Y_EN: 0
; COMPUTE_PGM_RSRC2:TGID_Z_EN: 0
; COMPUTE_PGM_RSRC2:TIDIG_COMP_CNT: 0
	.section	.text._Z33warp_inclusive_scan_reduce_kernelIfLj30ELj3EENSt9enable_ifIXsr10test_utilsE35device_test_enabled_for_warp_size_vIXT1_EEEvE4typeEPT_S4_S4_,"axG",@progbits,_Z33warp_inclusive_scan_reduce_kernelIfLj30ELj3EENSt9enable_ifIXsr10test_utilsE35device_test_enabled_for_warp_size_vIXT1_EEEvE4typeEPT_S4_S4_,comdat
	.protected	_Z33warp_inclusive_scan_reduce_kernelIfLj30ELj3EENSt9enable_ifIXsr10test_utilsE35device_test_enabled_for_warp_size_vIXT1_EEEvE4typeEPT_S4_S4_ ; -- Begin function _Z33warp_inclusive_scan_reduce_kernelIfLj30ELj3EENSt9enable_ifIXsr10test_utilsE35device_test_enabled_for_warp_size_vIXT1_EEEvE4typeEPT_S4_S4_
	.globl	_Z33warp_inclusive_scan_reduce_kernelIfLj30ELj3EENSt9enable_ifIXsr10test_utilsE35device_test_enabled_for_warp_size_vIXT1_EEEvE4typeEPT_S4_S4_
	.p2align	8
	.type	_Z33warp_inclusive_scan_reduce_kernelIfLj30ELj3EENSt9enable_ifIXsr10test_utilsE35device_test_enabled_for_warp_size_vIXT1_EEEvE4typeEPT_S4_S4_,@function
_Z33warp_inclusive_scan_reduce_kernelIfLj30ELj3EENSt9enable_ifIXsr10test_utilsE35device_test_enabled_for_warp_size_vIXT1_EEEvE4typeEPT_S4_S4_: ; @_Z33warp_inclusive_scan_reduce_kernelIfLj30ELj3EENSt9enable_ifIXsr10test_utilsE35device_test_enabled_for_warp_size_vIXT1_EEEvE4typeEPT_S4_S4_
; %bb.0:
	s_clause 0x1
	s_load_b128 s[4:7], s[0:1], 0x0
	s_load_b64 s[2:3], s[0:1], 0x10
	v_mad_u64_u32 v[1:2], null, s15, 30, v[0:1]
	v_mov_b32_e32 v2, 0
	v_mul_u32_u24_e32 v8, 0x5556, v0
	s_bitcmp1_b32 s15, 0
	s_mov_b32 s1, -1
	s_cselect_b32 s0, -1, 0
	s_delay_alu instid0(VALU_DEP_3) | instskip(SKIP_1) | instid1(VALU_DEP_1)
	v_lshlrev_b64 v[2:3], 2, v[1:2]
	s_waitcnt lgkmcnt(0)
	v_add_co_u32 v4, vcc_lo, s4, v2
	s_delay_alu instid0(VALU_DEP_2) | instskip(SKIP_3) | instid1(VALU_DEP_1)
	v_add_co_ci_u32_e32 v5, vcc_lo, s5, v3, vcc_lo
	s_and_b32 vcc_lo, exec_lo, s0
	global_load_b32 v5, v[4:5], off
	v_mbcnt_lo_u32_b32 v4, -1, 0
	v_mul_hi_u32 v6, 0x55555556, v4
	s_delay_alu instid0(VALU_DEP_1) | instskip(NEXT) | instid1(VALU_DEP_1)
	v_mul_u32_u24_e32 v6, 3, v6
	v_sub_nc_u32_e32 v7, v4, v6
	v_lshrrev_b32_e32 v4, 16, v8
	s_delay_alu instid0(VALU_DEP_2) | instskip(SKIP_1) | instid1(VALU_DEP_2)
	v_lshlrev_b32_e32 v6, 2, v7
	v_cmp_ne_u32_e64 s0, 0, v7
	v_mad_u32_u24 v6, v4, 12, v6
	s_waitcnt vmcnt(0)
	ds_store_b32 v6, v5
	s_cbranch_vccz .LBB64_10
; %bb.1:
	v_mov_b32_e32 v8, v5
	; wave barrier
	s_and_saveexec_b32 s1, s0
	s_cbranch_execz .LBB64_3
; %bb.2:
	v_add_nc_u32_e32 v8, -4, v6
	ds_load_b32 v8, v8
	s_waitcnt lgkmcnt(0)
	v_add_f32_e32 v8, v5, v8
.LBB64_3:
	s_or_b32 exec_lo, exec_lo, s1
	; wave barrier
	s_and_saveexec_b32 s1, s0
	s_cbranch_execz .LBB64_5
; %bb.4:
	ds_store_b32 v6, v8
.LBB64_5:
	s_or_b32 exec_lo, exec_lo, s1
	v_cmp_lt_u32_e32 vcc_lo, 1, v7
	; wave barrier
	s_and_saveexec_b32 s1, vcc_lo
	s_cbranch_execz .LBB64_7
; %bb.6:
	v_add_nc_u32_e32 v9, -8, v6
	ds_load_b32 v9, v9
	s_waitcnt lgkmcnt(0)
	v_add_f32_e32 v8, v8, v9
.LBB64_7:
	s_or_b32 exec_lo, exec_lo, s1
	; wave barrier
	s_and_saveexec_b32 s1, vcc_lo
	s_cbranch_execz .LBB64_9
; %bb.8:
	ds_store_b32 v6, v8
.LBB64_9:
	s_or_b32 exec_lo, exec_lo, s1
	; wave barrier
	s_branch .LBB64_20
.LBB64_10:
                                        ; implicit-def: $vgpr8
	s_and_b32 vcc_lo, exec_lo, s1
	s_cbranch_vccz .LBB64_20
; %bb.11:
	; wave barrier
	s_and_saveexec_b32 s1, s0
	s_cbranch_execz .LBB64_13
; %bb.12:
	v_add_nc_u32_e32 v8, -4, v6
	ds_load_b32 v8, v8
	s_waitcnt lgkmcnt(0)
	v_add_f32_e32 v5, v5, v8
.LBB64_13:
	s_or_b32 exec_lo, exec_lo, s1
	; wave barrier
	s_and_saveexec_b32 s1, s0
	s_cbranch_execz .LBB64_15
; %bb.14:
	ds_store_b32 v6, v5
.LBB64_15:
	s_or_b32 exec_lo, exec_lo, s1
	v_cmp_lt_u32_e32 vcc_lo, 1, v7
	; wave barrier
	s_and_saveexec_b32 s0, vcc_lo
	s_cbranch_execz .LBB64_17
; %bb.16:
	v_add_nc_u32_e32 v7, -8, v6
	ds_load_b32 v7, v7
	s_waitcnt lgkmcnt(0)
	v_add_f32_e32 v5, v5, v7
.LBB64_17:
	s_or_b32 exec_lo, exec_lo, s0
	; wave barrier
	s_and_saveexec_b32 s0, vcc_lo
	s_cbranch_execz .LBB64_19
; %bb.18:
	ds_store_b32 v6, v5
.LBB64_19:
	s_or_b32 exec_lo, exec_lo, s0
	v_mov_b32_e32 v8, v5
	; wave barrier
.LBB64_20:
	v_mul_u32_u24_e32 v5, 12, v4
	v_mul_lo_u16 v4, v4, 3
	v_add_co_u32 v2, vcc_lo, s6, v2
	v_add_co_ci_u32_e32 v3, vcc_lo, s7, v3, vcc_lo
	s_delay_alu instid0(VALU_DEP_3)
	v_sub_nc_u16 v0, v0, v4
	s_mov_b32 s0, exec_lo
	global_store_b32 v[2:3], v8, off
	v_cmpx_eq_u16_e32 0, v0
	s_cbranch_execz .LBB64_22
; %bb.21:
	v_mul_hi_u32 v0, 0xaaaaaaab, v1
	ds_load_b32 v2, v5 offset:8
	v_mov_b32_e32 v1, 0
	v_lshrrev_b32_e32 v0, 1, v0
	s_delay_alu instid0(VALU_DEP_1) | instskip(NEXT) | instid1(VALU_DEP_1)
	v_lshlrev_b64 v[0:1], 2, v[0:1]
	v_add_co_u32 v0, vcc_lo, s2, v0
	s_delay_alu instid0(VALU_DEP_2)
	v_add_co_ci_u32_e32 v1, vcc_lo, s3, v1, vcc_lo
	s_waitcnt lgkmcnt(0)
	global_store_b32 v[0:1], v2, off
.LBB64_22:
	s_nop 0
	s_sendmsg sendmsg(MSG_DEALLOC_VGPRS)
	s_endpgm
	.section	.rodata,"a",@progbits
	.p2align	6, 0x0
	.amdhsa_kernel _Z33warp_inclusive_scan_reduce_kernelIfLj30ELj3EENSt9enable_ifIXsr10test_utilsE35device_test_enabled_for_warp_size_vIXT1_EEEvE4typeEPT_S4_S4_
		.amdhsa_group_segment_fixed_size 120
		.amdhsa_private_segment_fixed_size 0
		.amdhsa_kernarg_size 24
		.amdhsa_user_sgpr_count 15
		.amdhsa_user_sgpr_dispatch_ptr 0
		.amdhsa_user_sgpr_queue_ptr 0
		.amdhsa_user_sgpr_kernarg_segment_ptr 1
		.amdhsa_user_sgpr_dispatch_id 0
		.amdhsa_user_sgpr_private_segment_size 0
		.amdhsa_wavefront_size32 1
		.amdhsa_uses_dynamic_stack 0
		.amdhsa_enable_private_segment 0
		.amdhsa_system_sgpr_workgroup_id_x 1
		.amdhsa_system_sgpr_workgroup_id_y 0
		.amdhsa_system_sgpr_workgroup_id_z 0
		.amdhsa_system_sgpr_workgroup_info 0
		.amdhsa_system_vgpr_workitem_id 0
		.amdhsa_next_free_vgpr 10
		.amdhsa_next_free_sgpr 16
		.amdhsa_reserve_vcc 1
		.amdhsa_float_round_mode_32 0
		.amdhsa_float_round_mode_16_64 0
		.amdhsa_float_denorm_mode_32 3
		.amdhsa_float_denorm_mode_16_64 3
		.amdhsa_dx10_clamp 1
		.amdhsa_ieee_mode 1
		.amdhsa_fp16_overflow 0
		.amdhsa_workgroup_processor_mode 1
		.amdhsa_memory_ordered 1
		.amdhsa_forward_progress 0
		.amdhsa_shared_vgpr_count 0
		.amdhsa_exception_fp_ieee_invalid_op 0
		.amdhsa_exception_fp_denorm_src 0
		.amdhsa_exception_fp_ieee_div_zero 0
		.amdhsa_exception_fp_ieee_overflow 0
		.amdhsa_exception_fp_ieee_underflow 0
		.amdhsa_exception_fp_ieee_inexact 0
		.amdhsa_exception_int_div_zero 0
	.end_amdhsa_kernel
	.section	.text._Z33warp_inclusive_scan_reduce_kernelIfLj30ELj3EENSt9enable_ifIXsr10test_utilsE35device_test_enabled_for_warp_size_vIXT1_EEEvE4typeEPT_S4_S4_,"axG",@progbits,_Z33warp_inclusive_scan_reduce_kernelIfLj30ELj3EENSt9enable_ifIXsr10test_utilsE35device_test_enabled_for_warp_size_vIXT1_EEEvE4typeEPT_S4_S4_,comdat
.Lfunc_end64:
	.size	_Z33warp_inclusive_scan_reduce_kernelIfLj30ELj3EENSt9enable_ifIXsr10test_utilsE35device_test_enabled_for_warp_size_vIXT1_EEEvE4typeEPT_S4_S4_, .Lfunc_end64-_Z33warp_inclusive_scan_reduce_kernelIfLj30ELj3EENSt9enable_ifIXsr10test_utilsE35device_test_enabled_for_warp_size_vIXT1_EEEvE4typeEPT_S4_S4_
                                        ; -- End function
	.section	.AMDGPU.csdata,"",@progbits
; Kernel info:
; codeLenInByte = 544
; NumSgprs: 18
; NumVgprs: 10
; ScratchSize: 0
; MemoryBound: 0
; FloatMode: 240
; IeeeMode: 1
; LDSByteSize: 120 bytes/workgroup (compile time only)
; SGPRBlocks: 2
; VGPRBlocks: 1
; NumSGPRsForWavesPerEU: 18
; NumVGPRsForWavesPerEU: 10
; Occupancy: 16
; WaveLimiterHint : 0
; COMPUTE_PGM_RSRC2:SCRATCH_EN: 0
; COMPUTE_PGM_RSRC2:USER_SGPR: 15
; COMPUTE_PGM_RSRC2:TRAP_HANDLER: 0
; COMPUTE_PGM_RSRC2:TGID_X_EN: 1
; COMPUTE_PGM_RSRC2:TGID_Y_EN: 0
; COMPUTE_PGM_RSRC2:TGID_Z_EN: 0
; COMPUTE_PGM_RSRC2:TIDIG_COMP_CNT: 0
	.section	.text._Z33warp_inclusive_scan_reduce_kernelIfLj63ELj3EENSt9enable_ifIXsr10test_utilsE35device_test_enabled_for_warp_size_vIXT1_EEEvE4typeEPT_S4_S4_,"axG",@progbits,_Z33warp_inclusive_scan_reduce_kernelIfLj63ELj3EENSt9enable_ifIXsr10test_utilsE35device_test_enabled_for_warp_size_vIXT1_EEEvE4typeEPT_S4_S4_,comdat
	.protected	_Z33warp_inclusive_scan_reduce_kernelIfLj63ELj3EENSt9enable_ifIXsr10test_utilsE35device_test_enabled_for_warp_size_vIXT1_EEEvE4typeEPT_S4_S4_ ; -- Begin function _Z33warp_inclusive_scan_reduce_kernelIfLj63ELj3EENSt9enable_ifIXsr10test_utilsE35device_test_enabled_for_warp_size_vIXT1_EEEvE4typeEPT_S4_S4_
	.globl	_Z33warp_inclusive_scan_reduce_kernelIfLj63ELj3EENSt9enable_ifIXsr10test_utilsE35device_test_enabled_for_warp_size_vIXT1_EEEvE4typeEPT_S4_S4_
	.p2align	8
	.type	_Z33warp_inclusive_scan_reduce_kernelIfLj63ELj3EENSt9enable_ifIXsr10test_utilsE35device_test_enabled_for_warp_size_vIXT1_EEEvE4typeEPT_S4_S4_,@function
_Z33warp_inclusive_scan_reduce_kernelIfLj63ELj3EENSt9enable_ifIXsr10test_utilsE35device_test_enabled_for_warp_size_vIXT1_EEEvE4typeEPT_S4_S4_: ; @_Z33warp_inclusive_scan_reduce_kernelIfLj63ELj3EENSt9enable_ifIXsr10test_utilsE35device_test_enabled_for_warp_size_vIXT1_EEEvE4typeEPT_S4_S4_
; %bb.0:
	s_clause 0x1
	s_load_b128 s[4:7], s[0:1], 0x0
	s_load_b64 s[2:3], s[0:1], 0x10
	v_mad_u64_u32 v[1:2], null, s15, 63, v[0:1]
	v_mov_b32_e32 v2, 0
	v_mul_u32_u24_e32 v8, 0x5556, v0
	s_bitcmp1_b32 s15, 0
	s_mov_b32 s1, -1
	s_cselect_b32 s0, -1, 0
	s_delay_alu instid0(VALU_DEP_3) | instskip(SKIP_1) | instid1(VALU_DEP_1)
	v_lshlrev_b64 v[2:3], 2, v[1:2]
	s_waitcnt lgkmcnt(0)
	v_add_co_u32 v4, vcc_lo, s4, v2
	s_delay_alu instid0(VALU_DEP_2) | instskip(SKIP_3) | instid1(VALU_DEP_1)
	v_add_co_ci_u32_e32 v5, vcc_lo, s5, v3, vcc_lo
	s_and_b32 vcc_lo, exec_lo, s0
	global_load_b32 v5, v[4:5], off
	v_mbcnt_lo_u32_b32 v4, -1, 0
	v_mul_hi_u32 v6, 0x55555556, v4
	s_delay_alu instid0(VALU_DEP_1) | instskip(NEXT) | instid1(VALU_DEP_1)
	v_mul_u32_u24_e32 v6, 3, v6
	v_sub_nc_u32_e32 v7, v4, v6
	v_lshrrev_b32_e32 v4, 16, v8
	s_delay_alu instid0(VALU_DEP_2) | instskip(SKIP_1) | instid1(VALU_DEP_2)
	v_lshlrev_b32_e32 v6, 2, v7
	v_cmp_ne_u32_e64 s0, 0, v7
	v_mad_u32_u24 v6, v4, 12, v6
	s_waitcnt vmcnt(0)
	ds_store_b32 v6, v5
	s_cbranch_vccz .LBB65_10
; %bb.1:
	v_mov_b32_e32 v8, v5
	; wave barrier
	s_and_saveexec_b32 s1, s0
	s_cbranch_execz .LBB65_3
; %bb.2:
	v_add_nc_u32_e32 v8, -4, v6
	ds_load_b32 v8, v8
	s_waitcnt lgkmcnt(0)
	v_add_f32_e32 v8, v5, v8
.LBB65_3:
	s_or_b32 exec_lo, exec_lo, s1
	; wave barrier
	s_and_saveexec_b32 s1, s0
	s_cbranch_execz .LBB65_5
; %bb.4:
	ds_store_b32 v6, v8
.LBB65_5:
	s_or_b32 exec_lo, exec_lo, s1
	v_cmp_lt_u32_e32 vcc_lo, 1, v7
	; wave barrier
	s_and_saveexec_b32 s1, vcc_lo
	s_cbranch_execz .LBB65_7
; %bb.6:
	v_add_nc_u32_e32 v9, -8, v6
	ds_load_b32 v9, v9
	s_waitcnt lgkmcnt(0)
	v_add_f32_e32 v8, v8, v9
.LBB65_7:
	s_or_b32 exec_lo, exec_lo, s1
	; wave barrier
	s_and_saveexec_b32 s1, vcc_lo
	s_cbranch_execz .LBB65_9
; %bb.8:
	ds_store_b32 v6, v8
.LBB65_9:
	s_or_b32 exec_lo, exec_lo, s1
	; wave barrier
	s_branch .LBB65_20
.LBB65_10:
                                        ; implicit-def: $vgpr8
	s_and_b32 vcc_lo, exec_lo, s1
	s_cbranch_vccz .LBB65_20
; %bb.11:
	; wave barrier
	s_and_saveexec_b32 s1, s0
	s_cbranch_execz .LBB65_13
; %bb.12:
	v_add_nc_u32_e32 v8, -4, v6
	ds_load_b32 v8, v8
	s_waitcnt lgkmcnt(0)
	v_add_f32_e32 v5, v5, v8
.LBB65_13:
	s_or_b32 exec_lo, exec_lo, s1
	; wave barrier
	s_and_saveexec_b32 s1, s0
	s_cbranch_execz .LBB65_15
; %bb.14:
	ds_store_b32 v6, v5
.LBB65_15:
	s_or_b32 exec_lo, exec_lo, s1
	v_cmp_lt_u32_e32 vcc_lo, 1, v7
	; wave barrier
	s_and_saveexec_b32 s0, vcc_lo
	s_cbranch_execz .LBB65_17
; %bb.16:
	v_add_nc_u32_e32 v7, -8, v6
	ds_load_b32 v7, v7
	s_waitcnt lgkmcnt(0)
	v_add_f32_e32 v5, v5, v7
.LBB65_17:
	s_or_b32 exec_lo, exec_lo, s0
	; wave barrier
	s_and_saveexec_b32 s0, vcc_lo
	s_cbranch_execz .LBB65_19
; %bb.18:
	ds_store_b32 v6, v5
.LBB65_19:
	s_or_b32 exec_lo, exec_lo, s0
	v_mov_b32_e32 v8, v5
	; wave barrier
.LBB65_20:
	v_mul_u32_u24_e32 v5, 12, v4
	v_mul_lo_u16 v4, v4, 3
	v_add_co_u32 v2, vcc_lo, s6, v2
	v_add_co_ci_u32_e32 v3, vcc_lo, s7, v3, vcc_lo
	s_delay_alu instid0(VALU_DEP_3)
	v_sub_nc_u16 v0, v0, v4
	s_mov_b32 s0, exec_lo
	global_store_b32 v[2:3], v8, off
	v_cmpx_eq_u16_e32 0, v0
	s_cbranch_execz .LBB65_22
; %bb.21:
	v_mul_hi_u32 v0, 0xaaaaaaab, v1
	ds_load_b32 v2, v5 offset:8
	v_mov_b32_e32 v1, 0
	v_lshrrev_b32_e32 v0, 1, v0
	s_delay_alu instid0(VALU_DEP_1) | instskip(NEXT) | instid1(VALU_DEP_1)
	v_lshlrev_b64 v[0:1], 2, v[0:1]
	v_add_co_u32 v0, vcc_lo, s2, v0
	s_delay_alu instid0(VALU_DEP_2)
	v_add_co_ci_u32_e32 v1, vcc_lo, s3, v1, vcc_lo
	s_waitcnt lgkmcnt(0)
	global_store_b32 v[0:1], v2, off
.LBB65_22:
	s_nop 0
	s_sendmsg sendmsg(MSG_DEALLOC_VGPRS)
	s_endpgm
	.section	.rodata,"a",@progbits
	.p2align	6, 0x0
	.amdhsa_kernel _Z33warp_inclusive_scan_reduce_kernelIfLj63ELj3EENSt9enable_ifIXsr10test_utilsE35device_test_enabled_for_warp_size_vIXT1_EEEvE4typeEPT_S4_S4_
		.amdhsa_group_segment_fixed_size 252
		.amdhsa_private_segment_fixed_size 0
		.amdhsa_kernarg_size 24
		.amdhsa_user_sgpr_count 15
		.amdhsa_user_sgpr_dispatch_ptr 0
		.amdhsa_user_sgpr_queue_ptr 0
		.amdhsa_user_sgpr_kernarg_segment_ptr 1
		.amdhsa_user_sgpr_dispatch_id 0
		.amdhsa_user_sgpr_private_segment_size 0
		.amdhsa_wavefront_size32 1
		.amdhsa_uses_dynamic_stack 0
		.amdhsa_enable_private_segment 0
		.amdhsa_system_sgpr_workgroup_id_x 1
		.amdhsa_system_sgpr_workgroup_id_y 0
		.amdhsa_system_sgpr_workgroup_id_z 0
		.amdhsa_system_sgpr_workgroup_info 0
		.amdhsa_system_vgpr_workitem_id 0
		.amdhsa_next_free_vgpr 10
		.amdhsa_next_free_sgpr 16
		.amdhsa_reserve_vcc 1
		.amdhsa_float_round_mode_32 0
		.amdhsa_float_round_mode_16_64 0
		.amdhsa_float_denorm_mode_32 3
		.amdhsa_float_denorm_mode_16_64 3
		.amdhsa_dx10_clamp 1
		.amdhsa_ieee_mode 1
		.amdhsa_fp16_overflow 0
		.amdhsa_workgroup_processor_mode 1
		.amdhsa_memory_ordered 1
		.amdhsa_forward_progress 0
		.amdhsa_shared_vgpr_count 0
		.amdhsa_exception_fp_ieee_invalid_op 0
		.amdhsa_exception_fp_denorm_src 0
		.amdhsa_exception_fp_ieee_div_zero 0
		.amdhsa_exception_fp_ieee_overflow 0
		.amdhsa_exception_fp_ieee_underflow 0
		.amdhsa_exception_fp_ieee_inexact 0
		.amdhsa_exception_int_div_zero 0
	.end_amdhsa_kernel
	.section	.text._Z33warp_inclusive_scan_reduce_kernelIfLj63ELj3EENSt9enable_ifIXsr10test_utilsE35device_test_enabled_for_warp_size_vIXT1_EEEvE4typeEPT_S4_S4_,"axG",@progbits,_Z33warp_inclusive_scan_reduce_kernelIfLj63ELj3EENSt9enable_ifIXsr10test_utilsE35device_test_enabled_for_warp_size_vIXT1_EEEvE4typeEPT_S4_S4_,comdat
.Lfunc_end65:
	.size	_Z33warp_inclusive_scan_reduce_kernelIfLj63ELj3EENSt9enable_ifIXsr10test_utilsE35device_test_enabled_for_warp_size_vIXT1_EEEvE4typeEPT_S4_S4_, .Lfunc_end65-_Z33warp_inclusive_scan_reduce_kernelIfLj63ELj3EENSt9enable_ifIXsr10test_utilsE35device_test_enabled_for_warp_size_vIXT1_EEEvE4typeEPT_S4_S4_
                                        ; -- End function
	.section	.AMDGPU.csdata,"",@progbits
; Kernel info:
; codeLenInByte = 544
; NumSgprs: 18
; NumVgprs: 10
; ScratchSize: 0
; MemoryBound: 0
; FloatMode: 240
; IeeeMode: 1
; LDSByteSize: 252 bytes/workgroup (compile time only)
; SGPRBlocks: 2
; VGPRBlocks: 1
; NumSGPRsForWavesPerEU: 18
; NumVGPRsForWavesPerEU: 10
; Occupancy: 16
; WaveLimiterHint : 0
; COMPUTE_PGM_RSRC2:SCRATCH_EN: 0
; COMPUTE_PGM_RSRC2:USER_SGPR: 15
; COMPUTE_PGM_RSRC2:TRAP_HANDLER: 0
; COMPUTE_PGM_RSRC2:TGID_X_EN: 1
; COMPUTE_PGM_RSRC2:TGID_Y_EN: 0
; COMPUTE_PGM_RSRC2:TGID_Z_EN: 0
; COMPUTE_PGM_RSRC2:TIDIG_COMP_CNT: 0
	.section	.text._Z33warp_inclusive_scan_reduce_kernelIiLj1ELj61EENSt9enable_ifIXntsr10test_utilsE35device_test_enabled_for_warp_size_vIXT1_EEEvE4typeEPT_S4_S4_,"axG",@progbits,_Z33warp_inclusive_scan_reduce_kernelIiLj1ELj61EENSt9enable_ifIXntsr10test_utilsE35device_test_enabled_for_warp_size_vIXT1_EEEvE4typeEPT_S4_S4_,comdat
	.protected	_Z33warp_inclusive_scan_reduce_kernelIiLj1ELj61EENSt9enable_ifIXntsr10test_utilsE35device_test_enabled_for_warp_size_vIXT1_EEEvE4typeEPT_S4_S4_ ; -- Begin function _Z33warp_inclusive_scan_reduce_kernelIiLj1ELj61EENSt9enable_ifIXntsr10test_utilsE35device_test_enabled_for_warp_size_vIXT1_EEEvE4typeEPT_S4_S4_
	.globl	_Z33warp_inclusive_scan_reduce_kernelIiLj1ELj61EENSt9enable_ifIXntsr10test_utilsE35device_test_enabled_for_warp_size_vIXT1_EEEvE4typeEPT_S4_S4_
	.p2align	8
	.type	_Z33warp_inclusive_scan_reduce_kernelIiLj1ELj61EENSt9enable_ifIXntsr10test_utilsE35device_test_enabled_for_warp_size_vIXT1_EEEvE4typeEPT_S4_S4_,@function
_Z33warp_inclusive_scan_reduce_kernelIiLj1ELj61EENSt9enable_ifIXntsr10test_utilsE35device_test_enabled_for_warp_size_vIXT1_EEEvE4typeEPT_S4_S4_: ; @_Z33warp_inclusive_scan_reduce_kernelIiLj1ELj61EENSt9enable_ifIXntsr10test_utilsE35device_test_enabled_for_warp_size_vIXT1_EEEvE4typeEPT_S4_S4_
; %bb.0:
	s_endpgm
	.section	.rodata,"a",@progbits
	.p2align	6, 0x0
	.amdhsa_kernel _Z33warp_inclusive_scan_reduce_kernelIiLj1ELj61EENSt9enable_ifIXntsr10test_utilsE35device_test_enabled_for_warp_size_vIXT1_EEEvE4typeEPT_S4_S4_
		.amdhsa_group_segment_fixed_size 0
		.amdhsa_private_segment_fixed_size 0
		.amdhsa_kernarg_size 24
		.amdhsa_user_sgpr_count 15
		.amdhsa_user_sgpr_dispatch_ptr 0
		.amdhsa_user_sgpr_queue_ptr 0
		.amdhsa_user_sgpr_kernarg_segment_ptr 1
		.amdhsa_user_sgpr_dispatch_id 0
		.amdhsa_user_sgpr_private_segment_size 0
		.amdhsa_wavefront_size32 1
		.amdhsa_uses_dynamic_stack 0
		.amdhsa_enable_private_segment 0
		.amdhsa_system_sgpr_workgroup_id_x 1
		.amdhsa_system_sgpr_workgroup_id_y 0
		.amdhsa_system_sgpr_workgroup_id_z 0
		.amdhsa_system_sgpr_workgroup_info 0
		.amdhsa_system_vgpr_workitem_id 0
		.amdhsa_next_free_vgpr 1
		.amdhsa_next_free_sgpr 1
		.amdhsa_reserve_vcc 0
		.amdhsa_float_round_mode_32 0
		.amdhsa_float_round_mode_16_64 0
		.amdhsa_float_denorm_mode_32 3
		.amdhsa_float_denorm_mode_16_64 3
		.amdhsa_dx10_clamp 1
		.amdhsa_ieee_mode 1
		.amdhsa_fp16_overflow 0
		.amdhsa_workgroup_processor_mode 1
		.amdhsa_memory_ordered 1
		.amdhsa_forward_progress 0
		.amdhsa_shared_vgpr_count 0
		.amdhsa_exception_fp_ieee_invalid_op 0
		.amdhsa_exception_fp_denorm_src 0
		.amdhsa_exception_fp_ieee_div_zero 0
		.amdhsa_exception_fp_ieee_overflow 0
		.amdhsa_exception_fp_ieee_underflow 0
		.amdhsa_exception_fp_ieee_inexact 0
		.amdhsa_exception_int_div_zero 0
	.end_amdhsa_kernel
	.section	.text._Z33warp_inclusive_scan_reduce_kernelIiLj1ELj61EENSt9enable_ifIXntsr10test_utilsE35device_test_enabled_for_warp_size_vIXT1_EEEvE4typeEPT_S4_S4_,"axG",@progbits,_Z33warp_inclusive_scan_reduce_kernelIiLj1ELj61EENSt9enable_ifIXntsr10test_utilsE35device_test_enabled_for_warp_size_vIXT1_EEEvE4typeEPT_S4_S4_,comdat
.Lfunc_end66:
	.size	_Z33warp_inclusive_scan_reduce_kernelIiLj1ELj61EENSt9enable_ifIXntsr10test_utilsE35device_test_enabled_for_warp_size_vIXT1_EEEvE4typeEPT_S4_S4_, .Lfunc_end66-_Z33warp_inclusive_scan_reduce_kernelIiLj1ELj61EENSt9enable_ifIXntsr10test_utilsE35device_test_enabled_for_warp_size_vIXT1_EEEvE4typeEPT_S4_S4_
                                        ; -- End function
	.section	.AMDGPU.csdata,"",@progbits
; Kernel info:
; codeLenInByte = 4
; NumSgprs: 0
; NumVgprs: 0
; ScratchSize: 0
; MemoryBound: 0
; FloatMode: 240
; IeeeMode: 1
; LDSByteSize: 0 bytes/workgroup (compile time only)
; SGPRBlocks: 0
; VGPRBlocks: 0
; NumSGPRsForWavesPerEU: 1
; NumVGPRsForWavesPerEU: 1
; Occupancy: 16
; WaveLimiterHint : 0
; COMPUTE_PGM_RSRC2:SCRATCH_EN: 0
; COMPUTE_PGM_RSRC2:USER_SGPR: 15
; COMPUTE_PGM_RSRC2:TRAP_HANDLER: 0
; COMPUTE_PGM_RSRC2:TGID_X_EN: 1
; COMPUTE_PGM_RSRC2:TGID_Y_EN: 0
; COMPUTE_PGM_RSRC2:TGID_Z_EN: 0
; COMPUTE_PGM_RSRC2:TIDIG_COMP_CNT: 0
	.section	.text._Z33warp_inclusive_scan_reduce_kernelIiLj61ELj61EENSt9enable_ifIXntsr10test_utilsE35device_test_enabled_for_warp_size_vIXT1_EEEvE4typeEPT_S4_S4_,"axG",@progbits,_Z33warp_inclusive_scan_reduce_kernelIiLj61ELj61EENSt9enable_ifIXntsr10test_utilsE35device_test_enabled_for_warp_size_vIXT1_EEEvE4typeEPT_S4_S4_,comdat
	.protected	_Z33warp_inclusive_scan_reduce_kernelIiLj61ELj61EENSt9enable_ifIXntsr10test_utilsE35device_test_enabled_for_warp_size_vIXT1_EEEvE4typeEPT_S4_S4_ ; -- Begin function _Z33warp_inclusive_scan_reduce_kernelIiLj61ELj61EENSt9enable_ifIXntsr10test_utilsE35device_test_enabled_for_warp_size_vIXT1_EEEvE4typeEPT_S4_S4_
	.globl	_Z33warp_inclusive_scan_reduce_kernelIiLj61ELj61EENSt9enable_ifIXntsr10test_utilsE35device_test_enabled_for_warp_size_vIXT1_EEEvE4typeEPT_S4_S4_
	.p2align	8
	.type	_Z33warp_inclusive_scan_reduce_kernelIiLj61ELj61EENSt9enable_ifIXntsr10test_utilsE35device_test_enabled_for_warp_size_vIXT1_EEEvE4typeEPT_S4_S4_,@function
_Z33warp_inclusive_scan_reduce_kernelIiLj61ELj61EENSt9enable_ifIXntsr10test_utilsE35device_test_enabled_for_warp_size_vIXT1_EEEvE4typeEPT_S4_S4_: ; @_Z33warp_inclusive_scan_reduce_kernelIiLj61ELj61EENSt9enable_ifIXntsr10test_utilsE35device_test_enabled_for_warp_size_vIXT1_EEEvE4typeEPT_S4_S4_
; %bb.0:
	s_endpgm
	.section	.rodata,"a",@progbits
	.p2align	6, 0x0
	.amdhsa_kernel _Z33warp_inclusive_scan_reduce_kernelIiLj61ELj61EENSt9enable_ifIXntsr10test_utilsE35device_test_enabled_for_warp_size_vIXT1_EEEvE4typeEPT_S4_S4_
		.amdhsa_group_segment_fixed_size 0
		.amdhsa_private_segment_fixed_size 0
		.amdhsa_kernarg_size 24
		.amdhsa_user_sgpr_count 15
		.amdhsa_user_sgpr_dispatch_ptr 0
		.amdhsa_user_sgpr_queue_ptr 0
		.amdhsa_user_sgpr_kernarg_segment_ptr 1
		.amdhsa_user_sgpr_dispatch_id 0
		.amdhsa_user_sgpr_private_segment_size 0
		.amdhsa_wavefront_size32 1
		.amdhsa_uses_dynamic_stack 0
		.amdhsa_enable_private_segment 0
		.amdhsa_system_sgpr_workgroup_id_x 1
		.amdhsa_system_sgpr_workgroup_id_y 0
		.amdhsa_system_sgpr_workgroup_id_z 0
		.amdhsa_system_sgpr_workgroup_info 0
		.amdhsa_system_vgpr_workitem_id 0
		.amdhsa_next_free_vgpr 1
		.amdhsa_next_free_sgpr 1
		.amdhsa_reserve_vcc 0
		.amdhsa_float_round_mode_32 0
		.amdhsa_float_round_mode_16_64 0
		.amdhsa_float_denorm_mode_32 3
		.amdhsa_float_denorm_mode_16_64 3
		.amdhsa_dx10_clamp 1
		.amdhsa_ieee_mode 1
		.amdhsa_fp16_overflow 0
		.amdhsa_workgroup_processor_mode 1
		.amdhsa_memory_ordered 1
		.amdhsa_forward_progress 0
		.amdhsa_shared_vgpr_count 0
		.amdhsa_exception_fp_ieee_invalid_op 0
		.amdhsa_exception_fp_denorm_src 0
		.amdhsa_exception_fp_ieee_div_zero 0
		.amdhsa_exception_fp_ieee_overflow 0
		.amdhsa_exception_fp_ieee_underflow 0
		.amdhsa_exception_fp_ieee_inexact 0
		.amdhsa_exception_int_div_zero 0
	.end_amdhsa_kernel
	.section	.text._Z33warp_inclusive_scan_reduce_kernelIiLj61ELj61EENSt9enable_ifIXntsr10test_utilsE35device_test_enabled_for_warp_size_vIXT1_EEEvE4typeEPT_S4_S4_,"axG",@progbits,_Z33warp_inclusive_scan_reduce_kernelIiLj61ELj61EENSt9enable_ifIXntsr10test_utilsE35device_test_enabled_for_warp_size_vIXT1_EEEvE4typeEPT_S4_S4_,comdat
.Lfunc_end67:
	.size	_Z33warp_inclusive_scan_reduce_kernelIiLj61ELj61EENSt9enable_ifIXntsr10test_utilsE35device_test_enabled_for_warp_size_vIXT1_EEEvE4typeEPT_S4_S4_, .Lfunc_end67-_Z33warp_inclusive_scan_reduce_kernelIiLj61ELj61EENSt9enable_ifIXntsr10test_utilsE35device_test_enabled_for_warp_size_vIXT1_EEEvE4typeEPT_S4_S4_
                                        ; -- End function
	.section	.AMDGPU.csdata,"",@progbits
; Kernel info:
; codeLenInByte = 4
; NumSgprs: 0
; NumVgprs: 0
; ScratchSize: 0
; MemoryBound: 0
; FloatMode: 240
; IeeeMode: 1
; LDSByteSize: 0 bytes/workgroup (compile time only)
; SGPRBlocks: 0
; VGPRBlocks: 0
; NumSGPRsForWavesPerEU: 1
; NumVGPRsForWavesPerEU: 1
; Occupancy: 16
; WaveLimiterHint : 0
; COMPUTE_PGM_RSRC2:SCRATCH_EN: 0
; COMPUTE_PGM_RSRC2:USER_SGPR: 15
; COMPUTE_PGM_RSRC2:TRAP_HANDLER: 0
; COMPUTE_PGM_RSRC2:TGID_X_EN: 1
; COMPUTE_PGM_RSRC2:TGID_Y_EN: 0
; COMPUTE_PGM_RSRC2:TGID_Z_EN: 0
; COMPUTE_PGM_RSRC2:TIDIG_COMP_CNT: 0
	.section	.text._Z33warp_inclusive_scan_reduce_kernelIiLj1ELj37EENSt9enable_ifIXntsr10test_utilsE35device_test_enabled_for_warp_size_vIXT1_EEEvE4typeEPT_S4_S4_,"axG",@progbits,_Z33warp_inclusive_scan_reduce_kernelIiLj1ELj37EENSt9enable_ifIXntsr10test_utilsE35device_test_enabled_for_warp_size_vIXT1_EEEvE4typeEPT_S4_S4_,comdat
	.protected	_Z33warp_inclusive_scan_reduce_kernelIiLj1ELj37EENSt9enable_ifIXntsr10test_utilsE35device_test_enabled_for_warp_size_vIXT1_EEEvE4typeEPT_S4_S4_ ; -- Begin function _Z33warp_inclusive_scan_reduce_kernelIiLj1ELj37EENSt9enable_ifIXntsr10test_utilsE35device_test_enabled_for_warp_size_vIXT1_EEEvE4typeEPT_S4_S4_
	.globl	_Z33warp_inclusive_scan_reduce_kernelIiLj1ELj37EENSt9enable_ifIXntsr10test_utilsE35device_test_enabled_for_warp_size_vIXT1_EEEvE4typeEPT_S4_S4_
	.p2align	8
	.type	_Z33warp_inclusive_scan_reduce_kernelIiLj1ELj37EENSt9enable_ifIXntsr10test_utilsE35device_test_enabled_for_warp_size_vIXT1_EEEvE4typeEPT_S4_S4_,@function
_Z33warp_inclusive_scan_reduce_kernelIiLj1ELj37EENSt9enable_ifIXntsr10test_utilsE35device_test_enabled_for_warp_size_vIXT1_EEEvE4typeEPT_S4_S4_: ; @_Z33warp_inclusive_scan_reduce_kernelIiLj1ELj37EENSt9enable_ifIXntsr10test_utilsE35device_test_enabled_for_warp_size_vIXT1_EEEvE4typeEPT_S4_S4_
; %bb.0:
	s_endpgm
	.section	.rodata,"a",@progbits
	.p2align	6, 0x0
	.amdhsa_kernel _Z33warp_inclusive_scan_reduce_kernelIiLj1ELj37EENSt9enable_ifIXntsr10test_utilsE35device_test_enabled_for_warp_size_vIXT1_EEEvE4typeEPT_S4_S4_
		.amdhsa_group_segment_fixed_size 0
		.amdhsa_private_segment_fixed_size 0
		.amdhsa_kernarg_size 24
		.amdhsa_user_sgpr_count 15
		.amdhsa_user_sgpr_dispatch_ptr 0
		.amdhsa_user_sgpr_queue_ptr 0
		.amdhsa_user_sgpr_kernarg_segment_ptr 1
		.amdhsa_user_sgpr_dispatch_id 0
		.amdhsa_user_sgpr_private_segment_size 0
		.amdhsa_wavefront_size32 1
		.amdhsa_uses_dynamic_stack 0
		.amdhsa_enable_private_segment 0
		.amdhsa_system_sgpr_workgroup_id_x 1
		.amdhsa_system_sgpr_workgroup_id_y 0
		.amdhsa_system_sgpr_workgroup_id_z 0
		.amdhsa_system_sgpr_workgroup_info 0
		.amdhsa_system_vgpr_workitem_id 0
		.amdhsa_next_free_vgpr 1
		.amdhsa_next_free_sgpr 1
		.amdhsa_reserve_vcc 0
		.amdhsa_float_round_mode_32 0
		.amdhsa_float_round_mode_16_64 0
		.amdhsa_float_denorm_mode_32 3
		.amdhsa_float_denorm_mode_16_64 3
		.amdhsa_dx10_clamp 1
		.amdhsa_ieee_mode 1
		.amdhsa_fp16_overflow 0
		.amdhsa_workgroup_processor_mode 1
		.amdhsa_memory_ordered 1
		.amdhsa_forward_progress 0
		.amdhsa_shared_vgpr_count 0
		.amdhsa_exception_fp_ieee_invalid_op 0
		.amdhsa_exception_fp_denorm_src 0
		.amdhsa_exception_fp_ieee_div_zero 0
		.amdhsa_exception_fp_ieee_overflow 0
		.amdhsa_exception_fp_ieee_underflow 0
		.amdhsa_exception_fp_ieee_inexact 0
		.amdhsa_exception_int_div_zero 0
	.end_amdhsa_kernel
	.section	.text._Z33warp_inclusive_scan_reduce_kernelIiLj1ELj37EENSt9enable_ifIXntsr10test_utilsE35device_test_enabled_for_warp_size_vIXT1_EEEvE4typeEPT_S4_S4_,"axG",@progbits,_Z33warp_inclusive_scan_reduce_kernelIiLj1ELj37EENSt9enable_ifIXntsr10test_utilsE35device_test_enabled_for_warp_size_vIXT1_EEEvE4typeEPT_S4_S4_,comdat
.Lfunc_end68:
	.size	_Z33warp_inclusive_scan_reduce_kernelIiLj1ELj37EENSt9enable_ifIXntsr10test_utilsE35device_test_enabled_for_warp_size_vIXT1_EEEvE4typeEPT_S4_S4_, .Lfunc_end68-_Z33warp_inclusive_scan_reduce_kernelIiLj1ELj37EENSt9enable_ifIXntsr10test_utilsE35device_test_enabled_for_warp_size_vIXT1_EEEvE4typeEPT_S4_S4_
                                        ; -- End function
	.section	.AMDGPU.csdata,"",@progbits
; Kernel info:
; codeLenInByte = 4
; NumSgprs: 0
; NumVgprs: 0
; ScratchSize: 0
; MemoryBound: 0
; FloatMode: 240
; IeeeMode: 1
; LDSByteSize: 0 bytes/workgroup (compile time only)
; SGPRBlocks: 0
; VGPRBlocks: 0
; NumSGPRsForWavesPerEU: 1
; NumVGPRsForWavesPerEU: 1
; Occupancy: 16
; WaveLimiterHint : 0
; COMPUTE_PGM_RSRC2:SCRATCH_EN: 0
; COMPUTE_PGM_RSRC2:USER_SGPR: 15
; COMPUTE_PGM_RSRC2:TRAP_HANDLER: 0
; COMPUTE_PGM_RSRC2:TGID_X_EN: 1
; COMPUTE_PGM_RSRC2:TGID_Y_EN: 0
; COMPUTE_PGM_RSRC2:TGID_Z_EN: 0
; COMPUTE_PGM_RSRC2:TIDIG_COMP_CNT: 0
	.section	.text._Z33warp_inclusive_scan_reduce_kernelIiLj37ELj37EENSt9enable_ifIXntsr10test_utilsE35device_test_enabled_for_warp_size_vIXT1_EEEvE4typeEPT_S4_S4_,"axG",@progbits,_Z33warp_inclusive_scan_reduce_kernelIiLj37ELj37EENSt9enable_ifIXntsr10test_utilsE35device_test_enabled_for_warp_size_vIXT1_EEEvE4typeEPT_S4_S4_,comdat
	.protected	_Z33warp_inclusive_scan_reduce_kernelIiLj37ELj37EENSt9enable_ifIXntsr10test_utilsE35device_test_enabled_for_warp_size_vIXT1_EEEvE4typeEPT_S4_S4_ ; -- Begin function _Z33warp_inclusive_scan_reduce_kernelIiLj37ELj37EENSt9enable_ifIXntsr10test_utilsE35device_test_enabled_for_warp_size_vIXT1_EEEvE4typeEPT_S4_S4_
	.globl	_Z33warp_inclusive_scan_reduce_kernelIiLj37ELj37EENSt9enable_ifIXntsr10test_utilsE35device_test_enabled_for_warp_size_vIXT1_EEEvE4typeEPT_S4_S4_
	.p2align	8
	.type	_Z33warp_inclusive_scan_reduce_kernelIiLj37ELj37EENSt9enable_ifIXntsr10test_utilsE35device_test_enabled_for_warp_size_vIXT1_EEEvE4typeEPT_S4_S4_,@function
_Z33warp_inclusive_scan_reduce_kernelIiLj37ELj37EENSt9enable_ifIXntsr10test_utilsE35device_test_enabled_for_warp_size_vIXT1_EEEvE4typeEPT_S4_S4_: ; @_Z33warp_inclusive_scan_reduce_kernelIiLj37ELj37EENSt9enable_ifIXntsr10test_utilsE35device_test_enabled_for_warp_size_vIXT1_EEEvE4typeEPT_S4_S4_
; %bb.0:
	s_endpgm
	.section	.rodata,"a",@progbits
	.p2align	6, 0x0
	.amdhsa_kernel _Z33warp_inclusive_scan_reduce_kernelIiLj37ELj37EENSt9enable_ifIXntsr10test_utilsE35device_test_enabled_for_warp_size_vIXT1_EEEvE4typeEPT_S4_S4_
		.amdhsa_group_segment_fixed_size 0
		.amdhsa_private_segment_fixed_size 0
		.amdhsa_kernarg_size 24
		.amdhsa_user_sgpr_count 15
		.amdhsa_user_sgpr_dispatch_ptr 0
		.amdhsa_user_sgpr_queue_ptr 0
		.amdhsa_user_sgpr_kernarg_segment_ptr 1
		.amdhsa_user_sgpr_dispatch_id 0
		.amdhsa_user_sgpr_private_segment_size 0
		.amdhsa_wavefront_size32 1
		.amdhsa_uses_dynamic_stack 0
		.amdhsa_enable_private_segment 0
		.amdhsa_system_sgpr_workgroup_id_x 1
		.amdhsa_system_sgpr_workgroup_id_y 0
		.amdhsa_system_sgpr_workgroup_id_z 0
		.amdhsa_system_sgpr_workgroup_info 0
		.amdhsa_system_vgpr_workitem_id 0
		.amdhsa_next_free_vgpr 1
		.amdhsa_next_free_sgpr 1
		.amdhsa_reserve_vcc 0
		.amdhsa_float_round_mode_32 0
		.amdhsa_float_round_mode_16_64 0
		.amdhsa_float_denorm_mode_32 3
		.amdhsa_float_denorm_mode_16_64 3
		.amdhsa_dx10_clamp 1
		.amdhsa_ieee_mode 1
		.amdhsa_fp16_overflow 0
		.amdhsa_workgroup_processor_mode 1
		.amdhsa_memory_ordered 1
		.amdhsa_forward_progress 0
		.amdhsa_shared_vgpr_count 0
		.amdhsa_exception_fp_ieee_invalid_op 0
		.amdhsa_exception_fp_denorm_src 0
		.amdhsa_exception_fp_ieee_div_zero 0
		.amdhsa_exception_fp_ieee_overflow 0
		.amdhsa_exception_fp_ieee_underflow 0
		.amdhsa_exception_fp_ieee_inexact 0
		.amdhsa_exception_int_div_zero 0
	.end_amdhsa_kernel
	.section	.text._Z33warp_inclusive_scan_reduce_kernelIiLj37ELj37EENSt9enable_ifIXntsr10test_utilsE35device_test_enabled_for_warp_size_vIXT1_EEEvE4typeEPT_S4_S4_,"axG",@progbits,_Z33warp_inclusive_scan_reduce_kernelIiLj37ELj37EENSt9enable_ifIXntsr10test_utilsE35device_test_enabled_for_warp_size_vIXT1_EEEvE4typeEPT_S4_S4_,comdat
.Lfunc_end69:
	.size	_Z33warp_inclusive_scan_reduce_kernelIiLj37ELj37EENSt9enable_ifIXntsr10test_utilsE35device_test_enabled_for_warp_size_vIXT1_EEEvE4typeEPT_S4_S4_, .Lfunc_end69-_Z33warp_inclusive_scan_reduce_kernelIiLj37ELj37EENSt9enable_ifIXntsr10test_utilsE35device_test_enabled_for_warp_size_vIXT1_EEEvE4typeEPT_S4_S4_
                                        ; -- End function
	.section	.AMDGPU.csdata,"",@progbits
; Kernel info:
; codeLenInByte = 4
; NumSgprs: 0
; NumVgprs: 0
; ScratchSize: 0
; MemoryBound: 0
; FloatMode: 240
; IeeeMode: 1
; LDSByteSize: 0 bytes/workgroup (compile time only)
; SGPRBlocks: 0
; VGPRBlocks: 0
; NumSGPRsForWavesPerEU: 1
; NumVGPRsForWavesPerEU: 1
; Occupancy: 16
; WaveLimiterHint : 0
; COMPUTE_PGM_RSRC2:SCRATCH_EN: 0
; COMPUTE_PGM_RSRC2:USER_SGPR: 15
; COMPUTE_PGM_RSRC2:TRAP_HANDLER: 0
; COMPUTE_PGM_RSRC2:TGID_X_EN: 1
; COMPUTE_PGM_RSRC2:TGID_Y_EN: 0
; COMPUTE_PGM_RSRC2:TGID_Z_EN: 0
; COMPUTE_PGM_RSRC2:TIDIG_COMP_CNT: 0
	.section	.text._Z33warp_inclusive_scan_reduce_kernelIiLj30ELj15EENSt9enable_ifIXsr10test_utilsE35device_test_enabled_for_warp_size_vIXT1_EEEvE4typeEPT_S4_S4_,"axG",@progbits,_Z33warp_inclusive_scan_reduce_kernelIiLj30ELj15EENSt9enable_ifIXsr10test_utilsE35device_test_enabled_for_warp_size_vIXT1_EEEvE4typeEPT_S4_S4_,comdat
	.protected	_Z33warp_inclusive_scan_reduce_kernelIiLj30ELj15EENSt9enable_ifIXsr10test_utilsE35device_test_enabled_for_warp_size_vIXT1_EEEvE4typeEPT_S4_S4_ ; -- Begin function _Z33warp_inclusive_scan_reduce_kernelIiLj30ELj15EENSt9enable_ifIXsr10test_utilsE35device_test_enabled_for_warp_size_vIXT1_EEEvE4typeEPT_S4_S4_
	.globl	_Z33warp_inclusive_scan_reduce_kernelIiLj30ELj15EENSt9enable_ifIXsr10test_utilsE35device_test_enabled_for_warp_size_vIXT1_EEEvE4typeEPT_S4_S4_
	.p2align	8
	.type	_Z33warp_inclusive_scan_reduce_kernelIiLj30ELj15EENSt9enable_ifIXsr10test_utilsE35device_test_enabled_for_warp_size_vIXT1_EEEvE4typeEPT_S4_S4_,@function
_Z33warp_inclusive_scan_reduce_kernelIiLj30ELj15EENSt9enable_ifIXsr10test_utilsE35device_test_enabled_for_warp_size_vIXT1_EEEvE4typeEPT_S4_S4_: ; @_Z33warp_inclusive_scan_reduce_kernelIiLj30ELj15EENSt9enable_ifIXsr10test_utilsE35device_test_enabled_for_warp_size_vIXT1_EEEvE4typeEPT_S4_S4_
; %bb.0:
	s_clause 0x1
	s_load_b128 s[4:7], s[0:1], 0x0
	s_load_b64 s[2:3], s[0:1], 0x10
	v_mad_u64_u32 v[1:2], null, s15, 30, v[0:1]
	v_mov_b32_e32 v2, 0
	v_mul_u32_u24_e32 v8, 0x1112, v0
	s_bitcmp1_b32 s15, 0
	s_mov_b32 s1, -1
	s_cselect_b32 s0, -1, 0
	s_delay_alu instid0(VALU_DEP_3) | instskip(SKIP_1) | instid1(VALU_DEP_1)
	v_lshlrev_b64 v[2:3], 2, v[1:2]
	s_waitcnt lgkmcnt(0)
	v_add_co_u32 v4, vcc_lo, s4, v2
	s_delay_alu instid0(VALU_DEP_2) | instskip(SKIP_3) | instid1(VALU_DEP_1)
	v_add_co_ci_u32_e32 v5, vcc_lo, s5, v3, vcc_lo
	s_and_b32 vcc_lo, exec_lo, s0
	global_load_b32 v5, v[4:5], off
	v_mbcnt_lo_u32_b32 v4, -1, 0
	v_mul_hi_u32 v6, 0x11111112, v4
	s_delay_alu instid0(VALU_DEP_1) | instskip(NEXT) | instid1(VALU_DEP_1)
	v_mul_u32_u24_e32 v6, 15, v6
	v_sub_nc_u32_e32 v7, v4, v6
	v_lshrrev_b32_e32 v4, 16, v8
	s_delay_alu instid0(VALU_DEP_2) | instskip(SKIP_1) | instid1(VALU_DEP_2)
	v_lshlrev_b32_e32 v6, 2, v7
	v_cmp_ne_u32_e64 s0, 0, v7
	v_mad_u32_u24 v6, v4, 60, v6
	s_waitcnt vmcnt(0)
	ds_store_b32 v6, v5
	s_cbranch_vccz .LBB70_18
; %bb.1:
	v_mov_b32_e32 v8, v5
	; wave barrier
	s_and_saveexec_b32 s1, s0
	s_cbranch_execz .LBB70_3
; %bb.2:
	v_add_nc_u32_e32 v8, -4, v6
	ds_load_b32 v8, v8
	s_waitcnt lgkmcnt(0)
	v_add_nc_u32_e32 v8, v8, v5
.LBB70_3:
	s_or_b32 exec_lo, exec_lo, s1
	; wave barrier
	s_and_saveexec_b32 s1, s0
	s_cbranch_execz .LBB70_5
; %bb.4:
	ds_store_b32 v6, v8
.LBB70_5:
	s_or_b32 exec_lo, exec_lo, s1
	v_cmp_lt_u32_e32 vcc_lo, 1, v7
	; wave barrier
	s_and_saveexec_b32 s1, vcc_lo
	s_cbranch_execz .LBB70_7
; %bb.6:
	v_add_nc_u32_e32 v9, -8, v6
	ds_load_b32 v9, v9
	s_waitcnt lgkmcnt(0)
	v_add_nc_u32_e32 v8, v9, v8
.LBB70_7:
	s_or_b32 exec_lo, exec_lo, s1
	; wave barrier
	s_and_saveexec_b32 s1, vcc_lo
	s_cbranch_execz .LBB70_9
; %bb.8:
	ds_store_b32 v6, v8
.LBB70_9:
	s_or_b32 exec_lo, exec_lo, s1
	v_cmp_lt_u32_e32 vcc_lo, 3, v7
	; wave barrier
	s_and_saveexec_b32 s1, vcc_lo
	s_cbranch_execz .LBB70_11
; %bb.10:
	v_add_nc_u32_e32 v9, -16, v6
	ds_load_b32 v9, v9
	s_waitcnt lgkmcnt(0)
	v_add_nc_u32_e32 v8, v9, v8
.LBB70_11:
	s_or_b32 exec_lo, exec_lo, s1
	; wave barrier
	s_and_saveexec_b32 s1, vcc_lo
	s_cbranch_execz .LBB70_13
; %bb.12:
	ds_store_b32 v6, v8
.LBB70_13:
	s_or_b32 exec_lo, exec_lo, s1
	v_cmp_lt_u32_e32 vcc_lo, 7, v7
	; wave barrier
	s_and_saveexec_b32 s1, vcc_lo
	s_cbranch_execz .LBB70_15
; %bb.14:
	v_subrev_nc_u32_e32 v9, 32, v6
	ds_load_b32 v9, v9
	s_waitcnt lgkmcnt(0)
	v_add_nc_u32_e32 v8, v9, v8
.LBB70_15:
	s_or_b32 exec_lo, exec_lo, s1
	; wave barrier
	s_and_saveexec_b32 s1, vcc_lo
	s_cbranch_execz .LBB70_17
; %bb.16:
	ds_store_b32 v6, v8
.LBB70_17:
	s_or_b32 exec_lo, exec_lo, s1
	; wave barrier
	s_branch .LBB70_36
.LBB70_18:
                                        ; implicit-def: $vgpr8
	s_and_b32 vcc_lo, exec_lo, s1
	s_cbranch_vccz .LBB70_36
; %bb.19:
	; wave barrier
	s_and_saveexec_b32 s1, s0
	s_cbranch_execz .LBB70_21
; %bb.20:
	v_add_nc_u32_e32 v8, -4, v6
	ds_load_b32 v8, v8
	s_waitcnt lgkmcnt(0)
	v_add_nc_u32_e32 v5, v8, v5
.LBB70_21:
	s_or_b32 exec_lo, exec_lo, s1
	; wave barrier
	s_and_saveexec_b32 s1, s0
	s_cbranch_execz .LBB70_23
; %bb.22:
	ds_store_b32 v6, v5
.LBB70_23:
	s_or_b32 exec_lo, exec_lo, s1
	v_cmp_lt_u32_e32 vcc_lo, 1, v7
	; wave barrier
	s_and_saveexec_b32 s0, vcc_lo
	s_cbranch_execz .LBB70_25
; %bb.24:
	v_add_nc_u32_e32 v8, -8, v6
	ds_load_b32 v8, v8
	s_waitcnt lgkmcnt(0)
	v_add_nc_u32_e32 v5, v8, v5
.LBB70_25:
	s_or_b32 exec_lo, exec_lo, s0
	; wave barrier
	s_and_saveexec_b32 s0, vcc_lo
	s_cbranch_execz .LBB70_27
; %bb.26:
	ds_store_b32 v6, v5
.LBB70_27:
	s_or_b32 exec_lo, exec_lo, s0
	v_cmp_lt_u32_e32 vcc_lo, 3, v7
	; wave barrier
	s_and_saveexec_b32 s0, vcc_lo
	s_cbranch_execz .LBB70_29
; %bb.28:
	v_add_nc_u32_e32 v8, -16, v6
	ds_load_b32 v8, v8
	s_waitcnt lgkmcnt(0)
	v_add_nc_u32_e32 v5, v8, v5
.LBB70_29:
	s_or_b32 exec_lo, exec_lo, s0
	; wave barrier
	s_and_saveexec_b32 s0, vcc_lo
	s_cbranch_execz .LBB70_31
; %bb.30:
	ds_store_b32 v6, v5
.LBB70_31:
	s_or_b32 exec_lo, exec_lo, s0
	v_cmp_lt_u32_e32 vcc_lo, 7, v7
	; wave barrier
	s_and_saveexec_b32 s0, vcc_lo
	s_cbranch_execz .LBB70_33
; %bb.32:
	v_subrev_nc_u32_e32 v7, 32, v6
	ds_load_b32 v7, v7
	s_waitcnt lgkmcnt(0)
	v_add_nc_u32_e32 v5, v7, v5
.LBB70_33:
	s_or_b32 exec_lo, exec_lo, s0
	; wave barrier
	s_and_saveexec_b32 s0, vcc_lo
	s_cbranch_execz .LBB70_35
; %bb.34:
	ds_store_b32 v6, v5
.LBB70_35:
	s_or_b32 exec_lo, exec_lo, s0
	v_mov_b32_e32 v8, v5
	; wave barrier
.LBB70_36:
	v_mul_u32_u24_e32 v5, 60, v4
	v_mul_lo_u16 v4, v4, 15
	v_add_co_u32 v2, vcc_lo, s6, v2
	v_add_co_ci_u32_e32 v3, vcc_lo, s7, v3, vcc_lo
	s_delay_alu instid0(VALU_DEP_3)
	v_sub_nc_u16 v0, v0, v4
	s_mov_b32 s0, exec_lo
	global_store_b32 v[2:3], v8, off
	v_cmpx_eq_u16_e32 0, v0
	s_cbranch_execz .LBB70_38
; %bb.37:
	ds_load_b32 v0, v5 offset:56
	v_mul_hi_u32 v1, 0x88888889, v1
	s_delay_alu instid0(VALU_DEP_1) | instskip(NEXT) | instid1(VALU_DEP_1)
	v_lshrrev_b32_e32 v1, 1, v1
	v_and_b32_e32 v1, 0x7ffffffc, v1
	s_waitcnt lgkmcnt(0)
	global_store_b32 v1, v0, s[2:3]
.LBB70_38:
	s_nop 0
	s_sendmsg sendmsg(MSG_DEALLOC_VGPRS)
	s_endpgm
	.section	.rodata,"a",@progbits
	.p2align	6, 0x0
	.amdhsa_kernel _Z33warp_inclusive_scan_reduce_kernelIiLj30ELj15EENSt9enable_ifIXsr10test_utilsE35device_test_enabled_for_warp_size_vIXT1_EEEvE4typeEPT_S4_S4_
		.amdhsa_group_segment_fixed_size 120
		.amdhsa_private_segment_fixed_size 0
		.amdhsa_kernarg_size 24
		.amdhsa_user_sgpr_count 15
		.amdhsa_user_sgpr_dispatch_ptr 0
		.amdhsa_user_sgpr_queue_ptr 0
		.amdhsa_user_sgpr_kernarg_segment_ptr 1
		.amdhsa_user_sgpr_dispatch_id 0
		.amdhsa_user_sgpr_private_segment_size 0
		.amdhsa_wavefront_size32 1
		.amdhsa_uses_dynamic_stack 0
		.amdhsa_enable_private_segment 0
		.amdhsa_system_sgpr_workgroup_id_x 1
		.amdhsa_system_sgpr_workgroup_id_y 0
		.amdhsa_system_sgpr_workgroup_id_z 0
		.amdhsa_system_sgpr_workgroup_info 0
		.amdhsa_system_vgpr_workitem_id 0
		.amdhsa_next_free_vgpr 10
		.amdhsa_next_free_sgpr 16
		.amdhsa_reserve_vcc 1
		.amdhsa_float_round_mode_32 0
		.amdhsa_float_round_mode_16_64 0
		.amdhsa_float_denorm_mode_32 3
		.amdhsa_float_denorm_mode_16_64 3
		.amdhsa_dx10_clamp 1
		.amdhsa_ieee_mode 1
		.amdhsa_fp16_overflow 0
		.amdhsa_workgroup_processor_mode 1
		.amdhsa_memory_ordered 1
		.amdhsa_forward_progress 0
		.amdhsa_shared_vgpr_count 0
		.amdhsa_exception_fp_ieee_invalid_op 0
		.amdhsa_exception_fp_denorm_src 0
		.amdhsa_exception_fp_ieee_div_zero 0
		.amdhsa_exception_fp_ieee_overflow 0
		.amdhsa_exception_fp_ieee_underflow 0
		.amdhsa_exception_fp_ieee_inexact 0
		.amdhsa_exception_int_div_zero 0
	.end_amdhsa_kernel
	.section	.text._Z33warp_inclusive_scan_reduce_kernelIiLj30ELj15EENSt9enable_ifIXsr10test_utilsE35device_test_enabled_for_warp_size_vIXT1_EEEvE4typeEPT_S4_S4_,"axG",@progbits,_Z33warp_inclusive_scan_reduce_kernelIiLj30ELj15EENSt9enable_ifIXsr10test_utilsE35device_test_enabled_for_warp_size_vIXT1_EEEvE4typeEPT_S4_S4_,comdat
.Lfunc_end70:
	.size	_Z33warp_inclusive_scan_reduce_kernelIiLj30ELj15EENSt9enable_ifIXsr10test_utilsE35device_test_enabled_for_warp_size_vIXT1_EEEvE4typeEPT_S4_S4_, .Lfunc_end70-_Z33warp_inclusive_scan_reduce_kernelIiLj30ELj15EENSt9enable_ifIXsr10test_utilsE35device_test_enabled_for_warp_size_vIXT1_EEEvE4typeEPT_S4_S4_
                                        ; -- End function
	.section	.AMDGPU.csdata,"",@progbits
; Kernel info:
; codeLenInByte = 748
; NumSgprs: 18
; NumVgprs: 10
; ScratchSize: 0
; MemoryBound: 0
; FloatMode: 240
; IeeeMode: 1
; LDSByteSize: 120 bytes/workgroup (compile time only)
; SGPRBlocks: 2
; VGPRBlocks: 1
; NumSGPRsForWavesPerEU: 18
; NumVGPRsForWavesPerEU: 10
; Occupancy: 16
; WaveLimiterHint : 0
; COMPUTE_PGM_RSRC2:SCRATCH_EN: 0
; COMPUTE_PGM_RSRC2:USER_SGPR: 15
; COMPUTE_PGM_RSRC2:TRAP_HANDLER: 0
; COMPUTE_PGM_RSRC2:TGID_X_EN: 1
; COMPUTE_PGM_RSRC2:TGID_Y_EN: 0
; COMPUTE_PGM_RSRC2:TGID_Z_EN: 0
; COMPUTE_PGM_RSRC2:TIDIG_COMP_CNT: 0
	.section	.text._Z33warp_inclusive_scan_reduce_kernelIiLj60ELj15EENSt9enable_ifIXsr10test_utilsE35device_test_enabled_for_warp_size_vIXT1_EEEvE4typeEPT_S4_S4_,"axG",@progbits,_Z33warp_inclusive_scan_reduce_kernelIiLj60ELj15EENSt9enable_ifIXsr10test_utilsE35device_test_enabled_for_warp_size_vIXT1_EEEvE4typeEPT_S4_S4_,comdat
	.protected	_Z33warp_inclusive_scan_reduce_kernelIiLj60ELj15EENSt9enable_ifIXsr10test_utilsE35device_test_enabled_for_warp_size_vIXT1_EEEvE4typeEPT_S4_S4_ ; -- Begin function _Z33warp_inclusive_scan_reduce_kernelIiLj60ELj15EENSt9enable_ifIXsr10test_utilsE35device_test_enabled_for_warp_size_vIXT1_EEEvE4typeEPT_S4_S4_
	.globl	_Z33warp_inclusive_scan_reduce_kernelIiLj60ELj15EENSt9enable_ifIXsr10test_utilsE35device_test_enabled_for_warp_size_vIXT1_EEEvE4typeEPT_S4_S4_
	.p2align	8
	.type	_Z33warp_inclusive_scan_reduce_kernelIiLj60ELj15EENSt9enable_ifIXsr10test_utilsE35device_test_enabled_for_warp_size_vIXT1_EEEvE4typeEPT_S4_S4_,@function
_Z33warp_inclusive_scan_reduce_kernelIiLj60ELj15EENSt9enable_ifIXsr10test_utilsE35device_test_enabled_for_warp_size_vIXT1_EEEvE4typeEPT_S4_S4_: ; @_Z33warp_inclusive_scan_reduce_kernelIiLj60ELj15EENSt9enable_ifIXsr10test_utilsE35device_test_enabled_for_warp_size_vIXT1_EEEvE4typeEPT_S4_S4_
; %bb.0:
	s_clause 0x1
	s_load_b128 s[4:7], s[0:1], 0x0
	s_load_b64 s[2:3], s[0:1], 0x10
	v_mad_u64_u32 v[1:2], null, s15, 60, v[0:1]
	v_mov_b32_e32 v2, 0
	v_mul_u32_u24_e32 v8, 0x1112, v0
	s_bitcmp1_b32 s15, 0
	s_mov_b32 s1, -1
	s_cselect_b32 s0, -1, 0
	s_delay_alu instid0(VALU_DEP_3) | instskip(SKIP_1) | instid1(VALU_DEP_1)
	v_lshlrev_b64 v[2:3], 2, v[1:2]
	s_waitcnt lgkmcnt(0)
	v_add_co_u32 v4, vcc_lo, s4, v2
	s_delay_alu instid0(VALU_DEP_2) | instskip(SKIP_3) | instid1(VALU_DEP_1)
	v_add_co_ci_u32_e32 v5, vcc_lo, s5, v3, vcc_lo
	s_and_b32 vcc_lo, exec_lo, s0
	global_load_b32 v5, v[4:5], off
	v_mbcnt_lo_u32_b32 v4, -1, 0
	v_mul_hi_u32 v6, 0x11111112, v4
	s_delay_alu instid0(VALU_DEP_1) | instskip(NEXT) | instid1(VALU_DEP_1)
	v_mul_u32_u24_e32 v6, 15, v6
	v_sub_nc_u32_e32 v7, v4, v6
	v_lshrrev_b32_e32 v4, 16, v8
	s_delay_alu instid0(VALU_DEP_2) | instskip(SKIP_1) | instid1(VALU_DEP_2)
	v_lshlrev_b32_e32 v6, 2, v7
	v_cmp_ne_u32_e64 s0, 0, v7
	v_mad_u32_u24 v6, v4, 60, v6
	s_waitcnt vmcnt(0)
	ds_store_b32 v6, v5
	s_cbranch_vccz .LBB71_18
; %bb.1:
	v_mov_b32_e32 v8, v5
	; wave barrier
	s_and_saveexec_b32 s1, s0
	s_cbranch_execz .LBB71_3
; %bb.2:
	v_add_nc_u32_e32 v8, -4, v6
	ds_load_b32 v8, v8
	s_waitcnt lgkmcnt(0)
	v_add_nc_u32_e32 v8, v8, v5
.LBB71_3:
	s_or_b32 exec_lo, exec_lo, s1
	; wave barrier
	s_and_saveexec_b32 s1, s0
	s_cbranch_execz .LBB71_5
; %bb.4:
	ds_store_b32 v6, v8
.LBB71_5:
	s_or_b32 exec_lo, exec_lo, s1
	v_cmp_lt_u32_e32 vcc_lo, 1, v7
	; wave barrier
	s_and_saveexec_b32 s1, vcc_lo
	s_cbranch_execz .LBB71_7
; %bb.6:
	v_add_nc_u32_e32 v9, -8, v6
	ds_load_b32 v9, v9
	s_waitcnt lgkmcnt(0)
	v_add_nc_u32_e32 v8, v9, v8
.LBB71_7:
	s_or_b32 exec_lo, exec_lo, s1
	; wave barrier
	s_and_saveexec_b32 s1, vcc_lo
	s_cbranch_execz .LBB71_9
; %bb.8:
	ds_store_b32 v6, v8
.LBB71_9:
	s_or_b32 exec_lo, exec_lo, s1
	v_cmp_lt_u32_e32 vcc_lo, 3, v7
	; wave barrier
	s_and_saveexec_b32 s1, vcc_lo
	s_cbranch_execz .LBB71_11
; %bb.10:
	v_add_nc_u32_e32 v9, -16, v6
	ds_load_b32 v9, v9
	s_waitcnt lgkmcnt(0)
	v_add_nc_u32_e32 v8, v9, v8
.LBB71_11:
	s_or_b32 exec_lo, exec_lo, s1
	; wave barrier
	s_and_saveexec_b32 s1, vcc_lo
	s_cbranch_execz .LBB71_13
; %bb.12:
	ds_store_b32 v6, v8
.LBB71_13:
	s_or_b32 exec_lo, exec_lo, s1
	v_cmp_lt_u32_e32 vcc_lo, 7, v7
	; wave barrier
	s_and_saveexec_b32 s1, vcc_lo
	s_cbranch_execz .LBB71_15
; %bb.14:
	v_subrev_nc_u32_e32 v9, 32, v6
	ds_load_b32 v9, v9
	s_waitcnt lgkmcnt(0)
	v_add_nc_u32_e32 v8, v9, v8
.LBB71_15:
	s_or_b32 exec_lo, exec_lo, s1
	; wave barrier
	s_and_saveexec_b32 s1, vcc_lo
	s_cbranch_execz .LBB71_17
; %bb.16:
	ds_store_b32 v6, v8
.LBB71_17:
	s_or_b32 exec_lo, exec_lo, s1
	; wave barrier
	s_branch .LBB71_36
.LBB71_18:
                                        ; implicit-def: $vgpr8
	s_and_b32 vcc_lo, exec_lo, s1
	s_cbranch_vccz .LBB71_36
; %bb.19:
	; wave barrier
	s_and_saveexec_b32 s1, s0
	s_cbranch_execz .LBB71_21
; %bb.20:
	v_add_nc_u32_e32 v8, -4, v6
	ds_load_b32 v8, v8
	s_waitcnt lgkmcnt(0)
	v_add_nc_u32_e32 v5, v8, v5
.LBB71_21:
	s_or_b32 exec_lo, exec_lo, s1
	; wave barrier
	s_and_saveexec_b32 s1, s0
	s_cbranch_execz .LBB71_23
; %bb.22:
	ds_store_b32 v6, v5
.LBB71_23:
	s_or_b32 exec_lo, exec_lo, s1
	v_cmp_lt_u32_e32 vcc_lo, 1, v7
	; wave barrier
	s_and_saveexec_b32 s0, vcc_lo
	s_cbranch_execz .LBB71_25
; %bb.24:
	v_add_nc_u32_e32 v8, -8, v6
	ds_load_b32 v8, v8
	s_waitcnt lgkmcnt(0)
	v_add_nc_u32_e32 v5, v8, v5
.LBB71_25:
	s_or_b32 exec_lo, exec_lo, s0
	; wave barrier
	s_and_saveexec_b32 s0, vcc_lo
	s_cbranch_execz .LBB71_27
; %bb.26:
	ds_store_b32 v6, v5
.LBB71_27:
	s_or_b32 exec_lo, exec_lo, s0
	v_cmp_lt_u32_e32 vcc_lo, 3, v7
	; wave barrier
	s_and_saveexec_b32 s0, vcc_lo
	s_cbranch_execz .LBB71_29
; %bb.28:
	v_add_nc_u32_e32 v8, -16, v6
	ds_load_b32 v8, v8
	s_waitcnt lgkmcnt(0)
	v_add_nc_u32_e32 v5, v8, v5
.LBB71_29:
	s_or_b32 exec_lo, exec_lo, s0
	; wave barrier
	s_and_saveexec_b32 s0, vcc_lo
	s_cbranch_execz .LBB71_31
; %bb.30:
	ds_store_b32 v6, v5
.LBB71_31:
	s_or_b32 exec_lo, exec_lo, s0
	v_cmp_lt_u32_e32 vcc_lo, 7, v7
	; wave barrier
	s_and_saveexec_b32 s0, vcc_lo
	s_cbranch_execz .LBB71_33
; %bb.32:
	v_subrev_nc_u32_e32 v7, 32, v6
	ds_load_b32 v7, v7
	s_waitcnt lgkmcnt(0)
	v_add_nc_u32_e32 v5, v7, v5
.LBB71_33:
	s_or_b32 exec_lo, exec_lo, s0
	; wave barrier
	s_and_saveexec_b32 s0, vcc_lo
	s_cbranch_execz .LBB71_35
; %bb.34:
	ds_store_b32 v6, v5
.LBB71_35:
	s_or_b32 exec_lo, exec_lo, s0
	v_mov_b32_e32 v8, v5
	; wave barrier
.LBB71_36:
	v_mul_u32_u24_e32 v5, 60, v4
	v_mul_lo_u16 v4, v4, 15
	v_add_co_u32 v2, vcc_lo, s6, v2
	v_add_co_ci_u32_e32 v3, vcc_lo, s7, v3, vcc_lo
	s_delay_alu instid0(VALU_DEP_3)
	v_sub_nc_u16 v0, v0, v4
	s_mov_b32 s0, exec_lo
	global_store_b32 v[2:3], v8, off
	v_cmpx_eq_u16_e32 0, v0
	s_cbranch_execz .LBB71_38
; %bb.37:
	ds_load_b32 v0, v5 offset:56
	v_mul_hi_u32 v1, 0x88888889, v1
	s_delay_alu instid0(VALU_DEP_1) | instskip(NEXT) | instid1(VALU_DEP_1)
	v_lshrrev_b32_e32 v1, 1, v1
	v_and_b32_e32 v1, 0x7ffffffc, v1
	s_waitcnt lgkmcnt(0)
	global_store_b32 v1, v0, s[2:3]
.LBB71_38:
	s_nop 0
	s_sendmsg sendmsg(MSG_DEALLOC_VGPRS)
	s_endpgm
	.section	.rodata,"a",@progbits
	.p2align	6, 0x0
	.amdhsa_kernel _Z33warp_inclusive_scan_reduce_kernelIiLj60ELj15EENSt9enable_ifIXsr10test_utilsE35device_test_enabled_for_warp_size_vIXT1_EEEvE4typeEPT_S4_S4_
		.amdhsa_group_segment_fixed_size 240
		.amdhsa_private_segment_fixed_size 0
		.amdhsa_kernarg_size 24
		.amdhsa_user_sgpr_count 15
		.amdhsa_user_sgpr_dispatch_ptr 0
		.amdhsa_user_sgpr_queue_ptr 0
		.amdhsa_user_sgpr_kernarg_segment_ptr 1
		.amdhsa_user_sgpr_dispatch_id 0
		.amdhsa_user_sgpr_private_segment_size 0
		.amdhsa_wavefront_size32 1
		.amdhsa_uses_dynamic_stack 0
		.amdhsa_enable_private_segment 0
		.amdhsa_system_sgpr_workgroup_id_x 1
		.amdhsa_system_sgpr_workgroup_id_y 0
		.amdhsa_system_sgpr_workgroup_id_z 0
		.amdhsa_system_sgpr_workgroup_info 0
		.amdhsa_system_vgpr_workitem_id 0
		.amdhsa_next_free_vgpr 10
		.amdhsa_next_free_sgpr 16
		.amdhsa_reserve_vcc 1
		.amdhsa_float_round_mode_32 0
		.amdhsa_float_round_mode_16_64 0
		.amdhsa_float_denorm_mode_32 3
		.amdhsa_float_denorm_mode_16_64 3
		.amdhsa_dx10_clamp 1
		.amdhsa_ieee_mode 1
		.amdhsa_fp16_overflow 0
		.amdhsa_workgroup_processor_mode 1
		.amdhsa_memory_ordered 1
		.amdhsa_forward_progress 0
		.amdhsa_shared_vgpr_count 0
		.amdhsa_exception_fp_ieee_invalid_op 0
		.amdhsa_exception_fp_denorm_src 0
		.amdhsa_exception_fp_ieee_div_zero 0
		.amdhsa_exception_fp_ieee_overflow 0
		.amdhsa_exception_fp_ieee_underflow 0
		.amdhsa_exception_fp_ieee_inexact 0
		.amdhsa_exception_int_div_zero 0
	.end_amdhsa_kernel
	.section	.text._Z33warp_inclusive_scan_reduce_kernelIiLj60ELj15EENSt9enable_ifIXsr10test_utilsE35device_test_enabled_for_warp_size_vIXT1_EEEvE4typeEPT_S4_S4_,"axG",@progbits,_Z33warp_inclusive_scan_reduce_kernelIiLj60ELj15EENSt9enable_ifIXsr10test_utilsE35device_test_enabled_for_warp_size_vIXT1_EEEvE4typeEPT_S4_S4_,comdat
.Lfunc_end71:
	.size	_Z33warp_inclusive_scan_reduce_kernelIiLj60ELj15EENSt9enable_ifIXsr10test_utilsE35device_test_enabled_for_warp_size_vIXT1_EEEvE4typeEPT_S4_S4_, .Lfunc_end71-_Z33warp_inclusive_scan_reduce_kernelIiLj60ELj15EENSt9enable_ifIXsr10test_utilsE35device_test_enabled_for_warp_size_vIXT1_EEEvE4typeEPT_S4_S4_
                                        ; -- End function
	.section	.AMDGPU.csdata,"",@progbits
; Kernel info:
; codeLenInByte = 748
; NumSgprs: 18
; NumVgprs: 10
; ScratchSize: 0
; MemoryBound: 0
; FloatMode: 240
; IeeeMode: 1
; LDSByteSize: 240 bytes/workgroup (compile time only)
; SGPRBlocks: 2
; VGPRBlocks: 1
; NumSGPRsForWavesPerEU: 18
; NumVGPRsForWavesPerEU: 10
; Occupancy: 16
; WaveLimiterHint : 0
; COMPUTE_PGM_RSRC2:SCRATCH_EN: 0
; COMPUTE_PGM_RSRC2:USER_SGPR: 15
; COMPUTE_PGM_RSRC2:TRAP_HANDLER: 0
; COMPUTE_PGM_RSRC2:TGID_X_EN: 1
; COMPUTE_PGM_RSRC2:TGID_Y_EN: 0
; COMPUTE_PGM_RSRC2:TGID_Z_EN: 0
; COMPUTE_PGM_RSRC2:TIDIG_COMP_CNT: 0
	.section	.text._Z33warp_inclusive_scan_reduce_kernelIiLj28ELj7EENSt9enable_ifIXsr10test_utilsE35device_test_enabled_for_warp_size_vIXT1_EEEvE4typeEPT_S4_S4_,"axG",@progbits,_Z33warp_inclusive_scan_reduce_kernelIiLj28ELj7EENSt9enable_ifIXsr10test_utilsE35device_test_enabled_for_warp_size_vIXT1_EEEvE4typeEPT_S4_S4_,comdat
	.protected	_Z33warp_inclusive_scan_reduce_kernelIiLj28ELj7EENSt9enable_ifIXsr10test_utilsE35device_test_enabled_for_warp_size_vIXT1_EEEvE4typeEPT_S4_S4_ ; -- Begin function _Z33warp_inclusive_scan_reduce_kernelIiLj28ELj7EENSt9enable_ifIXsr10test_utilsE35device_test_enabled_for_warp_size_vIXT1_EEEvE4typeEPT_S4_S4_
	.globl	_Z33warp_inclusive_scan_reduce_kernelIiLj28ELj7EENSt9enable_ifIXsr10test_utilsE35device_test_enabled_for_warp_size_vIXT1_EEEvE4typeEPT_S4_S4_
	.p2align	8
	.type	_Z33warp_inclusive_scan_reduce_kernelIiLj28ELj7EENSt9enable_ifIXsr10test_utilsE35device_test_enabled_for_warp_size_vIXT1_EEEvE4typeEPT_S4_S4_,@function
_Z33warp_inclusive_scan_reduce_kernelIiLj28ELj7EENSt9enable_ifIXsr10test_utilsE35device_test_enabled_for_warp_size_vIXT1_EEEvE4typeEPT_S4_S4_: ; @_Z33warp_inclusive_scan_reduce_kernelIiLj28ELj7EENSt9enable_ifIXsr10test_utilsE35device_test_enabled_for_warp_size_vIXT1_EEEvE4typeEPT_S4_S4_
; %bb.0:
	s_clause 0x1
	s_load_b128 s[4:7], s[0:1], 0x0
	s_load_b64 s[2:3], s[0:1], 0x10
	v_mad_u64_u32 v[1:2], null, s15, 28, v[0:1]
	v_mov_b32_e32 v2, 0
	v_mul_u32_u24_e32 v8, 0x2493, v0
	s_bitcmp1_b32 s15, 0
	s_mov_b32 s1, -1
	s_cselect_b32 s0, -1, 0
	s_delay_alu instid0(VALU_DEP_3) | instskip(SKIP_1) | instid1(VALU_DEP_1)
	v_lshlrev_b64 v[2:3], 2, v[1:2]
	s_waitcnt lgkmcnt(0)
	v_add_co_u32 v4, vcc_lo, s4, v2
	s_delay_alu instid0(VALU_DEP_2) | instskip(SKIP_3) | instid1(VALU_DEP_1)
	v_add_co_ci_u32_e32 v5, vcc_lo, s5, v3, vcc_lo
	s_and_b32 vcc_lo, exec_lo, s0
	global_load_b32 v5, v[4:5], off
	v_mbcnt_lo_u32_b32 v4, -1, 0
	v_mul_hi_u32 v6, 0x24924925, v4
	s_delay_alu instid0(VALU_DEP_1) | instskip(NEXT) | instid1(VALU_DEP_1)
	v_mul_u32_u24_e32 v6, 7, v6
	v_sub_nc_u32_e32 v7, v4, v6
	v_lshrrev_b32_e32 v4, 16, v8
	s_delay_alu instid0(VALU_DEP_2) | instskip(SKIP_1) | instid1(VALU_DEP_2)
	v_lshlrev_b32_e32 v6, 2, v7
	v_cmp_ne_u32_e64 s0, 0, v7
	v_mad_u32_u24 v6, v4, 28, v6
	s_waitcnt vmcnt(0)
	ds_store_b32 v6, v5
	s_cbranch_vccz .LBB72_14
; %bb.1:
	v_mov_b32_e32 v8, v5
	; wave barrier
	s_and_saveexec_b32 s1, s0
	s_cbranch_execz .LBB72_3
; %bb.2:
	v_add_nc_u32_e32 v8, -4, v6
	ds_load_b32 v8, v8
	s_waitcnt lgkmcnt(0)
	v_add_nc_u32_e32 v8, v8, v5
.LBB72_3:
	s_or_b32 exec_lo, exec_lo, s1
	; wave barrier
	s_and_saveexec_b32 s1, s0
	s_cbranch_execz .LBB72_5
; %bb.4:
	ds_store_b32 v6, v8
.LBB72_5:
	s_or_b32 exec_lo, exec_lo, s1
	v_cmp_lt_u32_e32 vcc_lo, 1, v7
	; wave barrier
	s_and_saveexec_b32 s1, vcc_lo
	s_cbranch_execz .LBB72_7
; %bb.6:
	v_add_nc_u32_e32 v9, -8, v6
	ds_load_b32 v9, v9
	s_waitcnt lgkmcnt(0)
	v_add_nc_u32_e32 v8, v9, v8
.LBB72_7:
	s_or_b32 exec_lo, exec_lo, s1
	; wave barrier
	s_and_saveexec_b32 s1, vcc_lo
	s_cbranch_execz .LBB72_9
; %bb.8:
	ds_store_b32 v6, v8
.LBB72_9:
	s_or_b32 exec_lo, exec_lo, s1
	v_cmp_lt_u32_e32 vcc_lo, 3, v7
	; wave barrier
	s_and_saveexec_b32 s1, vcc_lo
	s_cbranch_execz .LBB72_11
; %bb.10:
	v_add_nc_u32_e32 v9, -16, v6
	ds_load_b32 v9, v9
	s_waitcnt lgkmcnt(0)
	v_add_nc_u32_e32 v8, v9, v8
.LBB72_11:
	s_or_b32 exec_lo, exec_lo, s1
	; wave barrier
	s_and_saveexec_b32 s1, vcc_lo
	s_cbranch_execz .LBB72_13
; %bb.12:
	ds_store_b32 v6, v8
.LBB72_13:
	s_or_b32 exec_lo, exec_lo, s1
	; wave barrier
	s_branch .LBB72_28
.LBB72_14:
                                        ; implicit-def: $vgpr8
	s_and_b32 vcc_lo, exec_lo, s1
	s_cbranch_vccz .LBB72_28
; %bb.15:
	; wave barrier
	s_and_saveexec_b32 s1, s0
	s_cbranch_execz .LBB72_17
; %bb.16:
	v_add_nc_u32_e32 v8, -4, v6
	ds_load_b32 v8, v8
	s_waitcnt lgkmcnt(0)
	v_add_nc_u32_e32 v5, v8, v5
.LBB72_17:
	s_or_b32 exec_lo, exec_lo, s1
	; wave barrier
	s_and_saveexec_b32 s1, s0
	s_cbranch_execz .LBB72_19
; %bb.18:
	ds_store_b32 v6, v5
.LBB72_19:
	s_or_b32 exec_lo, exec_lo, s1
	v_cmp_lt_u32_e32 vcc_lo, 1, v7
	; wave barrier
	s_and_saveexec_b32 s0, vcc_lo
	s_cbranch_execz .LBB72_21
; %bb.20:
	v_add_nc_u32_e32 v8, -8, v6
	ds_load_b32 v8, v8
	s_waitcnt lgkmcnt(0)
	v_add_nc_u32_e32 v5, v8, v5
.LBB72_21:
	s_or_b32 exec_lo, exec_lo, s0
	; wave barrier
	s_and_saveexec_b32 s0, vcc_lo
	s_cbranch_execz .LBB72_23
; %bb.22:
	ds_store_b32 v6, v5
.LBB72_23:
	s_or_b32 exec_lo, exec_lo, s0
	v_cmp_lt_u32_e32 vcc_lo, 3, v7
	; wave barrier
	s_and_saveexec_b32 s0, vcc_lo
	s_cbranch_execz .LBB72_25
; %bb.24:
	v_add_nc_u32_e32 v7, -16, v6
	ds_load_b32 v7, v7
	s_waitcnt lgkmcnt(0)
	v_add_nc_u32_e32 v5, v7, v5
.LBB72_25:
	s_or_b32 exec_lo, exec_lo, s0
	; wave barrier
	s_and_saveexec_b32 s0, vcc_lo
	s_cbranch_execz .LBB72_27
; %bb.26:
	ds_store_b32 v6, v5
.LBB72_27:
	s_or_b32 exec_lo, exec_lo, s0
	v_mov_b32_e32 v8, v5
	; wave barrier
.LBB72_28:
	v_mul_u32_u24_e32 v5, 28, v4
	v_mul_lo_u16 v4, v4, 7
	v_add_co_u32 v2, vcc_lo, s6, v2
	v_add_co_ci_u32_e32 v3, vcc_lo, s7, v3, vcc_lo
	s_delay_alu instid0(VALU_DEP_3)
	v_sub_nc_u16 v0, v0, v4
	s_mov_b32 s0, exec_lo
	global_store_b32 v[2:3], v8, off
	v_cmpx_eq_u16_e32 0, v0
	s_cbranch_execz .LBB72_30
; %bb.29:
	v_mul_hi_u32 v0, 0x24924925, v1
	ds_load_b32 v2, v5 offset:24
	v_sub_nc_u32_e32 v1, v1, v0
	s_delay_alu instid0(VALU_DEP_1) | instskip(NEXT) | instid1(VALU_DEP_1)
	v_lshrrev_b32_e32 v1, 1, v1
	v_add_nc_u32_e32 v0, v1, v0
	s_delay_alu instid0(VALU_DEP_1)
	v_and_b32_e32 v0, -4, v0
	s_waitcnt lgkmcnt(0)
	global_store_b32 v0, v2, s[2:3]
.LBB72_30:
	s_nop 0
	s_sendmsg sendmsg(MSG_DEALLOC_VGPRS)
	s_endpgm
	.section	.rodata,"a",@progbits
	.p2align	6, 0x0
	.amdhsa_kernel _Z33warp_inclusive_scan_reduce_kernelIiLj28ELj7EENSt9enable_ifIXsr10test_utilsE35device_test_enabled_for_warp_size_vIXT1_EEEvE4typeEPT_S4_S4_
		.amdhsa_group_segment_fixed_size 112
		.amdhsa_private_segment_fixed_size 0
		.amdhsa_kernarg_size 24
		.amdhsa_user_sgpr_count 15
		.amdhsa_user_sgpr_dispatch_ptr 0
		.amdhsa_user_sgpr_queue_ptr 0
		.amdhsa_user_sgpr_kernarg_segment_ptr 1
		.amdhsa_user_sgpr_dispatch_id 0
		.amdhsa_user_sgpr_private_segment_size 0
		.amdhsa_wavefront_size32 1
		.amdhsa_uses_dynamic_stack 0
		.amdhsa_enable_private_segment 0
		.amdhsa_system_sgpr_workgroup_id_x 1
		.amdhsa_system_sgpr_workgroup_id_y 0
		.amdhsa_system_sgpr_workgroup_id_z 0
		.amdhsa_system_sgpr_workgroup_info 0
		.amdhsa_system_vgpr_workitem_id 0
		.amdhsa_next_free_vgpr 10
		.amdhsa_next_free_sgpr 16
		.amdhsa_reserve_vcc 1
		.amdhsa_float_round_mode_32 0
		.amdhsa_float_round_mode_16_64 0
		.amdhsa_float_denorm_mode_32 3
		.amdhsa_float_denorm_mode_16_64 3
		.amdhsa_dx10_clamp 1
		.amdhsa_ieee_mode 1
		.amdhsa_fp16_overflow 0
		.amdhsa_workgroup_processor_mode 1
		.amdhsa_memory_ordered 1
		.amdhsa_forward_progress 0
		.amdhsa_shared_vgpr_count 0
		.amdhsa_exception_fp_ieee_invalid_op 0
		.amdhsa_exception_fp_denorm_src 0
		.amdhsa_exception_fp_ieee_div_zero 0
		.amdhsa_exception_fp_ieee_overflow 0
		.amdhsa_exception_fp_ieee_underflow 0
		.amdhsa_exception_fp_ieee_inexact 0
		.amdhsa_exception_int_div_zero 0
	.end_amdhsa_kernel
	.section	.text._Z33warp_inclusive_scan_reduce_kernelIiLj28ELj7EENSt9enable_ifIXsr10test_utilsE35device_test_enabled_for_warp_size_vIXT1_EEEvE4typeEPT_S4_S4_,"axG",@progbits,_Z33warp_inclusive_scan_reduce_kernelIiLj28ELj7EENSt9enable_ifIXsr10test_utilsE35device_test_enabled_for_warp_size_vIXT1_EEEvE4typeEPT_S4_S4_,comdat
.Lfunc_end72:
	.size	_Z33warp_inclusive_scan_reduce_kernelIiLj28ELj7EENSt9enable_ifIXsr10test_utilsE35device_test_enabled_for_warp_size_vIXT1_EEEvE4typeEPT_S4_S4_, .Lfunc_end72-_Z33warp_inclusive_scan_reduce_kernelIiLj28ELj7EENSt9enable_ifIXsr10test_utilsE35device_test_enabled_for_warp_size_vIXT1_EEEvE4typeEPT_S4_S4_
                                        ; -- End function
	.section	.AMDGPU.csdata,"",@progbits
; Kernel info:
; codeLenInByte = 644
; NumSgprs: 18
; NumVgprs: 10
; ScratchSize: 0
; MemoryBound: 0
; FloatMode: 240
; IeeeMode: 1
; LDSByteSize: 112 bytes/workgroup (compile time only)
; SGPRBlocks: 2
; VGPRBlocks: 1
; NumSGPRsForWavesPerEU: 18
; NumVGPRsForWavesPerEU: 10
; Occupancy: 16
; WaveLimiterHint : 0
; COMPUTE_PGM_RSRC2:SCRATCH_EN: 0
; COMPUTE_PGM_RSRC2:USER_SGPR: 15
; COMPUTE_PGM_RSRC2:TRAP_HANDLER: 0
; COMPUTE_PGM_RSRC2:TGID_X_EN: 1
; COMPUTE_PGM_RSRC2:TGID_Y_EN: 0
; COMPUTE_PGM_RSRC2:TGID_Z_EN: 0
; COMPUTE_PGM_RSRC2:TIDIG_COMP_CNT: 0
	.section	.text._Z33warp_inclusive_scan_reduce_kernelIiLj63ELj7EENSt9enable_ifIXsr10test_utilsE35device_test_enabled_for_warp_size_vIXT1_EEEvE4typeEPT_S4_S4_,"axG",@progbits,_Z33warp_inclusive_scan_reduce_kernelIiLj63ELj7EENSt9enable_ifIXsr10test_utilsE35device_test_enabled_for_warp_size_vIXT1_EEEvE4typeEPT_S4_S4_,comdat
	.protected	_Z33warp_inclusive_scan_reduce_kernelIiLj63ELj7EENSt9enable_ifIXsr10test_utilsE35device_test_enabled_for_warp_size_vIXT1_EEEvE4typeEPT_S4_S4_ ; -- Begin function _Z33warp_inclusive_scan_reduce_kernelIiLj63ELj7EENSt9enable_ifIXsr10test_utilsE35device_test_enabled_for_warp_size_vIXT1_EEEvE4typeEPT_S4_S4_
	.globl	_Z33warp_inclusive_scan_reduce_kernelIiLj63ELj7EENSt9enable_ifIXsr10test_utilsE35device_test_enabled_for_warp_size_vIXT1_EEEvE4typeEPT_S4_S4_
	.p2align	8
	.type	_Z33warp_inclusive_scan_reduce_kernelIiLj63ELj7EENSt9enable_ifIXsr10test_utilsE35device_test_enabled_for_warp_size_vIXT1_EEEvE4typeEPT_S4_S4_,@function
_Z33warp_inclusive_scan_reduce_kernelIiLj63ELj7EENSt9enable_ifIXsr10test_utilsE35device_test_enabled_for_warp_size_vIXT1_EEEvE4typeEPT_S4_S4_: ; @_Z33warp_inclusive_scan_reduce_kernelIiLj63ELj7EENSt9enable_ifIXsr10test_utilsE35device_test_enabled_for_warp_size_vIXT1_EEEvE4typeEPT_S4_S4_
; %bb.0:
	s_clause 0x1
	s_load_b128 s[4:7], s[0:1], 0x0
	s_load_b64 s[2:3], s[0:1], 0x10
	v_mad_u64_u32 v[1:2], null, s15, 63, v[0:1]
	v_mov_b32_e32 v2, 0
	v_mul_u32_u24_e32 v8, 0x2493, v0
	s_bitcmp1_b32 s15, 0
	s_mov_b32 s1, -1
	s_cselect_b32 s0, -1, 0
	s_delay_alu instid0(VALU_DEP_3) | instskip(SKIP_1) | instid1(VALU_DEP_1)
	v_lshlrev_b64 v[2:3], 2, v[1:2]
	s_waitcnt lgkmcnt(0)
	v_add_co_u32 v4, vcc_lo, s4, v2
	s_delay_alu instid0(VALU_DEP_2) | instskip(SKIP_3) | instid1(VALU_DEP_1)
	v_add_co_ci_u32_e32 v5, vcc_lo, s5, v3, vcc_lo
	s_and_b32 vcc_lo, exec_lo, s0
	global_load_b32 v5, v[4:5], off
	v_mbcnt_lo_u32_b32 v4, -1, 0
	v_mul_hi_u32 v6, 0x24924925, v4
	s_delay_alu instid0(VALU_DEP_1) | instskip(NEXT) | instid1(VALU_DEP_1)
	v_mul_u32_u24_e32 v6, 7, v6
	v_sub_nc_u32_e32 v7, v4, v6
	v_lshrrev_b32_e32 v4, 16, v8
	s_delay_alu instid0(VALU_DEP_2) | instskip(SKIP_1) | instid1(VALU_DEP_2)
	v_lshlrev_b32_e32 v6, 2, v7
	v_cmp_ne_u32_e64 s0, 0, v7
	v_mad_u32_u24 v6, v4, 28, v6
	s_waitcnt vmcnt(0)
	ds_store_b32 v6, v5
	s_cbranch_vccz .LBB73_14
; %bb.1:
	v_mov_b32_e32 v8, v5
	; wave barrier
	s_and_saveexec_b32 s1, s0
	s_cbranch_execz .LBB73_3
; %bb.2:
	v_add_nc_u32_e32 v8, -4, v6
	ds_load_b32 v8, v8
	s_waitcnt lgkmcnt(0)
	v_add_nc_u32_e32 v8, v8, v5
.LBB73_3:
	s_or_b32 exec_lo, exec_lo, s1
	; wave barrier
	s_and_saveexec_b32 s1, s0
	s_cbranch_execz .LBB73_5
; %bb.4:
	ds_store_b32 v6, v8
.LBB73_5:
	s_or_b32 exec_lo, exec_lo, s1
	v_cmp_lt_u32_e32 vcc_lo, 1, v7
	; wave barrier
	s_and_saveexec_b32 s1, vcc_lo
	s_cbranch_execz .LBB73_7
; %bb.6:
	v_add_nc_u32_e32 v9, -8, v6
	ds_load_b32 v9, v9
	s_waitcnt lgkmcnt(0)
	v_add_nc_u32_e32 v8, v9, v8
.LBB73_7:
	s_or_b32 exec_lo, exec_lo, s1
	; wave barrier
	s_and_saveexec_b32 s1, vcc_lo
	s_cbranch_execz .LBB73_9
; %bb.8:
	ds_store_b32 v6, v8
.LBB73_9:
	s_or_b32 exec_lo, exec_lo, s1
	v_cmp_lt_u32_e32 vcc_lo, 3, v7
	; wave barrier
	s_and_saveexec_b32 s1, vcc_lo
	s_cbranch_execz .LBB73_11
; %bb.10:
	v_add_nc_u32_e32 v9, -16, v6
	ds_load_b32 v9, v9
	s_waitcnt lgkmcnt(0)
	v_add_nc_u32_e32 v8, v9, v8
.LBB73_11:
	s_or_b32 exec_lo, exec_lo, s1
	; wave barrier
	s_and_saveexec_b32 s1, vcc_lo
	s_cbranch_execz .LBB73_13
; %bb.12:
	ds_store_b32 v6, v8
.LBB73_13:
	s_or_b32 exec_lo, exec_lo, s1
	; wave barrier
	s_branch .LBB73_28
.LBB73_14:
                                        ; implicit-def: $vgpr8
	s_and_b32 vcc_lo, exec_lo, s1
	s_cbranch_vccz .LBB73_28
; %bb.15:
	; wave barrier
	s_and_saveexec_b32 s1, s0
	s_cbranch_execz .LBB73_17
; %bb.16:
	v_add_nc_u32_e32 v8, -4, v6
	ds_load_b32 v8, v8
	s_waitcnt lgkmcnt(0)
	v_add_nc_u32_e32 v5, v8, v5
.LBB73_17:
	s_or_b32 exec_lo, exec_lo, s1
	; wave barrier
	s_and_saveexec_b32 s1, s0
	s_cbranch_execz .LBB73_19
; %bb.18:
	ds_store_b32 v6, v5
.LBB73_19:
	s_or_b32 exec_lo, exec_lo, s1
	v_cmp_lt_u32_e32 vcc_lo, 1, v7
	; wave barrier
	s_and_saveexec_b32 s0, vcc_lo
	s_cbranch_execz .LBB73_21
; %bb.20:
	v_add_nc_u32_e32 v8, -8, v6
	ds_load_b32 v8, v8
	s_waitcnt lgkmcnt(0)
	v_add_nc_u32_e32 v5, v8, v5
.LBB73_21:
	s_or_b32 exec_lo, exec_lo, s0
	; wave barrier
	s_and_saveexec_b32 s0, vcc_lo
	s_cbranch_execz .LBB73_23
; %bb.22:
	ds_store_b32 v6, v5
.LBB73_23:
	s_or_b32 exec_lo, exec_lo, s0
	v_cmp_lt_u32_e32 vcc_lo, 3, v7
	; wave barrier
	s_and_saveexec_b32 s0, vcc_lo
	s_cbranch_execz .LBB73_25
; %bb.24:
	v_add_nc_u32_e32 v7, -16, v6
	ds_load_b32 v7, v7
	s_waitcnt lgkmcnt(0)
	v_add_nc_u32_e32 v5, v7, v5
.LBB73_25:
	s_or_b32 exec_lo, exec_lo, s0
	; wave barrier
	s_and_saveexec_b32 s0, vcc_lo
	s_cbranch_execz .LBB73_27
; %bb.26:
	ds_store_b32 v6, v5
.LBB73_27:
	s_or_b32 exec_lo, exec_lo, s0
	v_mov_b32_e32 v8, v5
	; wave barrier
.LBB73_28:
	v_mul_u32_u24_e32 v5, 28, v4
	v_mul_lo_u16 v4, v4, 7
	v_add_co_u32 v2, vcc_lo, s6, v2
	v_add_co_ci_u32_e32 v3, vcc_lo, s7, v3, vcc_lo
	s_delay_alu instid0(VALU_DEP_3)
	v_sub_nc_u16 v0, v0, v4
	s_mov_b32 s0, exec_lo
	global_store_b32 v[2:3], v8, off
	v_cmpx_eq_u16_e32 0, v0
	s_cbranch_execz .LBB73_30
; %bb.29:
	v_mul_hi_u32 v0, 0x24924925, v1
	ds_load_b32 v2, v5 offset:24
	v_sub_nc_u32_e32 v1, v1, v0
	s_delay_alu instid0(VALU_DEP_1) | instskip(NEXT) | instid1(VALU_DEP_1)
	v_lshrrev_b32_e32 v1, 1, v1
	v_add_nc_u32_e32 v0, v1, v0
	s_delay_alu instid0(VALU_DEP_1)
	v_and_b32_e32 v0, -4, v0
	s_waitcnt lgkmcnt(0)
	global_store_b32 v0, v2, s[2:3]
.LBB73_30:
	s_nop 0
	s_sendmsg sendmsg(MSG_DEALLOC_VGPRS)
	s_endpgm
	.section	.rodata,"a",@progbits
	.p2align	6, 0x0
	.amdhsa_kernel _Z33warp_inclusive_scan_reduce_kernelIiLj63ELj7EENSt9enable_ifIXsr10test_utilsE35device_test_enabled_for_warp_size_vIXT1_EEEvE4typeEPT_S4_S4_
		.amdhsa_group_segment_fixed_size 252
		.amdhsa_private_segment_fixed_size 0
		.amdhsa_kernarg_size 24
		.amdhsa_user_sgpr_count 15
		.amdhsa_user_sgpr_dispatch_ptr 0
		.amdhsa_user_sgpr_queue_ptr 0
		.amdhsa_user_sgpr_kernarg_segment_ptr 1
		.amdhsa_user_sgpr_dispatch_id 0
		.amdhsa_user_sgpr_private_segment_size 0
		.amdhsa_wavefront_size32 1
		.amdhsa_uses_dynamic_stack 0
		.amdhsa_enable_private_segment 0
		.amdhsa_system_sgpr_workgroup_id_x 1
		.amdhsa_system_sgpr_workgroup_id_y 0
		.amdhsa_system_sgpr_workgroup_id_z 0
		.amdhsa_system_sgpr_workgroup_info 0
		.amdhsa_system_vgpr_workitem_id 0
		.amdhsa_next_free_vgpr 10
		.amdhsa_next_free_sgpr 16
		.amdhsa_reserve_vcc 1
		.amdhsa_float_round_mode_32 0
		.amdhsa_float_round_mode_16_64 0
		.amdhsa_float_denorm_mode_32 3
		.amdhsa_float_denorm_mode_16_64 3
		.amdhsa_dx10_clamp 1
		.amdhsa_ieee_mode 1
		.amdhsa_fp16_overflow 0
		.amdhsa_workgroup_processor_mode 1
		.amdhsa_memory_ordered 1
		.amdhsa_forward_progress 0
		.amdhsa_shared_vgpr_count 0
		.amdhsa_exception_fp_ieee_invalid_op 0
		.amdhsa_exception_fp_denorm_src 0
		.amdhsa_exception_fp_ieee_div_zero 0
		.amdhsa_exception_fp_ieee_overflow 0
		.amdhsa_exception_fp_ieee_underflow 0
		.amdhsa_exception_fp_ieee_inexact 0
		.amdhsa_exception_int_div_zero 0
	.end_amdhsa_kernel
	.section	.text._Z33warp_inclusive_scan_reduce_kernelIiLj63ELj7EENSt9enable_ifIXsr10test_utilsE35device_test_enabled_for_warp_size_vIXT1_EEEvE4typeEPT_S4_S4_,"axG",@progbits,_Z33warp_inclusive_scan_reduce_kernelIiLj63ELj7EENSt9enable_ifIXsr10test_utilsE35device_test_enabled_for_warp_size_vIXT1_EEEvE4typeEPT_S4_S4_,comdat
.Lfunc_end73:
	.size	_Z33warp_inclusive_scan_reduce_kernelIiLj63ELj7EENSt9enable_ifIXsr10test_utilsE35device_test_enabled_for_warp_size_vIXT1_EEEvE4typeEPT_S4_S4_, .Lfunc_end73-_Z33warp_inclusive_scan_reduce_kernelIiLj63ELj7EENSt9enable_ifIXsr10test_utilsE35device_test_enabled_for_warp_size_vIXT1_EEEvE4typeEPT_S4_S4_
                                        ; -- End function
	.section	.AMDGPU.csdata,"",@progbits
; Kernel info:
; codeLenInByte = 644
; NumSgprs: 18
; NumVgprs: 10
; ScratchSize: 0
; MemoryBound: 0
; FloatMode: 240
; IeeeMode: 1
; LDSByteSize: 252 bytes/workgroup (compile time only)
; SGPRBlocks: 2
; VGPRBlocks: 1
; NumSGPRsForWavesPerEU: 18
; NumVGPRsForWavesPerEU: 10
; Occupancy: 16
; WaveLimiterHint : 0
; COMPUTE_PGM_RSRC2:SCRATCH_EN: 0
; COMPUTE_PGM_RSRC2:USER_SGPR: 15
; COMPUTE_PGM_RSRC2:TRAP_HANDLER: 0
; COMPUTE_PGM_RSRC2:TGID_X_EN: 1
; COMPUTE_PGM_RSRC2:TGID_Y_EN: 0
; COMPUTE_PGM_RSRC2:TGID_Z_EN: 0
; COMPUTE_PGM_RSRC2:TIDIG_COMP_CNT: 0
	.section	.text._Z33warp_inclusive_scan_reduce_kernelIiLj30ELj3EENSt9enable_ifIXsr10test_utilsE35device_test_enabled_for_warp_size_vIXT1_EEEvE4typeEPT_S4_S4_,"axG",@progbits,_Z33warp_inclusive_scan_reduce_kernelIiLj30ELj3EENSt9enable_ifIXsr10test_utilsE35device_test_enabled_for_warp_size_vIXT1_EEEvE4typeEPT_S4_S4_,comdat
	.protected	_Z33warp_inclusive_scan_reduce_kernelIiLj30ELj3EENSt9enable_ifIXsr10test_utilsE35device_test_enabled_for_warp_size_vIXT1_EEEvE4typeEPT_S4_S4_ ; -- Begin function _Z33warp_inclusive_scan_reduce_kernelIiLj30ELj3EENSt9enable_ifIXsr10test_utilsE35device_test_enabled_for_warp_size_vIXT1_EEEvE4typeEPT_S4_S4_
	.globl	_Z33warp_inclusive_scan_reduce_kernelIiLj30ELj3EENSt9enable_ifIXsr10test_utilsE35device_test_enabled_for_warp_size_vIXT1_EEEvE4typeEPT_S4_S4_
	.p2align	8
	.type	_Z33warp_inclusive_scan_reduce_kernelIiLj30ELj3EENSt9enable_ifIXsr10test_utilsE35device_test_enabled_for_warp_size_vIXT1_EEEvE4typeEPT_S4_S4_,@function
_Z33warp_inclusive_scan_reduce_kernelIiLj30ELj3EENSt9enable_ifIXsr10test_utilsE35device_test_enabled_for_warp_size_vIXT1_EEEvE4typeEPT_S4_S4_: ; @_Z33warp_inclusive_scan_reduce_kernelIiLj30ELj3EENSt9enable_ifIXsr10test_utilsE35device_test_enabled_for_warp_size_vIXT1_EEEvE4typeEPT_S4_S4_
; %bb.0:
	s_clause 0x1
	s_load_b128 s[4:7], s[0:1], 0x0
	s_load_b64 s[2:3], s[0:1], 0x10
	v_mad_u64_u32 v[1:2], null, s15, 30, v[0:1]
	v_mov_b32_e32 v2, 0
	v_mul_u32_u24_e32 v8, 0x5556, v0
	s_bitcmp1_b32 s15, 0
	s_mov_b32 s1, -1
	s_cselect_b32 s0, -1, 0
	s_delay_alu instid0(VALU_DEP_3) | instskip(SKIP_1) | instid1(VALU_DEP_1)
	v_lshlrev_b64 v[2:3], 2, v[1:2]
	s_waitcnt lgkmcnt(0)
	v_add_co_u32 v4, vcc_lo, s4, v2
	s_delay_alu instid0(VALU_DEP_2) | instskip(SKIP_3) | instid1(VALU_DEP_1)
	v_add_co_ci_u32_e32 v5, vcc_lo, s5, v3, vcc_lo
	s_and_b32 vcc_lo, exec_lo, s0
	global_load_b32 v5, v[4:5], off
	v_mbcnt_lo_u32_b32 v4, -1, 0
	v_mul_hi_u32 v6, 0x55555556, v4
	s_delay_alu instid0(VALU_DEP_1) | instskip(NEXT) | instid1(VALU_DEP_1)
	v_mul_u32_u24_e32 v6, 3, v6
	v_sub_nc_u32_e32 v7, v4, v6
	v_lshrrev_b32_e32 v4, 16, v8
	s_delay_alu instid0(VALU_DEP_2) | instskip(SKIP_1) | instid1(VALU_DEP_2)
	v_lshlrev_b32_e32 v6, 2, v7
	v_cmp_ne_u32_e64 s0, 0, v7
	v_mad_u32_u24 v6, v4, 12, v6
	s_waitcnt vmcnt(0)
	ds_store_b32 v6, v5
	s_cbranch_vccz .LBB74_10
; %bb.1:
	v_mov_b32_e32 v8, v5
	; wave barrier
	s_and_saveexec_b32 s1, s0
	s_cbranch_execz .LBB74_3
; %bb.2:
	v_add_nc_u32_e32 v8, -4, v6
	ds_load_b32 v8, v8
	s_waitcnt lgkmcnt(0)
	v_add_nc_u32_e32 v8, v8, v5
.LBB74_3:
	s_or_b32 exec_lo, exec_lo, s1
	; wave barrier
	s_and_saveexec_b32 s1, s0
	s_cbranch_execz .LBB74_5
; %bb.4:
	ds_store_b32 v6, v8
.LBB74_5:
	s_or_b32 exec_lo, exec_lo, s1
	v_cmp_lt_u32_e32 vcc_lo, 1, v7
	; wave barrier
	s_and_saveexec_b32 s1, vcc_lo
	s_cbranch_execz .LBB74_7
; %bb.6:
	v_add_nc_u32_e32 v9, -8, v6
	ds_load_b32 v9, v9
	s_waitcnt lgkmcnt(0)
	v_add_nc_u32_e32 v8, v9, v8
.LBB74_7:
	s_or_b32 exec_lo, exec_lo, s1
	; wave barrier
	s_and_saveexec_b32 s1, vcc_lo
	s_cbranch_execz .LBB74_9
; %bb.8:
	ds_store_b32 v6, v8
.LBB74_9:
	s_or_b32 exec_lo, exec_lo, s1
	; wave barrier
	s_branch .LBB74_20
.LBB74_10:
                                        ; implicit-def: $vgpr8
	s_and_b32 vcc_lo, exec_lo, s1
	s_cbranch_vccz .LBB74_20
; %bb.11:
	; wave barrier
	s_and_saveexec_b32 s1, s0
	s_cbranch_execz .LBB74_13
; %bb.12:
	v_add_nc_u32_e32 v8, -4, v6
	ds_load_b32 v8, v8
	s_waitcnt lgkmcnt(0)
	v_add_nc_u32_e32 v5, v8, v5
.LBB74_13:
	s_or_b32 exec_lo, exec_lo, s1
	; wave barrier
	s_and_saveexec_b32 s1, s0
	s_cbranch_execz .LBB74_15
; %bb.14:
	ds_store_b32 v6, v5
.LBB74_15:
	s_or_b32 exec_lo, exec_lo, s1
	v_cmp_lt_u32_e32 vcc_lo, 1, v7
	; wave barrier
	s_and_saveexec_b32 s0, vcc_lo
	s_cbranch_execz .LBB74_17
; %bb.16:
	v_add_nc_u32_e32 v7, -8, v6
	ds_load_b32 v7, v7
	s_waitcnt lgkmcnt(0)
	v_add_nc_u32_e32 v5, v7, v5
.LBB74_17:
	s_or_b32 exec_lo, exec_lo, s0
	; wave barrier
	s_and_saveexec_b32 s0, vcc_lo
	s_cbranch_execz .LBB74_19
; %bb.18:
	ds_store_b32 v6, v5
.LBB74_19:
	s_or_b32 exec_lo, exec_lo, s0
	v_mov_b32_e32 v8, v5
	; wave barrier
.LBB74_20:
	v_mul_u32_u24_e32 v5, 12, v4
	v_mul_lo_u16 v4, v4, 3
	v_add_co_u32 v2, vcc_lo, s6, v2
	v_add_co_ci_u32_e32 v3, vcc_lo, s7, v3, vcc_lo
	s_delay_alu instid0(VALU_DEP_3)
	v_sub_nc_u16 v0, v0, v4
	s_mov_b32 s0, exec_lo
	global_store_b32 v[2:3], v8, off
	v_cmpx_eq_u16_e32 0, v0
	s_cbranch_execz .LBB74_22
; %bb.21:
	v_mul_hi_u32 v0, 0xaaaaaaab, v1
	ds_load_b32 v2, v5 offset:8
	v_mov_b32_e32 v1, 0
	v_lshrrev_b32_e32 v0, 1, v0
	s_delay_alu instid0(VALU_DEP_1) | instskip(NEXT) | instid1(VALU_DEP_1)
	v_lshlrev_b64 v[0:1], 2, v[0:1]
	v_add_co_u32 v0, vcc_lo, s2, v0
	s_delay_alu instid0(VALU_DEP_2)
	v_add_co_ci_u32_e32 v1, vcc_lo, s3, v1, vcc_lo
	s_waitcnt lgkmcnt(0)
	global_store_b32 v[0:1], v2, off
.LBB74_22:
	s_nop 0
	s_sendmsg sendmsg(MSG_DEALLOC_VGPRS)
	s_endpgm
	.section	.rodata,"a",@progbits
	.p2align	6, 0x0
	.amdhsa_kernel _Z33warp_inclusive_scan_reduce_kernelIiLj30ELj3EENSt9enable_ifIXsr10test_utilsE35device_test_enabled_for_warp_size_vIXT1_EEEvE4typeEPT_S4_S4_
		.amdhsa_group_segment_fixed_size 120
		.amdhsa_private_segment_fixed_size 0
		.amdhsa_kernarg_size 24
		.amdhsa_user_sgpr_count 15
		.amdhsa_user_sgpr_dispatch_ptr 0
		.amdhsa_user_sgpr_queue_ptr 0
		.amdhsa_user_sgpr_kernarg_segment_ptr 1
		.amdhsa_user_sgpr_dispatch_id 0
		.amdhsa_user_sgpr_private_segment_size 0
		.amdhsa_wavefront_size32 1
		.amdhsa_uses_dynamic_stack 0
		.amdhsa_enable_private_segment 0
		.amdhsa_system_sgpr_workgroup_id_x 1
		.amdhsa_system_sgpr_workgroup_id_y 0
		.amdhsa_system_sgpr_workgroup_id_z 0
		.amdhsa_system_sgpr_workgroup_info 0
		.amdhsa_system_vgpr_workitem_id 0
		.amdhsa_next_free_vgpr 10
		.amdhsa_next_free_sgpr 16
		.amdhsa_reserve_vcc 1
		.amdhsa_float_round_mode_32 0
		.amdhsa_float_round_mode_16_64 0
		.amdhsa_float_denorm_mode_32 3
		.amdhsa_float_denorm_mode_16_64 3
		.amdhsa_dx10_clamp 1
		.amdhsa_ieee_mode 1
		.amdhsa_fp16_overflow 0
		.amdhsa_workgroup_processor_mode 1
		.amdhsa_memory_ordered 1
		.amdhsa_forward_progress 0
		.amdhsa_shared_vgpr_count 0
		.amdhsa_exception_fp_ieee_invalid_op 0
		.amdhsa_exception_fp_denorm_src 0
		.amdhsa_exception_fp_ieee_div_zero 0
		.amdhsa_exception_fp_ieee_overflow 0
		.amdhsa_exception_fp_ieee_underflow 0
		.amdhsa_exception_fp_ieee_inexact 0
		.amdhsa_exception_int_div_zero 0
	.end_amdhsa_kernel
	.section	.text._Z33warp_inclusive_scan_reduce_kernelIiLj30ELj3EENSt9enable_ifIXsr10test_utilsE35device_test_enabled_for_warp_size_vIXT1_EEEvE4typeEPT_S4_S4_,"axG",@progbits,_Z33warp_inclusive_scan_reduce_kernelIiLj30ELj3EENSt9enable_ifIXsr10test_utilsE35device_test_enabled_for_warp_size_vIXT1_EEEvE4typeEPT_S4_S4_,comdat
.Lfunc_end74:
	.size	_Z33warp_inclusive_scan_reduce_kernelIiLj30ELj3EENSt9enable_ifIXsr10test_utilsE35device_test_enabled_for_warp_size_vIXT1_EEEvE4typeEPT_S4_S4_, .Lfunc_end74-_Z33warp_inclusive_scan_reduce_kernelIiLj30ELj3EENSt9enable_ifIXsr10test_utilsE35device_test_enabled_for_warp_size_vIXT1_EEEvE4typeEPT_S4_S4_
                                        ; -- End function
	.section	.AMDGPU.csdata,"",@progbits
; Kernel info:
; codeLenInByte = 544
; NumSgprs: 18
; NumVgprs: 10
; ScratchSize: 0
; MemoryBound: 0
; FloatMode: 240
; IeeeMode: 1
; LDSByteSize: 120 bytes/workgroup (compile time only)
; SGPRBlocks: 2
; VGPRBlocks: 1
; NumSGPRsForWavesPerEU: 18
; NumVGPRsForWavesPerEU: 10
; Occupancy: 16
; WaveLimiterHint : 0
; COMPUTE_PGM_RSRC2:SCRATCH_EN: 0
; COMPUTE_PGM_RSRC2:USER_SGPR: 15
; COMPUTE_PGM_RSRC2:TRAP_HANDLER: 0
; COMPUTE_PGM_RSRC2:TGID_X_EN: 1
; COMPUTE_PGM_RSRC2:TGID_Y_EN: 0
; COMPUTE_PGM_RSRC2:TGID_Z_EN: 0
; COMPUTE_PGM_RSRC2:TIDIG_COMP_CNT: 0
	.section	.text._Z33warp_inclusive_scan_reduce_kernelIiLj63ELj3EENSt9enable_ifIXsr10test_utilsE35device_test_enabled_for_warp_size_vIXT1_EEEvE4typeEPT_S4_S4_,"axG",@progbits,_Z33warp_inclusive_scan_reduce_kernelIiLj63ELj3EENSt9enable_ifIXsr10test_utilsE35device_test_enabled_for_warp_size_vIXT1_EEEvE4typeEPT_S4_S4_,comdat
	.protected	_Z33warp_inclusive_scan_reduce_kernelIiLj63ELj3EENSt9enable_ifIXsr10test_utilsE35device_test_enabled_for_warp_size_vIXT1_EEEvE4typeEPT_S4_S4_ ; -- Begin function _Z33warp_inclusive_scan_reduce_kernelIiLj63ELj3EENSt9enable_ifIXsr10test_utilsE35device_test_enabled_for_warp_size_vIXT1_EEEvE4typeEPT_S4_S4_
	.globl	_Z33warp_inclusive_scan_reduce_kernelIiLj63ELj3EENSt9enable_ifIXsr10test_utilsE35device_test_enabled_for_warp_size_vIXT1_EEEvE4typeEPT_S4_S4_
	.p2align	8
	.type	_Z33warp_inclusive_scan_reduce_kernelIiLj63ELj3EENSt9enable_ifIXsr10test_utilsE35device_test_enabled_for_warp_size_vIXT1_EEEvE4typeEPT_S4_S4_,@function
_Z33warp_inclusive_scan_reduce_kernelIiLj63ELj3EENSt9enable_ifIXsr10test_utilsE35device_test_enabled_for_warp_size_vIXT1_EEEvE4typeEPT_S4_S4_: ; @_Z33warp_inclusive_scan_reduce_kernelIiLj63ELj3EENSt9enable_ifIXsr10test_utilsE35device_test_enabled_for_warp_size_vIXT1_EEEvE4typeEPT_S4_S4_
; %bb.0:
	s_clause 0x1
	s_load_b128 s[4:7], s[0:1], 0x0
	s_load_b64 s[2:3], s[0:1], 0x10
	v_mad_u64_u32 v[1:2], null, s15, 63, v[0:1]
	v_mov_b32_e32 v2, 0
	v_mul_u32_u24_e32 v8, 0x5556, v0
	s_bitcmp1_b32 s15, 0
	s_mov_b32 s1, -1
	s_cselect_b32 s0, -1, 0
	s_delay_alu instid0(VALU_DEP_3) | instskip(SKIP_1) | instid1(VALU_DEP_1)
	v_lshlrev_b64 v[2:3], 2, v[1:2]
	s_waitcnt lgkmcnt(0)
	v_add_co_u32 v4, vcc_lo, s4, v2
	s_delay_alu instid0(VALU_DEP_2) | instskip(SKIP_3) | instid1(VALU_DEP_1)
	v_add_co_ci_u32_e32 v5, vcc_lo, s5, v3, vcc_lo
	s_and_b32 vcc_lo, exec_lo, s0
	global_load_b32 v5, v[4:5], off
	v_mbcnt_lo_u32_b32 v4, -1, 0
	v_mul_hi_u32 v6, 0x55555556, v4
	s_delay_alu instid0(VALU_DEP_1) | instskip(NEXT) | instid1(VALU_DEP_1)
	v_mul_u32_u24_e32 v6, 3, v6
	v_sub_nc_u32_e32 v7, v4, v6
	v_lshrrev_b32_e32 v4, 16, v8
	s_delay_alu instid0(VALU_DEP_2) | instskip(SKIP_1) | instid1(VALU_DEP_2)
	v_lshlrev_b32_e32 v6, 2, v7
	v_cmp_ne_u32_e64 s0, 0, v7
	v_mad_u32_u24 v6, v4, 12, v6
	s_waitcnt vmcnt(0)
	ds_store_b32 v6, v5
	s_cbranch_vccz .LBB75_10
; %bb.1:
	v_mov_b32_e32 v8, v5
	; wave barrier
	s_and_saveexec_b32 s1, s0
	s_cbranch_execz .LBB75_3
; %bb.2:
	v_add_nc_u32_e32 v8, -4, v6
	ds_load_b32 v8, v8
	s_waitcnt lgkmcnt(0)
	v_add_nc_u32_e32 v8, v8, v5
.LBB75_3:
	s_or_b32 exec_lo, exec_lo, s1
	; wave barrier
	s_and_saveexec_b32 s1, s0
	s_cbranch_execz .LBB75_5
; %bb.4:
	ds_store_b32 v6, v8
.LBB75_5:
	s_or_b32 exec_lo, exec_lo, s1
	v_cmp_lt_u32_e32 vcc_lo, 1, v7
	; wave barrier
	s_and_saveexec_b32 s1, vcc_lo
	s_cbranch_execz .LBB75_7
; %bb.6:
	v_add_nc_u32_e32 v9, -8, v6
	ds_load_b32 v9, v9
	s_waitcnt lgkmcnt(0)
	v_add_nc_u32_e32 v8, v9, v8
.LBB75_7:
	s_or_b32 exec_lo, exec_lo, s1
	; wave barrier
	s_and_saveexec_b32 s1, vcc_lo
	s_cbranch_execz .LBB75_9
; %bb.8:
	ds_store_b32 v6, v8
.LBB75_9:
	s_or_b32 exec_lo, exec_lo, s1
	; wave barrier
	s_branch .LBB75_20
.LBB75_10:
                                        ; implicit-def: $vgpr8
	s_and_b32 vcc_lo, exec_lo, s1
	s_cbranch_vccz .LBB75_20
; %bb.11:
	; wave barrier
	s_and_saveexec_b32 s1, s0
	s_cbranch_execz .LBB75_13
; %bb.12:
	v_add_nc_u32_e32 v8, -4, v6
	ds_load_b32 v8, v8
	s_waitcnt lgkmcnt(0)
	v_add_nc_u32_e32 v5, v8, v5
.LBB75_13:
	s_or_b32 exec_lo, exec_lo, s1
	; wave barrier
	s_and_saveexec_b32 s1, s0
	s_cbranch_execz .LBB75_15
; %bb.14:
	ds_store_b32 v6, v5
.LBB75_15:
	s_or_b32 exec_lo, exec_lo, s1
	v_cmp_lt_u32_e32 vcc_lo, 1, v7
	; wave barrier
	s_and_saveexec_b32 s0, vcc_lo
	s_cbranch_execz .LBB75_17
; %bb.16:
	v_add_nc_u32_e32 v7, -8, v6
	ds_load_b32 v7, v7
	s_waitcnt lgkmcnt(0)
	v_add_nc_u32_e32 v5, v7, v5
.LBB75_17:
	s_or_b32 exec_lo, exec_lo, s0
	; wave barrier
	s_and_saveexec_b32 s0, vcc_lo
	s_cbranch_execz .LBB75_19
; %bb.18:
	ds_store_b32 v6, v5
.LBB75_19:
	s_or_b32 exec_lo, exec_lo, s0
	v_mov_b32_e32 v8, v5
	; wave barrier
.LBB75_20:
	v_mul_u32_u24_e32 v5, 12, v4
	v_mul_lo_u16 v4, v4, 3
	v_add_co_u32 v2, vcc_lo, s6, v2
	v_add_co_ci_u32_e32 v3, vcc_lo, s7, v3, vcc_lo
	s_delay_alu instid0(VALU_DEP_3)
	v_sub_nc_u16 v0, v0, v4
	s_mov_b32 s0, exec_lo
	global_store_b32 v[2:3], v8, off
	v_cmpx_eq_u16_e32 0, v0
	s_cbranch_execz .LBB75_22
; %bb.21:
	v_mul_hi_u32 v0, 0xaaaaaaab, v1
	ds_load_b32 v2, v5 offset:8
	v_mov_b32_e32 v1, 0
	v_lshrrev_b32_e32 v0, 1, v0
	s_delay_alu instid0(VALU_DEP_1) | instskip(NEXT) | instid1(VALU_DEP_1)
	v_lshlrev_b64 v[0:1], 2, v[0:1]
	v_add_co_u32 v0, vcc_lo, s2, v0
	s_delay_alu instid0(VALU_DEP_2)
	v_add_co_ci_u32_e32 v1, vcc_lo, s3, v1, vcc_lo
	s_waitcnt lgkmcnt(0)
	global_store_b32 v[0:1], v2, off
.LBB75_22:
	s_nop 0
	s_sendmsg sendmsg(MSG_DEALLOC_VGPRS)
	s_endpgm
	.section	.rodata,"a",@progbits
	.p2align	6, 0x0
	.amdhsa_kernel _Z33warp_inclusive_scan_reduce_kernelIiLj63ELj3EENSt9enable_ifIXsr10test_utilsE35device_test_enabled_for_warp_size_vIXT1_EEEvE4typeEPT_S4_S4_
		.amdhsa_group_segment_fixed_size 252
		.amdhsa_private_segment_fixed_size 0
		.amdhsa_kernarg_size 24
		.amdhsa_user_sgpr_count 15
		.amdhsa_user_sgpr_dispatch_ptr 0
		.amdhsa_user_sgpr_queue_ptr 0
		.amdhsa_user_sgpr_kernarg_segment_ptr 1
		.amdhsa_user_sgpr_dispatch_id 0
		.amdhsa_user_sgpr_private_segment_size 0
		.amdhsa_wavefront_size32 1
		.amdhsa_uses_dynamic_stack 0
		.amdhsa_enable_private_segment 0
		.amdhsa_system_sgpr_workgroup_id_x 1
		.amdhsa_system_sgpr_workgroup_id_y 0
		.amdhsa_system_sgpr_workgroup_id_z 0
		.amdhsa_system_sgpr_workgroup_info 0
		.amdhsa_system_vgpr_workitem_id 0
		.amdhsa_next_free_vgpr 10
		.amdhsa_next_free_sgpr 16
		.amdhsa_reserve_vcc 1
		.amdhsa_float_round_mode_32 0
		.amdhsa_float_round_mode_16_64 0
		.amdhsa_float_denorm_mode_32 3
		.amdhsa_float_denorm_mode_16_64 3
		.amdhsa_dx10_clamp 1
		.amdhsa_ieee_mode 1
		.amdhsa_fp16_overflow 0
		.amdhsa_workgroup_processor_mode 1
		.amdhsa_memory_ordered 1
		.amdhsa_forward_progress 0
		.amdhsa_shared_vgpr_count 0
		.amdhsa_exception_fp_ieee_invalid_op 0
		.amdhsa_exception_fp_denorm_src 0
		.amdhsa_exception_fp_ieee_div_zero 0
		.amdhsa_exception_fp_ieee_overflow 0
		.amdhsa_exception_fp_ieee_underflow 0
		.amdhsa_exception_fp_ieee_inexact 0
		.amdhsa_exception_int_div_zero 0
	.end_amdhsa_kernel
	.section	.text._Z33warp_inclusive_scan_reduce_kernelIiLj63ELj3EENSt9enable_ifIXsr10test_utilsE35device_test_enabled_for_warp_size_vIXT1_EEEvE4typeEPT_S4_S4_,"axG",@progbits,_Z33warp_inclusive_scan_reduce_kernelIiLj63ELj3EENSt9enable_ifIXsr10test_utilsE35device_test_enabled_for_warp_size_vIXT1_EEEvE4typeEPT_S4_S4_,comdat
.Lfunc_end75:
	.size	_Z33warp_inclusive_scan_reduce_kernelIiLj63ELj3EENSt9enable_ifIXsr10test_utilsE35device_test_enabled_for_warp_size_vIXT1_EEEvE4typeEPT_S4_S4_, .Lfunc_end75-_Z33warp_inclusive_scan_reduce_kernelIiLj63ELj3EENSt9enable_ifIXsr10test_utilsE35device_test_enabled_for_warp_size_vIXT1_EEEvE4typeEPT_S4_S4_
                                        ; -- End function
	.section	.AMDGPU.csdata,"",@progbits
; Kernel info:
; codeLenInByte = 544
; NumSgprs: 18
; NumVgprs: 10
; ScratchSize: 0
; MemoryBound: 0
; FloatMode: 240
; IeeeMode: 1
; LDSByteSize: 252 bytes/workgroup (compile time only)
; SGPRBlocks: 2
; VGPRBlocks: 1
; NumSGPRsForWavesPerEU: 18
; NumVGPRsForWavesPerEU: 10
; Occupancy: 16
; WaveLimiterHint : 0
; COMPUTE_PGM_RSRC2:SCRATCH_EN: 0
; COMPUTE_PGM_RSRC2:USER_SGPR: 15
; COMPUTE_PGM_RSRC2:TRAP_HANDLER: 0
; COMPUTE_PGM_RSRC2:TGID_X_EN: 1
; COMPUTE_PGM_RSRC2:TGID_Y_EN: 0
; COMPUTE_PGM_RSRC2:TGID_Z_EN: 0
; COMPUTE_PGM_RSRC2:TIDIG_COMP_CNT: 0
	.section	.text._Z33warp_inclusive_scan_reduce_kernelI12hip_bfloat16Lj256ELj64EENSt9enable_ifIXntsr10test_utilsE35device_test_enabled_for_warp_size_vIXT1_EEEvE4typeEPT_S5_S5_,"axG",@progbits,_Z33warp_inclusive_scan_reduce_kernelI12hip_bfloat16Lj256ELj64EENSt9enable_ifIXntsr10test_utilsE35device_test_enabled_for_warp_size_vIXT1_EEEvE4typeEPT_S5_S5_,comdat
	.protected	_Z33warp_inclusive_scan_reduce_kernelI12hip_bfloat16Lj256ELj64EENSt9enable_ifIXntsr10test_utilsE35device_test_enabled_for_warp_size_vIXT1_EEEvE4typeEPT_S5_S5_ ; -- Begin function _Z33warp_inclusive_scan_reduce_kernelI12hip_bfloat16Lj256ELj64EENSt9enable_ifIXntsr10test_utilsE35device_test_enabled_for_warp_size_vIXT1_EEEvE4typeEPT_S5_S5_
	.globl	_Z33warp_inclusive_scan_reduce_kernelI12hip_bfloat16Lj256ELj64EENSt9enable_ifIXntsr10test_utilsE35device_test_enabled_for_warp_size_vIXT1_EEEvE4typeEPT_S5_S5_
	.p2align	8
	.type	_Z33warp_inclusive_scan_reduce_kernelI12hip_bfloat16Lj256ELj64EENSt9enable_ifIXntsr10test_utilsE35device_test_enabled_for_warp_size_vIXT1_EEEvE4typeEPT_S5_S5_,@function
_Z33warp_inclusive_scan_reduce_kernelI12hip_bfloat16Lj256ELj64EENSt9enable_ifIXntsr10test_utilsE35device_test_enabled_for_warp_size_vIXT1_EEEvE4typeEPT_S5_S5_: ; @_Z33warp_inclusive_scan_reduce_kernelI12hip_bfloat16Lj256ELj64EENSt9enable_ifIXntsr10test_utilsE35device_test_enabled_for_warp_size_vIXT1_EEEvE4typeEPT_S5_S5_
; %bb.0:
	s_endpgm
	.section	.rodata,"a",@progbits
	.p2align	6, 0x0
	.amdhsa_kernel _Z33warp_inclusive_scan_reduce_kernelI12hip_bfloat16Lj256ELj64EENSt9enable_ifIXntsr10test_utilsE35device_test_enabled_for_warp_size_vIXT1_EEEvE4typeEPT_S5_S5_
		.amdhsa_group_segment_fixed_size 0
		.amdhsa_private_segment_fixed_size 0
		.amdhsa_kernarg_size 24
		.amdhsa_user_sgpr_count 15
		.amdhsa_user_sgpr_dispatch_ptr 0
		.amdhsa_user_sgpr_queue_ptr 0
		.amdhsa_user_sgpr_kernarg_segment_ptr 1
		.amdhsa_user_sgpr_dispatch_id 0
		.amdhsa_user_sgpr_private_segment_size 0
		.amdhsa_wavefront_size32 1
		.amdhsa_uses_dynamic_stack 0
		.amdhsa_enable_private_segment 0
		.amdhsa_system_sgpr_workgroup_id_x 1
		.amdhsa_system_sgpr_workgroup_id_y 0
		.amdhsa_system_sgpr_workgroup_id_z 0
		.amdhsa_system_sgpr_workgroup_info 0
		.amdhsa_system_vgpr_workitem_id 0
		.amdhsa_next_free_vgpr 1
		.amdhsa_next_free_sgpr 1
		.amdhsa_reserve_vcc 0
		.amdhsa_float_round_mode_32 0
		.amdhsa_float_round_mode_16_64 0
		.amdhsa_float_denorm_mode_32 3
		.amdhsa_float_denorm_mode_16_64 3
		.amdhsa_dx10_clamp 1
		.amdhsa_ieee_mode 1
		.amdhsa_fp16_overflow 0
		.amdhsa_workgroup_processor_mode 1
		.amdhsa_memory_ordered 1
		.amdhsa_forward_progress 0
		.amdhsa_shared_vgpr_count 0
		.amdhsa_exception_fp_ieee_invalid_op 0
		.amdhsa_exception_fp_denorm_src 0
		.amdhsa_exception_fp_ieee_div_zero 0
		.amdhsa_exception_fp_ieee_overflow 0
		.amdhsa_exception_fp_ieee_underflow 0
		.amdhsa_exception_fp_ieee_inexact 0
		.amdhsa_exception_int_div_zero 0
	.end_amdhsa_kernel
	.section	.text._Z33warp_inclusive_scan_reduce_kernelI12hip_bfloat16Lj256ELj64EENSt9enable_ifIXntsr10test_utilsE35device_test_enabled_for_warp_size_vIXT1_EEEvE4typeEPT_S5_S5_,"axG",@progbits,_Z33warp_inclusive_scan_reduce_kernelI12hip_bfloat16Lj256ELj64EENSt9enable_ifIXntsr10test_utilsE35device_test_enabled_for_warp_size_vIXT1_EEEvE4typeEPT_S5_S5_,comdat
.Lfunc_end76:
	.size	_Z33warp_inclusive_scan_reduce_kernelI12hip_bfloat16Lj256ELj64EENSt9enable_ifIXntsr10test_utilsE35device_test_enabled_for_warp_size_vIXT1_EEEvE4typeEPT_S5_S5_, .Lfunc_end76-_Z33warp_inclusive_scan_reduce_kernelI12hip_bfloat16Lj256ELj64EENSt9enable_ifIXntsr10test_utilsE35device_test_enabled_for_warp_size_vIXT1_EEEvE4typeEPT_S5_S5_
                                        ; -- End function
	.section	.AMDGPU.csdata,"",@progbits
; Kernel info:
; codeLenInByte = 4
; NumSgprs: 0
; NumVgprs: 0
; ScratchSize: 0
; MemoryBound: 0
; FloatMode: 240
; IeeeMode: 1
; LDSByteSize: 0 bytes/workgroup (compile time only)
; SGPRBlocks: 0
; VGPRBlocks: 0
; NumSGPRsForWavesPerEU: 1
; NumVGPRsForWavesPerEU: 1
; Occupancy: 16
; WaveLimiterHint : 0
; COMPUTE_PGM_RSRC2:SCRATCH_EN: 0
; COMPUTE_PGM_RSRC2:USER_SGPR: 15
; COMPUTE_PGM_RSRC2:TRAP_HANDLER: 0
; COMPUTE_PGM_RSRC2:TGID_X_EN: 1
; COMPUTE_PGM_RSRC2:TGID_Y_EN: 0
; COMPUTE_PGM_RSRC2:TGID_Z_EN: 0
; COMPUTE_PGM_RSRC2:TIDIG_COMP_CNT: 0
	.section	.text._Z33warp_inclusive_scan_reduce_kernelI12hip_bfloat16Lj128ELj32EENSt9enable_ifIXsr10test_utilsE35device_test_enabled_for_warp_size_vIXT1_EEEvE4typeEPT_S5_S5_,"axG",@progbits,_Z33warp_inclusive_scan_reduce_kernelI12hip_bfloat16Lj128ELj32EENSt9enable_ifIXsr10test_utilsE35device_test_enabled_for_warp_size_vIXT1_EEEvE4typeEPT_S5_S5_,comdat
	.protected	_Z33warp_inclusive_scan_reduce_kernelI12hip_bfloat16Lj128ELj32EENSt9enable_ifIXsr10test_utilsE35device_test_enabled_for_warp_size_vIXT1_EEEvE4typeEPT_S5_S5_ ; -- Begin function _Z33warp_inclusive_scan_reduce_kernelI12hip_bfloat16Lj128ELj32EENSt9enable_ifIXsr10test_utilsE35device_test_enabled_for_warp_size_vIXT1_EEEvE4typeEPT_S5_S5_
	.globl	_Z33warp_inclusive_scan_reduce_kernelI12hip_bfloat16Lj128ELj32EENSt9enable_ifIXsr10test_utilsE35device_test_enabled_for_warp_size_vIXT1_EEEvE4typeEPT_S5_S5_
	.p2align	8
	.type	_Z33warp_inclusive_scan_reduce_kernelI12hip_bfloat16Lj128ELj32EENSt9enable_ifIXsr10test_utilsE35device_test_enabled_for_warp_size_vIXT1_EEEvE4typeEPT_S5_S5_,@function
_Z33warp_inclusive_scan_reduce_kernelI12hip_bfloat16Lj128ELj32EENSt9enable_ifIXsr10test_utilsE35device_test_enabled_for_warp_size_vIXT1_EEEvE4typeEPT_S5_S5_: ; @_Z33warp_inclusive_scan_reduce_kernelI12hip_bfloat16Lj128ELj32EENSt9enable_ifIXsr10test_utilsE35device_test_enabled_for_warp_size_vIXT1_EEEvE4typeEPT_S5_S5_
; %bb.0:
	s_load_b128 s[4:7], s[0:1], 0x0
	v_mov_b32_e32 v2, 0
	v_lshl_or_b32 v1, s15, 7, v0
	s_load_b64 s[0:1], s[0:1], 0x10
	s_bitcmp1_b32 s15, 0
	s_cselect_b32 s2, -1, 0
	s_delay_alu instid0(VALU_DEP_1) | instskip(SKIP_1) | instid1(VALU_DEP_1)
	v_lshlrev_b64 v[2:3], 1, v[1:2]
	s_waitcnt lgkmcnt(0)
	v_add_co_u32 v4, vcc_lo, s4, v2
	s_delay_alu instid0(VALU_DEP_2) | instskip(SKIP_4) | instid1(VALU_DEP_1)
	v_add_co_ci_u32_e32 v5, vcc_lo, s5, v3, vcc_lo
	s_and_b32 vcc_lo, exec_lo, s2
	s_mov_b32 s2, -1
	global_load_u16 v6, v[4:5], off
	v_mbcnt_lo_u32_b32 v4, -1, 0
	v_and_b32_e32 v5, 15, v4
	s_waitcnt vmcnt(0)
	v_lshlrev_b32_e32 v7, 16, v6
	s_cbranch_vccz .LBB77_22
; %bb.1:
	v_mov_b32_dpp v8, v6 row_shr:1 row_mask:0xf bank_mask:0xf
	s_delay_alu instid0(VALU_DEP_1) | instskip(NEXT) | instid1(VALU_DEP_1)
	v_lshlrev_b32_e32 v8, 16, v8
	v_add_f32_e32 v8, v7, v8
	s_delay_alu instid0(VALU_DEP_1) | instskip(NEXT) | instid1(VALU_DEP_1)
	v_and_b32_e32 v9, 0x7f800000, v8
	v_cmp_ne_u32_e32 vcc_lo, 0x7f800000, v9
                                        ; implicit-def: $vgpr9
	s_and_saveexec_b32 s2, vcc_lo
	s_delay_alu instid0(SALU_CYCLE_1)
	s_xor_b32 s2, exec_lo, s2
; %bb.2:
	v_bfe_u32 v9, v8, 16, 1
	s_delay_alu instid0(VALU_DEP_1)
	v_add3_u32 v9, v8, v9, 0x7fff
                                        ; implicit-def: $vgpr8
; %bb.3:
	s_and_not1_saveexec_b32 s2, s2
; %bb.4:
	v_and_b32_e32 v9, 0xffff, v8
	v_or_b32_e32 v10, 0x10000, v8
	s_delay_alu instid0(VALU_DEP_2) | instskip(NEXT) | instid1(VALU_DEP_2)
	v_cmp_eq_u32_e32 vcc_lo, 0, v9
	v_cndmask_b32_e32 v9, v10, v8, vcc_lo
; %bb.5:
	s_or_b32 exec_lo, exec_lo, s2
	v_cmp_eq_u32_e32 vcc_lo, 0, v5
	s_delay_alu instid0(VALU_DEP_2) | instskip(SKIP_1) | instid1(VALU_DEP_1)
	v_and_b32_e32 v8, 0xffff0000, v9
	v_lshrrev_b32_e32 v9, 16, v9
	v_dual_cndmask_b32 v9, v9, v6 :: v_dual_cndmask_b32 v8, v8, v7
	s_delay_alu instid0(VALU_DEP_1) | instskip(NEXT) | instid1(VALU_DEP_1)
	v_mov_b32_dpp v10, v9 row_shr:2 row_mask:0xf bank_mask:0xf
	v_lshlrev_b32_e32 v10, 16, v10
	s_delay_alu instid0(VALU_DEP_1) | instskip(NEXT) | instid1(VALU_DEP_1)
	v_add_f32_e32 v10, v8, v10
	v_and_b32_e32 v11, 0x7f800000, v10
	s_delay_alu instid0(VALU_DEP_1) | instskip(SKIP_1) | instid1(SALU_CYCLE_1)
	v_cmp_ne_u32_e32 vcc_lo, 0x7f800000, v11
                                        ; implicit-def: $vgpr11
	s_and_saveexec_b32 s2, vcc_lo
	s_xor_b32 s2, exec_lo, s2
; %bb.6:
	v_bfe_u32 v11, v10, 16, 1
	s_delay_alu instid0(VALU_DEP_1)
	v_add3_u32 v11, v10, v11, 0x7fff
                                        ; implicit-def: $vgpr10
; %bb.7:
	s_and_not1_saveexec_b32 s2, s2
; %bb.8:
	v_and_b32_e32 v11, 0xffff, v10
	v_or_b32_e32 v12, 0x10000, v10
	s_delay_alu instid0(VALU_DEP_2) | instskip(NEXT) | instid1(VALU_DEP_2)
	v_cmp_eq_u32_e32 vcc_lo, 0, v11
	v_cndmask_b32_e32 v11, v12, v10, vcc_lo
; %bb.9:
	s_or_b32 exec_lo, exec_lo, s2
	s_delay_alu instid0(VALU_DEP_1) | instskip(SKIP_2) | instid1(VALU_DEP_2)
	v_and_b32_e32 v10, 0xffff0000, v11
	v_lshrrev_b32_e32 v11, 16, v11
	v_cmp_lt_u32_e32 vcc_lo, 1, v5
	v_dual_cndmask_b32 v8, v8, v10 :: v_dual_cndmask_b32 v9, v9, v11
	s_delay_alu instid0(VALU_DEP_1) | instskip(NEXT) | instid1(VALU_DEP_1)
	v_mov_b32_dpp v10, v9 row_shr:4 row_mask:0xf bank_mask:0xf
	v_lshlrev_b32_e32 v10, 16, v10
	s_delay_alu instid0(VALU_DEP_1) | instskip(NEXT) | instid1(VALU_DEP_1)
	v_add_f32_e32 v10, v8, v10
	v_and_b32_e32 v11, 0x7f800000, v10
	s_delay_alu instid0(VALU_DEP_1) | instskip(SKIP_1) | instid1(SALU_CYCLE_1)
	v_cmp_ne_u32_e32 vcc_lo, 0x7f800000, v11
                                        ; implicit-def: $vgpr11
	s_and_saveexec_b32 s2, vcc_lo
	s_xor_b32 s2, exec_lo, s2
; %bb.10:
	v_bfe_u32 v11, v10, 16, 1
	s_delay_alu instid0(VALU_DEP_1)
	v_add3_u32 v11, v10, v11, 0x7fff
                                        ; implicit-def: $vgpr10
; %bb.11:
	s_and_not1_saveexec_b32 s2, s2
; %bb.12:
	v_and_b32_e32 v11, 0xffff, v10
	v_or_b32_e32 v12, 0x10000, v10
	s_delay_alu instid0(VALU_DEP_2) | instskip(NEXT) | instid1(VALU_DEP_2)
	v_cmp_eq_u32_e32 vcc_lo, 0, v11
	v_cndmask_b32_e32 v11, v12, v10, vcc_lo
; %bb.13:
	s_or_b32 exec_lo, exec_lo, s2
	s_delay_alu instid0(VALU_DEP_1) | instskip(SKIP_2) | instid1(VALU_DEP_2)
	v_and_b32_e32 v10, 0xffff0000, v11
	v_lshrrev_b32_e32 v11, 16, v11
	v_cmp_lt_u32_e32 vcc_lo, 3, v5
	v_dual_cndmask_b32 v8, v8, v10 :: v_dual_cndmask_b32 v9, v9, v11
	s_delay_alu instid0(VALU_DEP_1) | instskip(NEXT) | instid1(VALU_DEP_1)
	v_mov_b32_dpp v10, v9 row_shr:8 row_mask:0xf bank_mask:0xf
	v_lshlrev_b32_e32 v10, 16, v10
	s_delay_alu instid0(VALU_DEP_1) | instskip(NEXT) | instid1(VALU_DEP_1)
	v_add_f32_e32 v10, v8, v10
	v_and_b32_e32 v11, 0x7f800000, v10
	s_delay_alu instid0(VALU_DEP_1) | instskip(SKIP_1) | instid1(SALU_CYCLE_1)
	v_cmp_ne_u32_e32 vcc_lo, 0x7f800000, v11
                                        ; implicit-def: $vgpr11
	s_and_saveexec_b32 s2, vcc_lo
	s_xor_b32 s2, exec_lo, s2
; %bb.14:
	v_bfe_u32 v11, v10, 16, 1
	s_delay_alu instid0(VALU_DEP_1)
	v_add3_u32 v11, v10, v11, 0x7fff
                                        ; implicit-def: $vgpr10
; %bb.15:
	s_and_not1_saveexec_b32 s2, s2
; %bb.16:
	v_and_b32_e32 v11, 0xffff, v10
	v_or_b32_e32 v12, 0x10000, v10
	s_delay_alu instid0(VALU_DEP_2) | instskip(NEXT) | instid1(VALU_DEP_2)
	v_cmp_eq_u32_e32 vcc_lo, 0, v11
	v_cndmask_b32_e32 v11, v12, v10, vcc_lo
; %bb.17:
	s_or_b32 exec_lo, exec_lo, s2
	s_delay_alu instid0(VALU_DEP_1) | instskip(SKIP_2) | instid1(VALU_DEP_3)
	v_and_b32_e32 v10, 0xffff0000, v11
	v_lshrrev_b32_e32 v11, 16, v11
	v_cmp_lt_u32_e32 vcc_lo, 7, v5
	v_cndmask_b32_e32 v10, v8, v10, vcc_lo
	s_delay_alu instid0(VALU_DEP_3) | instskip(SKIP_3) | instid1(VALU_DEP_1)
	v_cndmask_b32_e32 v8, v9, v11, vcc_lo
	ds_swizzle_b32 v9, v8 offset:swizzle(BROADCAST,32,15)
	s_waitcnt lgkmcnt(0)
	v_lshlrev_b32_e32 v9, 16, v9
	v_add_f32_e32 v9, v10, v9
	s_delay_alu instid0(VALU_DEP_1) | instskip(NEXT) | instid1(VALU_DEP_1)
	v_and_b32_e32 v10, 0x7f800000, v9
	v_cmp_ne_u32_e32 vcc_lo, 0x7f800000, v10
                                        ; implicit-def: $vgpr10
	s_and_saveexec_b32 s2, vcc_lo
	s_delay_alu instid0(SALU_CYCLE_1)
	s_xor_b32 s2, exec_lo, s2
; %bb.18:
	v_bfe_u32 v10, v9, 16, 1
	s_delay_alu instid0(VALU_DEP_1)
	v_add3_u32 v10, v9, v10, 0x7fff
                                        ; implicit-def: $vgpr9
; %bb.19:
	s_and_not1_saveexec_b32 s2, s2
; %bb.20:
	v_and_b32_e32 v10, 0xffff, v9
	v_or_b32_e32 v11, 0x10000, v9
	s_delay_alu instid0(VALU_DEP_2) | instskip(NEXT) | instid1(VALU_DEP_2)
	v_cmp_eq_u32_e32 vcc_lo, 0, v10
	v_cndmask_b32_e32 v10, v11, v9, vcc_lo
; %bb.21:
	s_or_b32 exec_lo, exec_lo, s2
	v_and_b32_e32 v9, 16, v4
	s_delay_alu instid0(VALU_DEP_2) | instskip(NEXT) | instid1(VALU_DEP_2)
	v_lshrrev_b32_e32 v10, 16, v10
	v_cmp_eq_u32_e32 vcc_lo, 0, v9
	s_delay_alu instid0(VALU_DEP_2) | instskip(NEXT) | instid1(VALU_DEP_1)
	v_dual_cndmask_b32 v9, v10, v8 :: v_dual_mov_b32 v10, 0
	v_and_b32_e32 v8, 0xffff, v9
	ds_bpermute_b32 v8, v10, v8 offset:124
	s_branch .LBB77_44
.LBB77_22:
                                        ; implicit-def: $vgpr9
                                        ; implicit-def: $vgpr8
	s_and_b32 vcc_lo, exec_lo, s2
	s_cbranch_vccz .LBB77_44
; %bb.23:
	s_waitcnt lgkmcnt(0)
	v_mov_b32_dpp v8, v6 row_shr:1 row_mask:0xf bank_mask:0xf
	s_delay_alu instid0(VALU_DEP_1) | instskip(NEXT) | instid1(VALU_DEP_1)
	v_lshlrev_b32_e32 v8, 16, v8
	v_add_f32_e32 v8, v7, v8
	s_delay_alu instid0(VALU_DEP_1) | instskip(NEXT) | instid1(VALU_DEP_1)
	v_and_b32_e32 v9, 0x7f800000, v8
	v_cmp_ne_u32_e32 vcc_lo, 0x7f800000, v9
                                        ; implicit-def: $vgpr9
	s_and_saveexec_b32 s2, vcc_lo
	s_delay_alu instid0(SALU_CYCLE_1)
	s_xor_b32 s2, exec_lo, s2
; %bb.24:
	v_bfe_u32 v9, v8, 16, 1
	s_delay_alu instid0(VALU_DEP_1)
	v_add3_u32 v9, v8, v9, 0x7fff
                                        ; implicit-def: $vgpr8
; %bb.25:
	s_and_not1_saveexec_b32 s2, s2
; %bb.26:
	v_and_b32_e32 v9, 0xffff, v8
	v_or_b32_e32 v10, 0x10000, v8
	s_delay_alu instid0(VALU_DEP_2) | instskip(NEXT) | instid1(VALU_DEP_2)
	v_cmp_eq_u32_e32 vcc_lo, 0, v9
	v_cndmask_b32_e32 v9, v10, v8, vcc_lo
; %bb.27:
	s_or_b32 exec_lo, exec_lo, s2
	s_delay_alu instid0(VALU_DEP_1) | instskip(SKIP_2) | instid1(VALU_DEP_2)
	v_and_b32_e32 v8, 0xffff0000, v9
	v_lshrrev_b32_e32 v9, 16, v9
	v_cmp_eq_u32_e32 vcc_lo, 0, v5
	v_dual_cndmask_b32 v7, v8, v7 :: v_dual_cndmask_b32 v6, v9, v6
	s_delay_alu instid0(VALU_DEP_1) | instskip(NEXT) | instid1(VALU_DEP_1)
	v_mov_b32_dpp v8, v6 row_shr:2 row_mask:0xf bank_mask:0xf
	v_lshlrev_b32_e32 v8, 16, v8
	s_delay_alu instid0(VALU_DEP_1) | instskip(NEXT) | instid1(VALU_DEP_1)
	v_add_f32_e32 v8, v7, v8
	v_and_b32_e32 v9, 0x7f800000, v8
	s_delay_alu instid0(VALU_DEP_1) | instskip(SKIP_1) | instid1(SALU_CYCLE_1)
	v_cmp_ne_u32_e32 vcc_lo, 0x7f800000, v9
                                        ; implicit-def: $vgpr9
	s_and_saveexec_b32 s2, vcc_lo
	s_xor_b32 s2, exec_lo, s2
; %bb.28:
	v_bfe_u32 v9, v8, 16, 1
	s_delay_alu instid0(VALU_DEP_1)
	v_add3_u32 v9, v8, v9, 0x7fff
                                        ; implicit-def: $vgpr8
; %bb.29:
	s_and_not1_saveexec_b32 s2, s2
; %bb.30:
	v_and_b32_e32 v9, 0xffff, v8
	v_or_b32_e32 v10, 0x10000, v8
	s_delay_alu instid0(VALU_DEP_2) | instskip(NEXT) | instid1(VALU_DEP_2)
	v_cmp_eq_u32_e32 vcc_lo, 0, v9
	v_cndmask_b32_e32 v9, v10, v8, vcc_lo
; %bb.31:
	s_or_b32 exec_lo, exec_lo, s2
	s_delay_alu instid0(VALU_DEP_1) | instskip(SKIP_2) | instid1(VALU_DEP_2)
	v_and_b32_e32 v8, 0xffff0000, v9
	v_lshrrev_b32_e32 v9, 16, v9
	v_cmp_lt_u32_e32 vcc_lo, 1, v5
	v_dual_cndmask_b32 v7, v7, v8 :: v_dual_cndmask_b32 v6, v6, v9
	s_delay_alu instid0(VALU_DEP_1) | instskip(NEXT) | instid1(VALU_DEP_1)
	v_mov_b32_dpp v8, v6 row_shr:4 row_mask:0xf bank_mask:0xf
	v_lshlrev_b32_e32 v8, 16, v8
	s_delay_alu instid0(VALU_DEP_1) | instskip(NEXT) | instid1(VALU_DEP_1)
	v_add_f32_e32 v8, v7, v8
	v_and_b32_e32 v9, 0x7f800000, v8
	s_delay_alu instid0(VALU_DEP_1) | instskip(SKIP_1) | instid1(SALU_CYCLE_1)
	v_cmp_ne_u32_e32 vcc_lo, 0x7f800000, v9
                                        ; implicit-def: $vgpr9
	s_and_saveexec_b32 s2, vcc_lo
	s_xor_b32 s2, exec_lo, s2
; %bb.32:
	v_bfe_u32 v9, v8, 16, 1
	s_delay_alu instid0(VALU_DEP_1)
	v_add3_u32 v9, v8, v9, 0x7fff
                                        ; implicit-def: $vgpr8
; %bb.33:
	s_and_not1_saveexec_b32 s2, s2
; %bb.34:
	v_and_b32_e32 v9, 0xffff, v8
	v_or_b32_e32 v10, 0x10000, v8
	s_delay_alu instid0(VALU_DEP_2) | instskip(NEXT) | instid1(VALU_DEP_2)
	v_cmp_eq_u32_e32 vcc_lo, 0, v9
	v_cndmask_b32_e32 v9, v10, v8, vcc_lo
; %bb.35:
	s_or_b32 exec_lo, exec_lo, s2
	s_delay_alu instid0(VALU_DEP_1) | instskip(SKIP_2) | instid1(VALU_DEP_2)
	v_and_b32_e32 v8, 0xffff0000, v9
	v_lshrrev_b32_e32 v9, 16, v9
	v_cmp_lt_u32_e32 vcc_lo, 3, v5
	;; [unrolled: 31-line block ×3, first 2 shown]
	v_cndmask_b32_e32 v5, v6, v9, vcc_lo
	ds_swizzle_b32 v6, v5 offset:swizzle(BROADCAST,32,15)
	s_waitcnt lgkmcnt(0)
	v_dual_cndmask_b32 v7, v7, v8 :: v_dual_lshlrev_b32 v6, 16, v6
	s_delay_alu instid0(VALU_DEP_1) | instskip(NEXT) | instid1(VALU_DEP_1)
	v_add_f32_e32 v6, v7, v6
	v_and_b32_e32 v7, 0x7f800000, v6
	s_delay_alu instid0(VALU_DEP_1) | instskip(SKIP_1) | instid1(SALU_CYCLE_1)
	v_cmp_ne_u32_e32 vcc_lo, 0x7f800000, v7
                                        ; implicit-def: $vgpr7
	s_and_saveexec_b32 s2, vcc_lo
	s_xor_b32 s2, exec_lo, s2
; %bb.40:
	v_bfe_u32 v7, v6, 16, 1
	s_delay_alu instid0(VALU_DEP_1)
	v_add3_u32 v7, v6, v7, 0x7fff
                                        ; implicit-def: $vgpr6
; %bb.41:
	s_and_not1_saveexec_b32 s2, s2
; %bb.42:
	v_and_b32_e32 v7, 0xffff, v6
	v_or_b32_e32 v8, 0x10000, v6
	s_delay_alu instid0(VALU_DEP_2) | instskip(NEXT) | instid1(VALU_DEP_2)
	v_cmp_eq_u32_e32 vcc_lo, 0, v7
	v_cndmask_b32_e32 v7, v8, v6, vcc_lo
; %bb.43:
	s_or_b32 exec_lo, exec_lo, s2
	s_delay_alu instid0(VALU_DEP_1) | instskip(SKIP_1) | instid1(VALU_DEP_1)
	v_lshrrev_b32_e32 v6, 16, v7
	v_and_b32_e32 v4, 16, v4
	v_cmp_eq_u32_e32 vcc_lo, 0, v4
	s_delay_alu instid0(VALU_DEP_3) | instskip(NEXT) | instid1(VALU_DEP_1)
	v_cndmask_b32_e32 v9, v6, v5, vcc_lo
	v_dual_mov_b32 v5, 0 :: v_dual_and_b32 v4, 0xffff, v9
	ds_bpermute_b32 v8, v5, v4 offset:124
.LBB77_44:
	v_add_co_u32 v2, vcc_lo, s6, v2
	v_and_b32_e32 v0, 31, v0
	v_add_co_ci_u32_e32 v3, vcc_lo, s7, v3, vcc_lo
	s_mov_b32 s2, exec_lo
	global_store_b16 v[2:3], v9, off
	v_cmpx_eq_u32_e32 0, v0
	s_cbranch_execz .LBB77_46
; %bb.45:
	v_lshrrev_b32_e32 v0, 4, v1
	s_waitcnt lgkmcnt(0)
	global_store_b16 v0, v8, s[0:1]
.LBB77_46:
	s_nop 0
	s_sendmsg sendmsg(MSG_DEALLOC_VGPRS)
	s_endpgm
	.section	.rodata,"a",@progbits
	.p2align	6, 0x0
	.amdhsa_kernel _Z33warp_inclusive_scan_reduce_kernelI12hip_bfloat16Lj128ELj32EENSt9enable_ifIXsr10test_utilsE35device_test_enabled_for_warp_size_vIXT1_EEEvE4typeEPT_S5_S5_
		.amdhsa_group_segment_fixed_size 0
		.amdhsa_private_segment_fixed_size 0
		.amdhsa_kernarg_size 24
		.amdhsa_user_sgpr_count 15
		.amdhsa_user_sgpr_dispatch_ptr 0
		.amdhsa_user_sgpr_queue_ptr 0
		.amdhsa_user_sgpr_kernarg_segment_ptr 1
		.amdhsa_user_sgpr_dispatch_id 0
		.amdhsa_user_sgpr_private_segment_size 0
		.amdhsa_wavefront_size32 1
		.amdhsa_uses_dynamic_stack 0
		.amdhsa_enable_private_segment 0
		.amdhsa_system_sgpr_workgroup_id_x 1
		.amdhsa_system_sgpr_workgroup_id_y 0
		.amdhsa_system_sgpr_workgroup_id_z 0
		.amdhsa_system_sgpr_workgroup_info 0
		.amdhsa_system_vgpr_workitem_id 0
		.amdhsa_next_free_vgpr 13
		.amdhsa_next_free_sgpr 16
		.amdhsa_reserve_vcc 1
		.amdhsa_float_round_mode_32 0
		.amdhsa_float_round_mode_16_64 0
		.amdhsa_float_denorm_mode_32 3
		.amdhsa_float_denorm_mode_16_64 3
		.amdhsa_dx10_clamp 1
		.amdhsa_ieee_mode 1
		.amdhsa_fp16_overflow 0
		.amdhsa_workgroup_processor_mode 1
		.amdhsa_memory_ordered 1
		.amdhsa_forward_progress 0
		.amdhsa_shared_vgpr_count 0
		.amdhsa_exception_fp_ieee_invalid_op 0
		.amdhsa_exception_fp_denorm_src 0
		.amdhsa_exception_fp_ieee_div_zero 0
		.amdhsa_exception_fp_ieee_overflow 0
		.amdhsa_exception_fp_ieee_underflow 0
		.amdhsa_exception_fp_ieee_inexact 0
		.amdhsa_exception_int_div_zero 0
	.end_amdhsa_kernel
	.section	.text._Z33warp_inclusive_scan_reduce_kernelI12hip_bfloat16Lj128ELj32EENSt9enable_ifIXsr10test_utilsE35device_test_enabled_for_warp_size_vIXT1_EEEvE4typeEPT_S5_S5_,"axG",@progbits,_Z33warp_inclusive_scan_reduce_kernelI12hip_bfloat16Lj128ELj32EENSt9enable_ifIXsr10test_utilsE35device_test_enabled_for_warp_size_vIXT1_EEEvE4typeEPT_S5_S5_,comdat
.Lfunc_end77:
	.size	_Z33warp_inclusive_scan_reduce_kernelI12hip_bfloat16Lj128ELj32EENSt9enable_ifIXsr10test_utilsE35device_test_enabled_for_warp_size_vIXT1_EEEvE4typeEPT_S5_S5_, .Lfunc_end77-_Z33warp_inclusive_scan_reduce_kernelI12hip_bfloat16Lj128ELj32EENSt9enable_ifIXsr10test_utilsE35device_test_enabled_for_warp_size_vIXT1_EEEvE4typeEPT_S5_S5_
                                        ; -- End function
	.section	.AMDGPU.csdata,"",@progbits
; Kernel info:
; codeLenInByte = 1624
; NumSgprs: 18
; NumVgprs: 13
; ScratchSize: 0
; MemoryBound: 0
; FloatMode: 240
; IeeeMode: 1
; LDSByteSize: 0 bytes/workgroup (compile time only)
; SGPRBlocks: 2
; VGPRBlocks: 1
; NumSGPRsForWavesPerEU: 18
; NumVGPRsForWavesPerEU: 13
; Occupancy: 16
; WaveLimiterHint : 0
; COMPUTE_PGM_RSRC2:SCRATCH_EN: 0
; COMPUTE_PGM_RSRC2:USER_SGPR: 15
; COMPUTE_PGM_RSRC2:TRAP_HANDLER: 0
; COMPUTE_PGM_RSRC2:TGID_X_EN: 1
; COMPUTE_PGM_RSRC2:TGID_Y_EN: 0
; COMPUTE_PGM_RSRC2:TGID_Z_EN: 0
; COMPUTE_PGM_RSRC2:TIDIG_COMP_CNT: 0
	.section	.text._Z33warp_inclusive_scan_reduce_kernelI12hip_bfloat16Lj64ELj16EENSt9enable_ifIXsr10test_utilsE35device_test_enabled_for_warp_size_vIXT1_EEEvE4typeEPT_S5_S5_,"axG",@progbits,_Z33warp_inclusive_scan_reduce_kernelI12hip_bfloat16Lj64ELj16EENSt9enable_ifIXsr10test_utilsE35device_test_enabled_for_warp_size_vIXT1_EEEvE4typeEPT_S5_S5_,comdat
	.protected	_Z33warp_inclusive_scan_reduce_kernelI12hip_bfloat16Lj64ELj16EENSt9enable_ifIXsr10test_utilsE35device_test_enabled_for_warp_size_vIXT1_EEEvE4typeEPT_S5_S5_ ; -- Begin function _Z33warp_inclusive_scan_reduce_kernelI12hip_bfloat16Lj64ELj16EENSt9enable_ifIXsr10test_utilsE35device_test_enabled_for_warp_size_vIXT1_EEEvE4typeEPT_S5_S5_
	.globl	_Z33warp_inclusive_scan_reduce_kernelI12hip_bfloat16Lj64ELj16EENSt9enable_ifIXsr10test_utilsE35device_test_enabled_for_warp_size_vIXT1_EEEvE4typeEPT_S5_S5_
	.p2align	8
	.type	_Z33warp_inclusive_scan_reduce_kernelI12hip_bfloat16Lj64ELj16EENSt9enable_ifIXsr10test_utilsE35device_test_enabled_for_warp_size_vIXT1_EEEvE4typeEPT_S5_S5_,@function
_Z33warp_inclusive_scan_reduce_kernelI12hip_bfloat16Lj64ELj16EENSt9enable_ifIXsr10test_utilsE35device_test_enabled_for_warp_size_vIXT1_EEEvE4typeEPT_S5_S5_: ; @_Z33warp_inclusive_scan_reduce_kernelI12hip_bfloat16Lj64ELj16EENSt9enable_ifIXsr10test_utilsE35device_test_enabled_for_warp_size_vIXT1_EEEvE4typeEPT_S5_S5_
; %bb.0:
	s_load_b128 s[4:7], s[0:1], 0x0
	v_mov_b32_e32 v2, 0
	v_lshl_or_b32 v1, s15, 6, v0
	s_load_b64 s[0:1], s[0:1], 0x10
	s_bitcmp1_b32 s15, 0
	s_cselect_b32 s2, -1, 0
	s_delay_alu instid0(VALU_DEP_1) | instskip(SKIP_1) | instid1(VALU_DEP_1)
	v_lshlrev_b64 v[2:3], 1, v[1:2]
	s_waitcnt lgkmcnt(0)
	v_add_co_u32 v4, vcc_lo, s4, v2
	s_delay_alu instid0(VALU_DEP_2) | instskip(SKIP_4) | instid1(VALU_DEP_1)
	v_add_co_ci_u32_e32 v5, vcc_lo, s5, v3, vcc_lo
	s_and_b32 vcc_lo, exec_lo, s2
	s_mov_b32 s2, -1
	global_load_u16 v6, v[4:5], off
	v_mbcnt_lo_u32_b32 v4, -1, 0
	v_and_b32_e32 v5, 15, v4
	s_waitcnt vmcnt(0)
	v_lshlrev_b32_e32 v7, 16, v6
	s_cbranch_vccz .LBB78_18
; %bb.1:
	v_mov_b32_dpp v8, v6 row_shr:1 row_mask:0xf bank_mask:0xf
	s_delay_alu instid0(VALU_DEP_1) | instskip(NEXT) | instid1(VALU_DEP_1)
	v_lshlrev_b32_e32 v8, 16, v8
	v_add_f32_e32 v8, v7, v8
	s_delay_alu instid0(VALU_DEP_1) | instskip(NEXT) | instid1(VALU_DEP_1)
	v_and_b32_e32 v9, 0x7f800000, v8
	v_cmp_ne_u32_e32 vcc_lo, 0x7f800000, v9
                                        ; implicit-def: $vgpr9
	s_and_saveexec_b32 s2, vcc_lo
	s_delay_alu instid0(SALU_CYCLE_1)
	s_xor_b32 s2, exec_lo, s2
; %bb.2:
	v_bfe_u32 v9, v8, 16, 1
	s_delay_alu instid0(VALU_DEP_1)
	v_add3_u32 v9, v8, v9, 0x7fff
                                        ; implicit-def: $vgpr8
; %bb.3:
	s_and_not1_saveexec_b32 s2, s2
; %bb.4:
	v_and_b32_e32 v9, 0xffff, v8
	v_or_b32_e32 v10, 0x10000, v8
	s_delay_alu instid0(VALU_DEP_2) | instskip(NEXT) | instid1(VALU_DEP_2)
	v_cmp_eq_u32_e32 vcc_lo, 0, v9
	v_cndmask_b32_e32 v9, v10, v8, vcc_lo
; %bb.5:
	s_or_b32 exec_lo, exec_lo, s2
	v_cmp_eq_u32_e32 vcc_lo, 0, v5
	s_delay_alu instid0(VALU_DEP_2) | instskip(SKIP_1) | instid1(VALU_DEP_1)
	v_and_b32_e32 v8, 0xffff0000, v9
	v_lshrrev_b32_e32 v9, 16, v9
	v_dual_cndmask_b32 v9, v9, v6 :: v_dual_cndmask_b32 v8, v8, v7
	s_delay_alu instid0(VALU_DEP_1) | instskip(NEXT) | instid1(VALU_DEP_1)
	v_mov_b32_dpp v10, v9 row_shr:2 row_mask:0xf bank_mask:0xf
	v_lshlrev_b32_e32 v10, 16, v10
	s_delay_alu instid0(VALU_DEP_1) | instskip(NEXT) | instid1(VALU_DEP_1)
	v_add_f32_e32 v10, v8, v10
	v_and_b32_e32 v11, 0x7f800000, v10
	s_delay_alu instid0(VALU_DEP_1) | instskip(SKIP_1) | instid1(SALU_CYCLE_1)
	v_cmp_ne_u32_e32 vcc_lo, 0x7f800000, v11
                                        ; implicit-def: $vgpr11
	s_and_saveexec_b32 s2, vcc_lo
	s_xor_b32 s2, exec_lo, s2
; %bb.6:
	v_bfe_u32 v11, v10, 16, 1
	s_delay_alu instid0(VALU_DEP_1)
	v_add3_u32 v11, v10, v11, 0x7fff
                                        ; implicit-def: $vgpr10
; %bb.7:
	s_and_not1_saveexec_b32 s2, s2
; %bb.8:
	v_and_b32_e32 v11, 0xffff, v10
	v_or_b32_e32 v12, 0x10000, v10
	s_delay_alu instid0(VALU_DEP_2) | instskip(NEXT) | instid1(VALU_DEP_2)
	v_cmp_eq_u32_e32 vcc_lo, 0, v11
	v_cndmask_b32_e32 v11, v12, v10, vcc_lo
; %bb.9:
	s_or_b32 exec_lo, exec_lo, s2
	s_delay_alu instid0(VALU_DEP_1) | instskip(SKIP_2) | instid1(VALU_DEP_2)
	v_and_b32_e32 v10, 0xffff0000, v11
	v_lshrrev_b32_e32 v11, 16, v11
	v_cmp_lt_u32_e32 vcc_lo, 1, v5
	v_dual_cndmask_b32 v8, v8, v10 :: v_dual_cndmask_b32 v9, v9, v11
	s_delay_alu instid0(VALU_DEP_1) | instskip(NEXT) | instid1(VALU_DEP_1)
	v_mov_b32_dpp v10, v9 row_shr:4 row_mask:0xf bank_mask:0xf
	v_lshlrev_b32_e32 v10, 16, v10
	s_delay_alu instid0(VALU_DEP_1) | instskip(NEXT) | instid1(VALU_DEP_1)
	v_add_f32_e32 v10, v8, v10
	v_and_b32_e32 v11, 0x7f800000, v10
	s_delay_alu instid0(VALU_DEP_1) | instskip(SKIP_1) | instid1(SALU_CYCLE_1)
	v_cmp_ne_u32_e32 vcc_lo, 0x7f800000, v11
                                        ; implicit-def: $vgpr11
	s_and_saveexec_b32 s2, vcc_lo
	s_xor_b32 s2, exec_lo, s2
; %bb.10:
	v_bfe_u32 v11, v10, 16, 1
	s_delay_alu instid0(VALU_DEP_1)
	v_add3_u32 v11, v10, v11, 0x7fff
                                        ; implicit-def: $vgpr10
; %bb.11:
	s_and_not1_saveexec_b32 s2, s2
; %bb.12:
	v_and_b32_e32 v11, 0xffff, v10
	v_or_b32_e32 v12, 0x10000, v10
	s_delay_alu instid0(VALU_DEP_2) | instskip(NEXT) | instid1(VALU_DEP_2)
	v_cmp_eq_u32_e32 vcc_lo, 0, v11
	v_cndmask_b32_e32 v11, v12, v10, vcc_lo
; %bb.13:
	s_or_b32 exec_lo, exec_lo, s2
	s_delay_alu instid0(VALU_DEP_1) | instskip(SKIP_2) | instid1(VALU_DEP_3)
	v_and_b32_e32 v10, 0xffff0000, v11
	v_lshrrev_b32_e32 v11, 16, v11
	v_cmp_lt_u32_e32 vcc_lo, 3, v5
	v_cndmask_b32_e32 v10, v8, v10, vcc_lo
	s_delay_alu instid0(VALU_DEP_3) | instskip(NEXT) | instid1(VALU_DEP_1)
	v_cndmask_b32_e32 v8, v9, v11, vcc_lo
	v_mov_b32_dpp v9, v8 row_shr:8 row_mask:0xf bank_mask:0xf
	s_delay_alu instid0(VALU_DEP_1) | instskip(NEXT) | instid1(VALU_DEP_1)
	v_lshlrev_b32_e32 v9, 16, v9
	v_add_f32_e32 v9, v10, v9
	s_delay_alu instid0(VALU_DEP_1) | instskip(NEXT) | instid1(VALU_DEP_1)
	v_and_b32_e32 v10, 0x7f800000, v9
	v_cmp_ne_u32_e32 vcc_lo, 0x7f800000, v10
                                        ; implicit-def: $vgpr10
	s_and_saveexec_b32 s2, vcc_lo
	s_delay_alu instid0(SALU_CYCLE_1)
	s_xor_b32 s2, exec_lo, s2
; %bb.14:
	v_bfe_u32 v10, v9, 16, 1
	s_delay_alu instid0(VALU_DEP_1)
	v_add3_u32 v10, v9, v10, 0x7fff
                                        ; implicit-def: $vgpr9
; %bb.15:
	s_and_not1_saveexec_b32 s2, s2
; %bb.16:
	v_and_b32_e32 v10, 0xffff, v9
	v_or_b32_e32 v11, 0x10000, v9
	s_delay_alu instid0(VALU_DEP_2) | instskip(NEXT) | instid1(VALU_DEP_2)
	v_cmp_eq_u32_e32 vcc_lo, 0, v10
	v_cndmask_b32_e32 v10, v11, v9, vcc_lo
; %bb.17:
	s_or_b32 exec_lo, exec_lo, s2
	s_delay_alu instid0(VALU_DEP_1) | instskip(SKIP_2) | instid1(VALU_DEP_3)
	v_lshrrev_b32_e32 v9, 16, v10
	v_cmp_lt_u32_e32 vcc_lo, 7, v5
	v_lshl_or_b32 v10, v4, 2, 60
	v_cndmask_b32_e32 v9, v8, v9, vcc_lo
	s_delay_alu instid0(VALU_DEP_1)
	v_and_b32_e32 v8, 0xffff, v9
	ds_bpermute_b32 v8, v10, v8
	s_branch .LBB78_36
.LBB78_18:
                                        ; implicit-def: $vgpr9
                                        ; implicit-def: $vgpr8
	s_and_b32 vcc_lo, exec_lo, s2
	s_cbranch_vccz .LBB78_36
; %bb.19:
	s_waitcnt lgkmcnt(0)
	v_mov_b32_dpp v8, v6 row_shr:1 row_mask:0xf bank_mask:0xf
	s_delay_alu instid0(VALU_DEP_1) | instskip(NEXT) | instid1(VALU_DEP_1)
	v_lshlrev_b32_e32 v8, 16, v8
	v_add_f32_e32 v8, v7, v8
	s_delay_alu instid0(VALU_DEP_1) | instskip(NEXT) | instid1(VALU_DEP_1)
	v_and_b32_e32 v9, 0x7f800000, v8
	v_cmp_ne_u32_e32 vcc_lo, 0x7f800000, v9
                                        ; implicit-def: $vgpr9
	s_and_saveexec_b32 s2, vcc_lo
	s_delay_alu instid0(SALU_CYCLE_1)
	s_xor_b32 s2, exec_lo, s2
; %bb.20:
	v_bfe_u32 v9, v8, 16, 1
	s_delay_alu instid0(VALU_DEP_1)
	v_add3_u32 v9, v8, v9, 0x7fff
                                        ; implicit-def: $vgpr8
; %bb.21:
	s_and_not1_saveexec_b32 s2, s2
; %bb.22:
	v_and_b32_e32 v9, 0xffff, v8
	v_or_b32_e32 v10, 0x10000, v8
	s_delay_alu instid0(VALU_DEP_2) | instskip(NEXT) | instid1(VALU_DEP_2)
	v_cmp_eq_u32_e32 vcc_lo, 0, v9
	v_cndmask_b32_e32 v9, v10, v8, vcc_lo
; %bb.23:
	s_or_b32 exec_lo, exec_lo, s2
	s_delay_alu instid0(VALU_DEP_1) | instskip(SKIP_2) | instid1(VALU_DEP_2)
	v_and_b32_e32 v8, 0xffff0000, v9
	v_lshrrev_b32_e32 v9, 16, v9
	v_cmp_eq_u32_e32 vcc_lo, 0, v5
	v_dual_cndmask_b32 v7, v8, v7 :: v_dual_cndmask_b32 v6, v9, v6
	s_delay_alu instid0(VALU_DEP_1) | instskip(NEXT) | instid1(VALU_DEP_1)
	v_mov_b32_dpp v8, v6 row_shr:2 row_mask:0xf bank_mask:0xf
	v_lshlrev_b32_e32 v8, 16, v8
	s_delay_alu instid0(VALU_DEP_1) | instskip(NEXT) | instid1(VALU_DEP_1)
	v_add_f32_e32 v8, v7, v8
	v_and_b32_e32 v9, 0x7f800000, v8
	s_delay_alu instid0(VALU_DEP_1) | instskip(SKIP_1) | instid1(SALU_CYCLE_1)
	v_cmp_ne_u32_e32 vcc_lo, 0x7f800000, v9
                                        ; implicit-def: $vgpr9
	s_and_saveexec_b32 s2, vcc_lo
	s_xor_b32 s2, exec_lo, s2
; %bb.24:
	v_bfe_u32 v9, v8, 16, 1
	s_delay_alu instid0(VALU_DEP_1)
	v_add3_u32 v9, v8, v9, 0x7fff
                                        ; implicit-def: $vgpr8
; %bb.25:
	s_and_not1_saveexec_b32 s2, s2
; %bb.26:
	v_and_b32_e32 v9, 0xffff, v8
	v_or_b32_e32 v10, 0x10000, v8
	s_delay_alu instid0(VALU_DEP_2) | instskip(NEXT) | instid1(VALU_DEP_2)
	v_cmp_eq_u32_e32 vcc_lo, 0, v9
	v_cndmask_b32_e32 v9, v10, v8, vcc_lo
; %bb.27:
	s_or_b32 exec_lo, exec_lo, s2
	s_delay_alu instid0(VALU_DEP_1) | instskip(SKIP_2) | instid1(VALU_DEP_2)
	v_and_b32_e32 v8, 0xffff0000, v9
	v_lshrrev_b32_e32 v9, 16, v9
	v_cmp_lt_u32_e32 vcc_lo, 1, v5
	v_dual_cndmask_b32 v7, v7, v8 :: v_dual_cndmask_b32 v6, v6, v9
	s_delay_alu instid0(VALU_DEP_1) | instskip(NEXT) | instid1(VALU_DEP_1)
	v_mov_b32_dpp v8, v6 row_shr:4 row_mask:0xf bank_mask:0xf
	v_lshlrev_b32_e32 v8, 16, v8
	s_delay_alu instid0(VALU_DEP_1) | instskip(NEXT) | instid1(VALU_DEP_1)
	v_add_f32_e32 v8, v7, v8
	v_and_b32_e32 v9, 0x7f800000, v8
	s_delay_alu instid0(VALU_DEP_1) | instskip(SKIP_1) | instid1(SALU_CYCLE_1)
	v_cmp_ne_u32_e32 vcc_lo, 0x7f800000, v9
                                        ; implicit-def: $vgpr9
	s_and_saveexec_b32 s2, vcc_lo
	s_xor_b32 s2, exec_lo, s2
; %bb.28:
	v_bfe_u32 v9, v8, 16, 1
	s_delay_alu instid0(VALU_DEP_1)
	v_add3_u32 v9, v8, v9, 0x7fff
                                        ; implicit-def: $vgpr8
; %bb.29:
	s_and_not1_saveexec_b32 s2, s2
; %bb.30:
	v_and_b32_e32 v9, 0xffff, v8
	v_or_b32_e32 v10, 0x10000, v8
	s_delay_alu instid0(VALU_DEP_2) | instskip(NEXT) | instid1(VALU_DEP_2)
	v_cmp_eq_u32_e32 vcc_lo, 0, v9
	v_cndmask_b32_e32 v9, v10, v8, vcc_lo
; %bb.31:
	s_or_b32 exec_lo, exec_lo, s2
	s_delay_alu instid0(VALU_DEP_1) | instskip(SKIP_2) | instid1(VALU_DEP_2)
	v_and_b32_e32 v8, 0xffff0000, v9
	v_lshrrev_b32_e32 v9, 16, v9
	v_cmp_lt_u32_e32 vcc_lo, 3, v5
	v_dual_cndmask_b32 v7, v7, v8 :: v_dual_cndmask_b32 v6, v6, v9
	s_delay_alu instid0(VALU_DEP_1) | instskip(NEXT) | instid1(VALU_DEP_1)
	v_mov_b32_dpp v8, v6 row_shr:8 row_mask:0xf bank_mask:0xf
	v_lshlrev_b32_e32 v8, 16, v8
	s_delay_alu instid0(VALU_DEP_1) | instskip(NEXT) | instid1(VALU_DEP_1)
	v_add_f32_e32 v7, v7, v8
	v_and_b32_e32 v8, 0x7f800000, v7
	s_delay_alu instid0(VALU_DEP_1) | instskip(SKIP_1) | instid1(SALU_CYCLE_1)
	v_cmp_ne_u32_e32 vcc_lo, 0x7f800000, v8
                                        ; implicit-def: $vgpr8
	s_and_saveexec_b32 s2, vcc_lo
	s_xor_b32 s2, exec_lo, s2
; %bb.32:
	v_bfe_u32 v8, v7, 16, 1
	s_delay_alu instid0(VALU_DEP_1)
	v_add3_u32 v8, v7, v8, 0x7fff
                                        ; implicit-def: $vgpr7
; %bb.33:
	s_and_not1_saveexec_b32 s2, s2
; %bb.34:
	v_and_b32_e32 v8, 0xffff, v7
	v_or_b32_e32 v9, 0x10000, v7
	s_delay_alu instid0(VALU_DEP_2) | instskip(NEXT) | instid1(VALU_DEP_2)
	v_cmp_eq_u32_e32 vcc_lo, 0, v8
	v_cndmask_b32_e32 v8, v9, v7, vcc_lo
; %bb.35:
	s_or_b32 exec_lo, exec_lo, s2
	s_delay_alu instid0(VALU_DEP_1) | instskip(SKIP_2) | instid1(VALU_DEP_3)
	v_lshrrev_b32_e32 v7, 16, v8
	v_cmp_lt_u32_e32 vcc_lo, 7, v5
	v_lshl_or_b32 v4, v4, 2, 60
	v_cndmask_b32_e32 v9, v6, v7, vcc_lo
	s_delay_alu instid0(VALU_DEP_1)
	v_and_b32_e32 v5, 0xffff, v9
	ds_bpermute_b32 v8, v4, v5
.LBB78_36:
	v_add_co_u32 v2, vcc_lo, s6, v2
	v_and_b32_e32 v0, 15, v0
	v_add_co_ci_u32_e32 v3, vcc_lo, s7, v3, vcc_lo
	s_mov_b32 s2, exec_lo
	global_store_b16 v[2:3], v9, off
	v_cmpx_eq_u32_e32 0, v0
	s_cbranch_execz .LBB78_38
; %bb.37:
	v_lshrrev_b32_e32 v0, 3, v1
	s_waitcnt lgkmcnt(0)
	global_store_b16 v0, v8, s[0:1]
.LBB78_38:
	s_nop 0
	s_sendmsg sendmsg(MSG_DEALLOC_VGPRS)
	s_endpgm
	.section	.rodata,"a",@progbits
	.p2align	6, 0x0
	.amdhsa_kernel _Z33warp_inclusive_scan_reduce_kernelI12hip_bfloat16Lj64ELj16EENSt9enable_ifIXsr10test_utilsE35device_test_enabled_for_warp_size_vIXT1_EEEvE4typeEPT_S5_S5_
		.amdhsa_group_segment_fixed_size 0
		.amdhsa_private_segment_fixed_size 0
		.amdhsa_kernarg_size 24
		.amdhsa_user_sgpr_count 15
		.amdhsa_user_sgpr_dispatch_ptr 0
		.amdhsa_user_sgpr_queue_ptr 0
		.amdhsa_user_sgpr_kernarg_segment_ptr 1
		.amdhsa_user_sgpr_dispatch_id 0
		.amdhsa_user_sgpr_private_segment_size 0
		.amdhsa_wavefront_size32 1
		.amdhsa_uses_dynamic_stack 0
		.amdhsa_enable_private_segment 0
		.amdhsa_system_sgpr_workgroup_id_x 1
		.amdhsa_system_sgpr_workgroup_id_y 0
		.amdhsa_system_sgpr_workgroup_id_z 0
		.amdhsa_system_sgpr_workgroup_info 0
		.amdhsa_system_vgpr_workitem_id 0
		.amdhsa_next_free_vgpr 13
		.amdhsa_next_free_sgpr 16
		.amdhsa_reserve_vcc 1
		.amdhsa_float_round_mode_32 0
		.amdhsa_float_round_mode_16_64 0
		.amdhsa_float_denorm_mode_32 3
		.amdhsa_float_denorm_mode_16_64 3
		.amdhsa_dx10_clamp 1
		.amdhsa_ieee_mode 1
		.amdhsa_fp16_overflow 0
		.amdhsa_workgroup_processor_mode 1
		.amdhsa_memory_ordered 1
		.amdhsa_forward_progress 0
		.amdhsa_shared_vgpr_count 0
		.amdhsa_exception_fp_ieee_invalid_op 0
		.amdhsa_exception_fp_denorm_src 0
		.amdhsa_exception_fp_ieee_div_zero 0
		.amdhsa_exception_fp_ieee_overflow 0
		.amdhsa_exception_fp_ieee_underflow 0
		.amdhsa_exception_fp_ieee_inexact 0
		.amdhsa_exception_int_div_zero 0
	.end_amdhsa_kernel
	.section	.text._Z33warp_inclusive_scan_reduce_kernelI12hip_bfloat16Lj64ELj16EENSt9enable_ifIXsr10test_utilsE35device_test_enabled_for_warp_size_vIXT1_EEEvE4typeEPT_S5_S5_,"axG",@progbits,_Z33warp_inclusive_scan_reduce_kernelI12hip_bfloat16Lj64ELj16EENSt9enable_ifIXsr10test_utilsE35device_test_enabled_for_warp_size_vIXT1_EEEvE4typeEPT_S5_S5_,comdat
.Lfunc_end78:
	.size	_Z33warp_inclusive_scan_reduce_kernelI12hip_bfloat16Lj64ELj16EENSt9enable_ifIXsr10test_utilsE35device_test_enabled_for_warp_size_vIXT1_EEEvE4typeEPT_S5_S5_, .Lfunc_end78-_Z33warp_inclusive_scan_reduce_kernelI12hip_bfloat16Lj64ELj16EENSt9enable_ifIXsr10test_utilsE35device_test_enabled_for_warp_size_vIXT1_EEEvE4typeEPT_S5_S5_
                                        ; -- End function
	.section	.AMDGPU.csdata,"",@progbits
; Kernel info:
; codeLenInByte = 1344
; NumSgprs: 18
; NumVgprs: 13
; ScratchSize: 0
; MemoryBound: 0
; FloatMode: 240
; IeeeMode: 1
; LDSByteSize: 0 bytes/workgroup (compile time only)
; SGPRBlocks: 2
; VGPRBlocks: 1
; NumSGPRsForWavesPerEU: 18
; NumVGPRsForWavesPerEU: 13
; Occupancy: 16
; WaveLimiterHint : 0
; COMPUTE_PGM_RSRC2:SCRATCH_EN: 0
; COMPUTE_PGM_RSRC2:USER_SGPR: 15
; COMPUTE_PGM_RSRC2:TRAP_HANDLER: 0
; COMPUTE_PGM_RSRC2:TGID_X_EN: 1
; COMPUTE_PGM_RSRC2:TGID_Y_EN: 0
; COMPUTE_PGM_RSRC2:TGID_Z_EN: 0
; COMPUTE_PGM_RSRC2:TIDIG_COMP_CNT: 0
	.section	.text._Z33warp_inclusive_scan_reduce_kernelI12hip_bfloat16Lj32ELj8EENSt9enable_ifIXsr10test_utilsE35device_test_enabled_for_warp_size_vIXT1_EEEvE4typeEPT_S5_S5_,"axG",@progbits,_Z33warp_inclusive_scan_reduce_kernelI12hip_bfloat16Lj32ELj8EENSt9enable_ifIXsr10test_utilsE35device_test_enabled_for_warp_size_vIXT1_EEEvE4typeEPT_S5_S5_,comdat
	.protected	_Z33warp_inclusive_scan_reduce_kernelI12hip_bfloat16Lj32ELj8EENSt9enable_ifIXsr10test_utilsE35device_test_enabled_for_warp_size_vIXT1_EEEvE4typeEPT_S5_S5_ ; -- Begin function _Z33warp_inclusive_scan_reduce_kernelI12hip_bfloat16Lj32ELj8EENSt9enable_ifIXsr10test_utilsE35device_test_enabled_for_warp_size_vIXT1_EEEvE4typeEPT_S5_S5_
	.globl	_Z33warp_inclusive_scan_reduce_kernelI12hip_bfloat16Lj32ELj8EENSt9enable_ifIXsr10test_utilsE35device_test_enabled_for_warp_size_vIXT1_EEEvE4typeEPT_S5_S5_
	.p2align	8
	.type	_Z33warp_inclusive_scan_reduce_kernelI12hip_bfloat16Lj32ELj8EENSt9enable_ifIXsr10test_utilsE35device_test_enabled_for_warp_size_vIXT1_EEEvE4typeEPT_S5_S5_,@function
_Z33warp_inclusive_scan_reduce_kernelI12hip_bfloat16Lj32ELj8EENSt9enable_ifIXsr10test_utilsE35device_test_enabled_for_warp_size_vIXT1_EEEvE4typeEPT_S5_S5_: ; @_Z33warp_inclusive_scan_reduce_kernelI12hip_bfloat16Lj32ELj8EENSt9enable_ifIXsr10test_utilsE35device_test_enabled_for_warp_size_vIXT1_EEEvE4typeEPT_S5_S5_
; %bb.0:
	s_load_b128 s[4:7], s[0:1], 0x0
	v_mov_b32_e32 v2, 0
	v_lshl_or_b32 v1, s15, 5, v0
	s_load_b64 s[0:1], s[0:1], 0x10
	s_bitcmp1_b32 s15, 0
	s_cselect_b32 s2, -1, 0
	s_delay_alu instid0(VALU_DEP_1) | instskip(SKIP_1) | instid1(VALU_DEP_1)
	v_lshlrev_b64 v[2:3], 1, v[1:2]
	s_waitcnt lgkmcnt(0)
	v_add_co_u32 v4, vcc_lo, s4, v2
	s_delay_alu instid0(VALU_DEP_2) | instskip(SKIP_4) | instid1(VALU_DEP_1)
	v_add_co_ci_u32_e32 v5, vcc_lo, s5, v3, vcc_lo
	s_and_b32 vcc_lo, exec_lo, s2
	s_mov_b32 s2, -1
	global_load_u16 v6, v[4:5], off
	v_mbcnt_lo_u32_b32 v4, -1, 0
	v_and_b32_e32 v5, 7, v4
	s_waitcnt vmcnt(0)
	v_lshlrev_b32_e32 v7, 16, v6
	s_cbranch_vccz .LBB79_14
; %bb.1:
	v_mov_b32_dpp v8, v6 row_shr:1 row_mask:0xf bank_mask:0xf
	s_delay_alu instid0(VALU_DEP_1) | instskip(NEXT) | instid1(VALU_DEP_1)
	v_lshlrev_b32_e32 v8, 16, v8
	v_add_f32_e32 v8, v7, v8
	s_delay_alu instid0(VALU_DEP_1) | instskip(NEXT) | instid1(VALU_DEP_1)
	v_and_b32_e32 v9, 0x7f800000, v8
	v_cmp_ne_u32_e32 vcc_lo, 0x7f800000, v9
                                        ; implicit-def: $vgpr9
	s_and_saveexec_b32 s2, vcc_lo
	s_delay_alu instid0(SALU_CYCLE_1)
	s_xor_b32 s2, exec_lo, s2
; %bb.2:
	v_bfe_u32 v9, v8, 16, 1
	s_delay_alu instid0(VALU_DEP_1)
	v_add3_u32 v9, v8, v9, 0x7fff
                                        ; implicit-def: $vgpr8
; %bb.3:
	s_and_not1_saveexec_b32 s2, s2
; %bb.4:
	v_and_b32_e32 v9, 0xffff, v8
	v_or_b32_e32 v10, 0x10000, v8
	s_delay_alu instid0(VALU_DEP_2) | instskip(NEXT) | instid1(VALU_DEP_2)
	v_cmp_eq_u32_e32 vcc_lo, 0, v9
	v_cndmask_b32_e32 v9, v10, v8, vcc_lo
; %bb.5:
	s_or_b32 exec_lo, exec_lo, s2
	v_cmp_eq_u32_e32 vcc_lo, 0, v5
	s_delay_alu instid0(VALU_DEP_2) | instskip(SKIP_1) | instid1(VALU_DEP_1)
	v_and_b32_e32 v8, 0xffff0000, v9
	v_lshrrev_b32_e32 v9, 16, v9
	v_dual_cndmask_b32 v9, v9, v6 :: v_dual_cndmask_b32 v8, v8, v7
	s_delay_alu instid0(VALU_DEP_1) | instskip(NEXT) | instid1(VALU_DEP_1)
	v_mov_b32_dpp v10, v9 row_shr:2 row_mask:0xf bank_mask:0xf
	v_lshlrev_b32_e32 v10, 16, v10
	s_delay_alu instid0(VALU_DEP_1) | instskip(NEXT) | instid1(VALU_DEP_1)
	v_add_f32_e32 v10, v8, v10
	v_and_b32_e32 v11, 0x7f800000, v10
	s_delay_alu instid0(VALU_DEP_1) | instskip(SKIP_1) | instid1(SALU_CYCLE_1)
	v_cmp_ne_u32_e32 vcc_lo, 0x7f800000, v11
                                        ; implicit-def: $vgpr11
	s_and_saveexec_b32 s2, vcc_lo
	s_xor_b32 s2, exec_lo, s2
; %bb.6:
	v_bfe_u32 v11, v10, 16, 1
	s_delay_alu instid0(VALU_DEP_1)
	v_add3_u32 v11, v10, v11, 0x7fff
                                        ; implicit-def: $vgpr10
; %bb.7:
	s_and_not1_saveexec_b32 s2, s2
; %bb.8:
	v_and_b32_e32 v11, 0xffff, v10
	v_or_b32_e32 v12, 0x10000, v10
	s_delay_alu instid0(VALU_DEP_2) | instskip(NEXT) | instid1(VALU_DEP_2)
	v_cmp_eq_u32_e32 vcc_lo, 0, v11
	v_cndmask_b32_e32 v11, v12, v10, vcc_lo
; %bb.9:
	s_or_b32 exec_lo, exec_lo, s2
	s_delay_alu instid0(VALU_DEP_1) | instskip(SKIP_2) | instid1(VALU_DEP_3)
	v_and_b32_e32 v10, 0xffff0000, v11
	v_lshrrev_b32_e32 v11, 16, v11
	v_cmp_lt_u32_e32 vcc_lo, 1, v5
	v_cndmask_b32_e32 v10, v8, v10, vcc_lo
	s_delay_alu instid0(VALU_DEP_3) | instskip(NEXT) | instid1(VALU_DEP_1)
	v_cndmask_b32_e32 v8, v9, v11, vcc_lo
	v_mov_b32_dpp v9, v8 row_shr:4 row_mask:0xf bank_mask:0xf
	s_delay_alu instid0(VALU_DEP_1) | instskip(NEXT) | instid1(VALU_DEP_1)
	v_lshlrev_b32_e32 v9, 16, v9
	v_add_f32_e32 v9, v10, v9
	s_delay_alu instid0(VALU_DEP_1) | instskip(NEXT) | instid1(VALU_DEP_1)
	v_and_b32_e32 v10, 0x7f800000, v9
	v_cmp_ne_u32_e32 vcc_lo, 0x7f800000, v10
                                        ; implicit-def: $vgpr10
	s_and_saveexec_b32 s2, vcc_lo
	s_delay_alu instid0(SALU_CYCLE_1)
	s_xor_b32 s2, exec_lo, s2
; %bb.10:
	v_bfe_u32 v10, v9, 16, 1
	s_delay_alu instid0(VALU_DEP_1)
	v_add3_u32 v10, v9, v10, 0x7fff
                                        ; implicit-def: $vgpr9
; %bb.11:
	s_and_not1_saveexec_b32 s2, s2
; %bb.12:
	v_and_b32_e32 v10, 0xffff, v9
	v_or_b32_e32 v11, 0x10000, v9
	s_delay_alu instid0(VALU_DEP_2) | instskip(NEXT) | instid1(VALU_DEP_2)
	v_cmp_eq_u32_e32 vcc_lo, 0, v10
	v_cndmask_b32_e32 v10, v11, v9, vcc_lo
; %bb.13:
	s_or_b32 exec_lo, exec_lo, s2
	s_delay_alu instid0(VALU_DEP_1) | instskip(SKIP_2) | instid1(VALU_DEP_3)
	v_lshrrev_b32_e32 v9, 16, v10
	v_cmp_lt_u32_e32 vcc_lo, 3, v5
	v_lshl_or_b32 v10, v4, 2, 28
	v_cndmask_b32_e32 v9, v8, v9, vcc_lo
	s_delay_alu instid0(VALU_DEP_1)
	v_and_b32_e32 v8, 0xffff, v9
	ds_bpermute_b32 v8, v10, v8
	s_branch .LBB79_28
.LBB79_14:
                                        ; implicit-def: $vgpr9
                                        ; implicit-def: $vgpr8
	s_and_b32 vcc_lo, exec_lo, s2
	s_cbranch_vccz .LBB79_28
; %bb.15:
	s_waitcnt lgkmcnt(0)
	v_mov_b32_dpp v8, v6 row_shr:1 row_mask:0xf bank_mask:0xf
	s_delay_alu instid0(VALU_DEP_1) | instskip(NEXT) | instid1(VALU_DEP_1)
	v_lshlrev_b32_e32 v8, 16, v8
	v_add_f32_e32 v8, v7, v8
	s_delay_alu instid0(VALU_DEP_1) | instskip(NEXT) | instid1(VALU_DEP_1)
	v_and_b32_e32 v9, 0x7f800000, v8
	v_cmp_ne_u32_e32 vcc_lo, 0x7f800000, v9
                                        ; implicit-def: $vgpr9
	s_and_saveexec_b32 s2, vcc_lo
	s_delay_alu instid0(SALU_CYCLE_1)
	s_xor_b32 s2, exec_lo, s2
; %bb.16:
	v_bfe_u32 v9, v8, 16, 1
	s_delay_alu instid0(VALU_DEP_1)
	v_add3_u32 v9, v8, v9, 0x7fff
                                        ; implicit-def: $vgpr8
; %bb.17:
	s_and_not1_saveexec_b32 s2, s2
; %bb.18:
	v_and_b32_e32 v9, 0xffff, v8
	v_or_b32_e32 v10, 0x10000, v8
	s_delay_alu instid0(VALU_DEP_2) | instskip(NEXT) | instid1(VALU_DEP_2)
	v_cmp_eq_u32_e32 vcc_lo, 0, v9
	v_cndmask_b32_e32 v9, v10, v8, vcc_lo
; %bb.19:
	s_or_b32 exec_lo, exec_lo, s2
	s_delay_alu instid0(VALU_DEP_1) | instskip(SKIP_2) | instid1(VALU_DEP_2)
	v_and_b32_e32 v8, 0xffff0000, v9
	v_lshrrev_b32_e32 v9, 16, v9
	v_cmp_eq_u32_e32 vcc_lo, 0, v5
	v_dual_cndmask_b32 v7, v8, v7 :: v_dual_cndmask_b32 v6, v9, v6
	s_delay_alu instid0(VALU_DEP_1) | instskip(NEXT) | instid1(VALU_DEP_1)
	v_mov_b32_dpp v8, v6 row_shr:2 row_mask:0xf bank_mask:0xf
	v_lshlrev_b32_e32 v8, 16, v8
	s_delay_alu instid0(VALU_DEP_1) | instskip(NEXT) | instid1(VALU_DEP_1)
	v_add_f32_e32 v8, v7, v8
	v_and_b32_e32 v9, 0x7f800000, v8
	s_delay_alu instid0(VALU_DEP_1) | instskip(SKIP_1) | instid1(SALU_CYCLE_1)
	v_cmp_ne_u32_e32 vcc_lo, 0x7f800000, v9
                                        ; implicit-def: $vgpr9
	s_and_saveexec_b32 s2, vcc_lo
	s_xor_b32 s2, exec_lo, s2
; %bb.20:
	v_bfe_u32 v9, v8, 16, 1
	s_delay_alu instid0(VALU_DEP_1)
	v_add3_u32 v9, v8, v9, 0x7fff
                                        ; implicit-def: $vgpr8
; %bb.21:
	s_and_not1_saveexec_b32 s2, s2
; %bb.22:
	v_and_b32_e32 v9, 0xffff, v8
	v_or_b32_e32 v10, 0x10000, v8
	s_delay_alu instid0(VALU_DEP_2) | instskip(NEXT) | instid1(VALU_DEP_2)
	v_cmp_eq_u32_e32 vcc_lo, 0, v9
	v_cndmask_b32_e32 v9, v10, v8, vcc_lo
; %bb.23:
	s_or_b32 exec_lo, exec_lo, s2
	s_delay_alu instid0(VALU_DEP_1) | instskip(SKIP_2) | instid1(VALU_DEP_2)
	v_and_b32_e32 v8, 0xffff0000, v9
	v_lshrrev_b32_e32 v9, 16, v9
	v_cmp_lt_u32_e32 vcc_lo, 1, v5
	v_dual_cndmask_b32 v7, v7, v8 :: v_dual_cndmask_b32 v6, v6, v9
	s_delay_alu instid0(VALU_DEP_1) | instskip(NEXT) | instid1(VALU_DEP_1)
	v_mov_b32_dpp v8, v6 row_shr:4 row_mask:0xf bank_mask:0xf
	v_lshlrev_b32_e32 v8, 16, v8
	s_delay_alu instid0(VALU_DEP_1) | instskip(NEXT) | instid1(VALU_DEP_1)
	v_add_f32_e32 v7, v7, v8
	v_and_b32_e32 v8, 0x7f800000, v7
	s_delay_alu instid0(VALU_DEP_1) | instskip(SKIP_1) | instid1(SALU_CYCLE_1)
	v_cmp_ne_u32_e32 vcc_lo, 0x7f800000, v8
                                        ; implicit-def: $vgpr8
	s_and_saveexec_b32 s2, vcc_lo
	s_xor_b32 s2, exec_lo, s2
; %bb.24:
	v_bfe_u32 v8, v7, 16, 1
	s_delay_alu instid0(VALU_DEP_1)
	v_add3_u32 v8, v7, v8, 0x7fff
                                        ; implicit-def: $vgpr7
; %bb.25:
	s_and_not1_saveexec_b32 s2, s2
; %bb.26:
	v_and_b32_e32 v8, 0xffff, v7
	v_or_b32_e32 v9, 0x10000, v7
	s_delay_alu instid0(VALU_DEP_2) | instskip(NEXT) | instid1(VALU_DEP_2)
	v_cmp_eq_u32_e32 vcc_lo, 0, v8
	v_cndmask_b32_e32 v8, v9, v7, vcc_lo
; %bb.27:
	s_or_b32 exec_lo, exec_lo, s2
	s_delay_alu instid0(VALU_DEP_1) | instskip(SKIP_2) | instid1(VALU_DEP_3)
	v_lshrrev_b32_e32 v7, 16, v8
	v_cmp_lt_u32_e32 vcc_lo, 3, v5
	v_lshl_or_b32 v4, v4, 2, 28
	v_cndmask_b32_e32 v9, v6, v7, vcc_lo
	s_delay_alu instid0(VALU_DEP_1)
	v_and_b32_e32 v5, 0xffff, v9
	ds_bpermute_b32 v8, v4, v5
.LBB79_28:
	v_add_co_u32 v2, vcc_lo, s6, v2
	v_and_b32_e32 v0, 7, v0
	v_add_co_ci_u32_e32 v3, vcc_lo, s7, v3, vcc_lo
	s_mov_b32 s2, exec_lo
	global_store_b16 v[2:3], v9, off
	v_cmpx_eq_u32_e32 0, v0
	s_cbranch_execz .LBB79_30
; %bb.29:
	v_lshrrev_b32_e32 v0, 2, v1
	s_waitcnt lgkmcnt(0)
	global_store_b16 v0, v8, s[0:1]
.LBB79_30:
	s_nop 0
	s_sendmsg sendmsg(MSG_DEALLOC_VGPRS)
	s_endpgm
	.section	.rodata,"a",@progbits
	.p2align	6, 0x0
	.amdhsa_kernel _Z33warp_inclusive_scan_reduce_kernelI12hip_bfloat16Lj32ELj8EENSt9enable_ifIXsr10test_utilsE35device_test_enabled_for_warp_size_vIXT1_EEEvE4typeEPT_S5_S5_
		.amdhsa_group_segment_fixed_size 0
		.amdhsa_private_segment_fixed_size 0
		.amdhsa_kernarg_size 24
		.amdhsa_user_sgpr_count 15
		.amdhsa_user_sgpr_dispatch_ptr 0
		.amdhsa_user_sgpr_queue_ptr 0
		.amdhsa_user_sgpr_kernarg_segment_ptr 1
		.amdhsa_user_sgpr_dispatch_id 0
		.amdhsa_user_sgpr_private_segment_size 0
		.amdhsa_wavefront_size32 1
		.amdhsa_uses_dynamic_stack 0
		.amdhsa_enable_private_segment 0
		.amdhsa_system_sgpr_workgroup_id_x 1
		.amdhsa_system_sgpr_workgroup_id_y 0
		.amdhsa_system_sgpr_workgroup_id_z 0
		.amdhsa_system_sgpr_workgroup_info 0
		.amdhsa_system_vgpr_workitem_id 0
		.amdhsa_next_free_vgpr 13
		.amdhsa_next_free_sgpr 16
		.amdhsa_reserve_vcc 1
		.amdhsa_float_round_mode_32 0
		.amdhsa_float_round_mode_16_64 0
		.amdhsa_float_denorm_mode_32 3
		.amdhsa_float_denorm_mode_16_64 3
		.amdhsa_dx10_clamp 1
		.amdhsa_ieee_mode 1
		.amdhsa_fp16_overflow 0
		.amdhsa_workgroup_processor_mode 1
		.amdhsa_memory_ordered 1
		.amdhsa_forward_progress 0
		.amdhsa_shared_vgpr_count 0
		.amdhsa_exception_fp_ieee_invalid_op 0
		.amdhsa_exception_fp_denorm_src 0
		.amdhsa_exception_fp_ieee_div_zero 0
		.amdhsa_exception_fp_ieee_overflow 0
		.amdhsa_exception_fp_ieee_underflow 0
		.amdhsa_exception_fp_ieee_inexact 0
		.amdhsa_exception_int_div_zero 0
	.end_amdhsa_kernel
	.section	.text._Z33warp_inclusive_scan_reduce_kernelI12hip_bfloat16Lj32ELj8EENSt9enable_ifIXsr10test_utilsE35device_test_enabled_for_warp_size_vIXT1_EEEvE4typeEPT_S5_S5_,"axG",@progbits,_Z33warp_inclusive_scan_reduce_kernelI12hip_bfloat16Lj32ELj8EENSt9enable_ifIXsr10test_utilsE35device_test_enabled_for_warp_size_vIXT1_EEEvE4typeEPT_S5_S5_,comdat
.Lfunc_end79:
	.size	_Z33warp_inclusive_scan_reduce_kernelI12hip_bfloat16Lj32ELj8EENSt9enable_ifIXsr10test_utilsE35device_test_enabled_for_warp_size_vIXT1_EEEvE4typeEPT_S5_S5_, .Lfunc_end79-_Z33warp_inclusive_scan_reduce_kernelI12hip_bfloat16Lj32ELj8EENSt9enable_ifIXsr10test_utilsE35device_test_enabled_for_warp_size_vIXT1_EEEvE4typeEPT_S5_S5_
                                        ; -- End function
	.section	.AMDGPU.csdata,"",@progbits
; Kernel info:
; codeLenInByte = 1064
; NumSgprs: 18
; NumVgprs: 13
; ScratchSize: 0
; MemoryBound: 0
; FloatMode: 240
; IeeeMode: 1
; LDSByteSize: 0 bytes/workgroup (compile time only)
; SGPRBlocks: 2
; VGPRBlocks: 1
; NumSGPRsForWavesPerEU: 18
; NumVGPRsForWavesPerEU: 13
; Occupancy: 16
; WaveLimiterHint : 0
; COMPUTE_PGM_RSRC2:SCRATCH_EN: 0
; COMPUTE_PGM_RSRC2:USER_SGPR: 15
; COMPUTE_PGM_RSRC2:TRAP_HANDLER: 0
; COMPUTE_PGM_RSRC2:TGID_X_EN: 1
; COMPUTE_PGM_RSRC2:TGID_Y_EN: 0
; COMPUTE_PGM_RSRC2:TGID_Z_EN: 0
; COMPUTE_PGM_RSRC2:TIDIG_COMP_CNT: 0
	.section	.text._Z33warp_inclusive_scan_reduce_kernelI12hip_bfloat16Lj64ELj8EENSt9enable_ifIXsr10test_utilsE35device_test_enabled_for_warp_size_vIXT1_EEEvE4typeEPT_S5_S5_,"axG",@progbits,_Z33warp_inclusive_scan_reduce_kernelI12hip_bfloat16Lj64ELj8EENSt9enable_ifIXsr10test_utilsE35device_test_enabled_for_warp_size_vIXT1_EEEvE4typeEPT_S5_S5_,comdat
	.protected	_Z33warp_inclusive_scan_reduce_kernelI12hip_bfloat16Lj64ELj8EENSt9enable_ifIXsr10test_utilsE35device_test_enabled_for_warp_size_vIXT1_EEEvE4typeEPT_S5_S5_ ; -- Begin function _Z33warp_inclusive_scan_reduce_kernelI12hip_bfloat16Lj64ELj8EENSt9enable_ifIXsr10test_utilsE35device_test_enabled_for_warp_size_vIXT1_EEEvE4typeEPT_S5_S5_
	.globl	_Z33warp_inclusive_scan_reduce_kernelI12hip_bfloat16Lj64ELj8EENSt9enable_ifIXsr10test_utilsE35device_test_enabled_for_warp_size_vIXT1_EEEvE4typeEPT_S5_S5_
	.p2align	8
	.type	_Z33warp_inclusive_scan_reduce_kernelI12hip_bfloat16Lj64ELj8EENSt9enable_ifIXsr10test_utilsE35device_test_enabled_for_warp_size_vIXT1_EEEvE4typeEPT_S5_S5_,@function
_Z33warp_inclusive_scan_reduce_kernelI12hip_bfloat16Lj64ELj8EENSt9enable_ifIXsr10test_utilsE35device_test_enabled_for_warp_size_vIXT1_EEEvE4typeEPT_S5_S5_: ; @_Z33warp_inclusive_scan_reduce_kernelI12hip_bfloat16Lj64ELj8EENSt9enable_ifIXsr10test_utilsE35device_test_enabled_for_warp_size_vIXT1_EEEvE4typeEPT_S5_S5_
; %bb.0:
	s_load_b128 s[4:7], s[0:1], 0x0
	v_mov_b32_e32 v2, 0
	v_lshl_or_b32 v1, s15, 6, v0
	s_load_b64 s[0:1], s[0:1], 0x10
	s_bitcmp1_b32 s15, 0
	s_cselect_b32 s2, -1, 0
	s_delay_alu instid0(VALU_DEP_1) | instskip(SKIP_1) | instid1(VALU_DEP_1)
	v_lshlrev_b64 v[2:3], 1, v[1:2]
	s_waitcnt lgkmcnt(0)
	v_add_co_u32 v4, vcc_lo, s4, v2
	s_delay_alu instid0(VALU_DEP_2) | instskip(SKIP_4) | instid1(VALU_DEP_1)
	v_add_co_ci_u32_e32 v5, vcc_lo, s5, v3, vcc_lo
	s_and_b32 vcc_lo, exec_lo, s2
	s_mov_b32 s2, -1
	global_load_u16 v6, v[4:5], off
	v_mbcnt_lo_u32_b32 v4, -1, 0
	v_and_b32_e32 v5, 7, v4
	s_waitcnt vmcnt(0)
	v_lshlrev_b32_e32 v7, 16, v6
	s_cbranch_vccz .LBB80_14
; %bb.1:
	v_mov_b32_dpp v8, v6 row_shr:1 row_mask:0xf bank_mask:0xf
	s_delay_alu instid0(VALU_DEP_1) | instskip(NEXT) | instid1(VALU_DEP_1)
	v_lshlrev_b32_e32 v8, 16, v8
	v_add_f32_e32 v8, v7, v8
	s_delay_alu instid0(VALU_DEP_1) | instskip(NEXT) | instid1(VALU_DEP_1)
	v_and_b32_e32 v9, 0x7f800000, v8
	v_cmp_ne_u32_e32 vcc_lo, 0x7f800000, v9
                                        ; implicit-def: $vgpr9
	s_and_saveexec_b32 s2, vcc_lo
	s_delay_alu instid0(SALU_CYCLE_1)
	s_xor_b32 s2, exec_lo, s2
; %bb.2:
	v_bfe_u32 v9, v8, 16, 1
	s_delay_alu instid0(VALU_DEP_1)
	v_add3_u32 v9, v8, v9, 0x7fff
                                        ; implicit-def: $vgpr8
; %bb.3:
	s_and_not1_saveexec_b32 s2, s2
; %bb.4:
	v_and_b32_e32 v9, 0xffff, v8
	v_or_b32_e32 v10, 0x10000, v8
	s_delay_alu instid0(VALU_DEP_2) | instskip(NEXT) | instid1(VALU_DEP_2)
	v_cmp_eq_u32_e32 vcc_lo, 0, v9
	v_cndmask_b32_e32 v9, v10, v8, vcc_lo
; %bb.5:
	s_or_b32 exec_lo, exec_lo, s2
	v_cmp_eq_u32_e32 vcc_lo, 0, v5
	s_delay_alu instid0(VALU_DEP_2) | instskip(SKIP_1) | instid1(VALU_DEP_1)
	v_and_b32_e32 v8, 0xffff0000, v9
	v_lshrrev_b32_e32 v9, 16, v9
	v_dual_cndmask_b32 v9, v9, v6 :: v_dual_cndmask_b32 v8, v8, v7
	s_delay_alu instid0(VALU_DEP_1) | instskip(NEXT) | instid1(VALU_DEP_1)
	v_mov_b32_dpp v10, v9 row_shr:2 row_mask:0xf bank_mask:0xf
	v_lshlrev_b32_e32 v10, 16, v10
	s_delay_alu instid0(VALU_DEP_1) | instskip(NEXT) | instid1(VALU_DEP_1)
	v_add_f32_e32 v10, v8, v10
	v_and_b32_e32 v11, 0x7f800000, v10
	s_delay_alu instid0(VALU_DEP_1) | instskip(SKIP_1) | instid1(SALU_CYCLE_1)
	v_cmp_ne_u32_e32 vcc_lo, 0x7f800000, v11
                                        ; implicit-def: $vgpr11
	s_and_saveexec_b32 s2, vcc_lo
	s_xor_b32 s2, exec_lo, s2
; %bb.6:
	v_bfe_u32 v11, v10, 16, 1
	s_delay_alu instid0(VALU_DEP_1)
	v_add3_u32 v11, v10, v11, 0x7fff
                                        ; implicit-def: $vgpr10
; %bb.7:
	s_and_not1_saveexec_b32 s2, s2
; %bb.8:
	v_and_b32_e32 v11, 0xffff, v10
	v_or_b32_e32 v12, 0x10000, v10
	s_delay_alu instid0(VALU_DEP_2) | instskip(NEXT) | instid1(VALU_DEP_2)
	v_cmp_eq_u32_e32 vcc_lo, 0, v11
	v_cndmask_b32_e32 v11, v12, v10, vcc_lo
; %bb.9:
	s_or_b32 exec_lo, exec_lo, s2
	s_delay_alu instid0(VALU_DEP_1) | instskip(SKIP_2) | instid1(VALU_DEP_3)
	v_and_b32_e32 v10, 0xffff0000, v11
	v_lshrrev_b32_e32 v11, 16, v11
	v_cmp_lt_u32_e32 vcc_lo, 1, v5
	v_cndmask_b32_e32 v10, v8, v10, vcc_lo
	s_delay_alu instid0(VALU_DEP_3) | instskip(NEXT) | instid1(VALU_DEP_1)
	v_cndmask_b32_e32 v8, v9, v11, vcc_lo
	v_mov_b32_dpp v9, v8 row_shr:4 row_mask:0xf bank_mask:0xf
	s_delay_alu instid0(VALU_DEP_1) | instskip(NEXT) | instid1(VALU_DEP_1)
	v_lshlrev_b32_e32 v9, 16, v9
	v_add_f32_e32 v9, v10, v9
	s_delay_alu instid0(VALU_DEP_1) | instskip(NEXT) | instid1(VALU_DEP_1)
	v_and_b32_e32 v10, 0x7f800000, v9
	v_cmp_ne_u32_e32 vcc_lo, 0x7f800000, v10
                                        ; implicit-def: $vgpr10
	s_and_saveexec_b32 s2, vcc_lo
	s_delay_alu instid0(SALU_CYCLE_1)
	s_xor_b32 s2, exec_lo, s2
; %bb.10:
	v_bfe_u32 v10, v9, 16, 1
	s_delay_alu instid0(VALU_DEP_1)
	v_add3_u32 v10, v9, v10, 0x7fff
                                        ; implicit-def: $vgpr9
; %bb.11:
	s_and_not1_saveexec_b32 s2, s2
; %bb.12:
	v_and_b32_e32 v10, 0xffff, v9
	v_or_b32_e32 v11, 0x10000, v9
	s_delay_alu instid0(VALU_DEP_2) | instskip(NEXT) | instid1(VALU_DEP_2)
	v_cmp_eq_u32_e32 vcc_lo, 0, v10
	v_cndmask_b32_e32 v10, v11, v9, vcc_lo
; %bb.13:
	s_or_b32 exec_lo, exec_lo, s2
	s_delay_alu instid0(VALU_DEP_1) | instskip(SKIP_2) | instid1(VALU_DEP_3)
	v_lshrrev_b32_e32 v9, 16, v10
	v_cmp_lt_u32_e32 vcc_lo, 3, v5
	v_lshl_or_b32 v10, v4, 2, 28
	v_cndmask_b32_e32 v9, v8, v9, vcc_lo
	s_delay_alu instid0(VALU_DEP_1)
	v_and_b32_e32 v8, 0xffff, v9
	ds_bpermute_b32 v8, v10, v8
	s_branch .LBB80_28
.LBB80_14:
                                        ; implicit-def: $vgpr9
                                        ; implicit-def: $vgpr8
	s_and_b32 vcc_lo, exec_lo, s2
	s_cbranch_vccz .LBB80_28
; %bb.15:
	s_waitcnt lgkmcnt(0)
	v_mov_b32_dpp v8, v6 row_shr:1 row_mask:0xf bank_mask:0xf
	s_delay_alu instid0(VALU_DEP_1) | instskip(NEXT) | instid1(VALU_DEP_1)
	v_lshlrev_b32_e32 v8, 16, v8
	v_add_f32_e32 v8, v7, v8
	s_delay_alu instid0(VALU_DEP_1) | instskip(NEXT) | instid1(VALU_DEP_1)
	v_and_b32_e32 v9, 0x7f800000, v8
	v_cmp_ne_u32_e32 vcc_lo, 0x7f800000, v9
                                        ; implicit-def: $vgpr9
	s_and_saveexec_b32 s2, vcc_lo
	s_delay_alu instid0(SALU_CYCLE_1)
	s_xor_b32 s2, exec_lo, s2
; %bb.16:
	v_bfe_u32 v9, v8, 16, 1
	s_delay_alu instid0(VALU_DEP_1)
	v_add3_u32 v9, v8, v9, 0x7fff
                                        ; implicit-def: $vgpr8
; %bb.17:
	s_and_not1_saveexec_b32 s2, s2
; %bb.18:
	v_and_b32_e32 v9, 0xffff, v8
	v_or_b32_e32 v10, 0x10000, v8
	s_delay_alu instid0(VALU_DEP_2) | instskip(NEXT) | instid1(VALU_DEP_2)
	v_cmp_eq_u32_e32 vcc_lo, 0, v9
	v_cndmask_b32_e32 v9, v10, v8, vcc_lo
; %bb.19:
	s_or_b32 exec_lo, exec_lo, s2
	s_delay_alu instid0(VALU_DEP_1) | instskip(SKIP_2) | instid1(VALU_DEP_2)
	v_and_b32_e32 v8, 0xffff0000, v9
	v_lshrrev_b32_e32 v9, 16, v9
	v_cmp_eq_u32_e32 vcc_lo, 0, v5
	v_dual_cndmask_b32 v7, v8, v7 :: v_dual_cndmask_b32 v6, v9, v6
	s_delay_alu instid0(VALU_DEP_1) | instskip(NEXT) | instid1(VALU_DEP_1)
	v_mov_b32_dpp v8, v6 row_shr:2 row_mask:0xf bank_mask:0xf
	v_lshlrev_b32_e32 v8, 16, v8
	s_delay_alu instid0(VALU_DEP_1) | instskip(NEXT) | instid1(VALU_DEP_1)
	v_add_f32_e32 v8, v7, v8
	v_and_b32_e32 v9, 0x7f800000, v8
	s_delay_alu instid0(VALU_DEP_1) | instskip(SKIP_1) | instid1(SALU_CYCLE_1)
	v_cmp_ne_u32_e32 vcc_lo, 0x7f800000, v9
                                        ; implicit-def: $vgpr9
	s_and_saveexec_b32 s2, vcc_lo
	s_xor_b32 s2, exec_lo, s2
; %bb.20:
	v_bfe_u32 v9, v8, 16, 1
	s_delay_alu instid0(VALU_DEP_1)
	v_add3_u32 v9, v8, v9, 0x7fff
                                        ; implicit-def: $vgpr8
; %bb.21:
	s_and_not1_saveexec_b32 s2, s2
; %bb.22:
	v_and_b32_e32 v9, 0xffff, v8
	v_or_b32_e32 v10, 0x10000, v8
	s_delay_alu instid0(VALU_DEP_2) | instskip(NEXT) | instid1(VALU_DEP_2)
	v_cmp_eq_u32_e32 vcc_lo, 0, v9
	v_cndmask_b32_e32 v9, v10, v8, vcc_lo
; %bb.23:
	s_or_b32 exec_lo, exec_lo, s2
	s_delay_alu instid0(VALU_DEP_1) | instskip(SKIP_2) | instid1(VALU_DEP_2)
	v_and_b32_e32 v8, 0xffff0000, v9
	v_lshrrev_b32_e32 v9, 16, v9
	v_cmp_lt_u32_e32 vcc_lo, 1, v5
	v_dual_cndmask_b32 v7, v7, v8 :: v_dual_cndmask_b32 v6, v6, v9
	s_delay_alu instid0(VALU_DEP_1) | instskip(NEXT) | instid1(VALU_DEP_1)
	v_mov_b32_dpp v8, v6 row_shr:4 row_mask:0xf bank_mask:0xf
	v_lshlrev_b32_e32 v8, 16, v8
	s_delay_alu instid0(VALU_DEP_1) | instskip(NEXT) | instid1(VALU_DEP_1)
	v_add_f32_e32 v7, v7, v8
	v_and_b32_e32 v8, 0x7f800000, v7
	s_delay_alu instid0(VALU_DEP_1) | instskip(SKIP_1) | instid1(SALU_CYCLE_1)
	v_cmp_ne_u32_e32 vcc_lo, 0x7f800000, v8
                                        ; implicit-def: $vgpr8
	s_and_saveexec_b32 s2, vcc_lo
	s_xor_b32 s2, exec_lo, s2
; %bb.24:
	v_bfe_u32 v8, v7, 16, 1
	s_delay_alu instid0(VALU_DEP_1)
	v_add3_u32 v8, v7, v8, 0x7fff
                                        ; implicit-def: $vgpr7
; %bb.25:
	s_and_not1_saveexec_b32 s2, s2
; %bb.26:
	v_and_b32_e32 v8, 0xffff, v7
	v_or_b32_e32 v9, 0x10000, v7
	s_delay_alu instid0(VALU_DEP_2) | instskip(NEXT) | instid1(VALU_DEP_2)
	v_cmp_eq_u32_e32 vcc_lo, 0, v8
	v_cndmask_b32_e32 v8, v9, v7, vcc_lo
; %bb.27:
	s_or_b32 exec_lo, exec_lo, s2
	s_delay_alu instid0(VALU_DEP_1) | instskip(SKIP_2) | instid1(VALU_DEP_3)
	v_lshrrev_b32_e32 v7, 16, v8
	v_cmp_lt_u32_e32 vcc_lo, 3, v5
	v_lshl_or_b32 v4, v4, 2, 28
	v_cndmask_b32_e32 v9, v6, v7, vcc_lo
	s_delay_alu instid0(VALU_DEP_1)
	v_and_b32_e32 v5, 0xffff, v9
	ds_bpermute_b32 v8, v4, v5
.LBB80_28:
	v_add_co_u32 v2, vcc_lo, s6, v2
	v_and_b32_e32 v0, 7, v0
	v_add_co_ci_u32_e32 v3, vcc_lo, s7, v3, vcc_lo
	s_mov_b32 s2, exec_lo
	global_store_b16 v[2:3], v9, off
	v_cmpx_eq_u32_e32 0, v0
	s_cbranch_execz .LBB80_30
; %bb.29:
	v_lshrrev_b32_e32 v0, 2, v1
	s_waitcnt lgkmcnt(0)
	global_store_b16 v0, v8, s[0:1]
.LBB80_30:
	s_nop 0
	s_sendmsg sendmsg(MSG_DEALLOC_VGPRS)
	s_endpgm
	.section	.rodata,"a",@progbits
	.p2align	6, 0x0
	.amdhsa_kernel _Z33warp_inclusive_scan_reduce_kernelI12hip_bfloat16Lj64ELj8EENSt9enable_ifIXsr10test_utilsE35device_test_enabled_for_warp_size_vIXT1_EEEvE4typeEPT_S5_S5_
		.amdhsa_group_segment_fixed_size 0
		.amdhsa_private_segment_fixed_size 0
		.amdhsa_kernarg_size 24
		.amdhsa_user_sgpr_count 15
		.amdhsa_user_sgpr_dispatch_ptr 0
		.amdhsa_user_sgpr_queue_ptr 0
		.amdhsa_user_sgpr_kernarg_segment_ptr 1
		.amdhsa_user_sgpr_dispatch_id 0
		.amdhsa_user_sgpr_private_segment_size 0
		.amdhsa_wavefront_size32 1
		.amdhsa_uses_dynamic_stack 0
		.amdhsa_enable_private_segment 0
		.amdhsa_system_sgpr_workgroup_id_x 1
		.amdhsa_system_sgpr_workgroup_id_y 0
		.amdhsa_system_sgpr_workgroup_id_z 0
		.amdhsa_system_sgpr_workgroup_info 0
		.amdhsa_system_vgpr_workitem_id 0
		.amdhsa_next_free_vgpr 13
		.amdhsa_next_free_sgpr 16
		.amdhsa_reserve_vcc 1
		.amdhsa_float_round_mode_32 0
		.amdhsa_float_round_mode_16_64 0
		.amdhsa_float_denorm_mode_32 3
		.amdhsa_float_denorm_mode_16_64 3
		.amdhsa_dx10_clamp 1
		.amdhsa_ieee_mode 1
		.amdhsa_fp16_overflow 0
		.amdhsa_workgroup_processor_mode 1
		.amdhsa_memory_ordered 1
		.amdhsa_forward_progress 0
		.amdhsa_shared_vgpr_count 0
		.amdhsa_exception_fp_ieee_invalid_op 0
		.amdhsa_exception_fp_denorm_src 0
		.amdhsa_exception_fp_ieee_div_zero 0
		.amdhsa_exception_fp_ieee_overflow 0
		.amdhsa_exception_fp_ieee_underflow 0
		.amdhsa_exception_fp_ieee_inexact 0
		.amdhsa_exception_int_div_zero 0
	.end_amdhsa_kernel
	.section	.text._Z33warp_inclusive_scan_reduce_kernelI12hip_bfloat16Lj64ELj8EENSt9enable_ifIXsr10test_utilsE35device_test_enabled_for_warp_size_vIXT1_EEEvE4typeEPT_S5_S5_,"axG",@progbits,_Z33warp_inclusive_scan_reduce_kernelI12hip_bfloat16Lj64ELj8EENSt9enable_ifIXsr10test_utilsE35device_test_enabled_for_warp_size_vIXT1_EEEvE4typeEPT_S5_S5_,comdat
.Lfunc_end80:
	.size	_Z33warp_inclusive_scan_reduce_kernelI12hip_bfloat16Lj64ELj8EENSt9enable_ifIXsr10test_utilsE35device_test_enabled_for_warp_size_vIXT1_EEEvE4typeEPT_S5_S5_, .Lfunc_end80-_Z33warp_inclusive_scan_reduce_kernelI12hip_bfloat16Lj64ELj8EENSt9enable_ifIXsr10test_utilsE35device_test_enabled_for_warp_size_vIXT1_EEEvE4typeEPT_S5_S5_
                                        ; -- End function
	.section	.AMDGPU.csdata,"",@progbits
; Kernel info:
; codeLenInByte = 1064
; NumSgprs: 18
; NumVgprs: 13
; ScratchSize: 0
; MemoryBound: 0
; FloatMode: 240
; IeeeMode: 1
; LDSByteSize: 0 bytes/workgroup (compile time only)
; SGPRBlocks: 2
; VGPRBlocks: 1
; NumSGPRsForWavesPerEU: 18
; NumVGPRsForWavesPerEU: 13
; Occupancy: 16
; WaveLimiterHint : 0
; COMPUTE_PGM_RSRC2:SCRATCH_EN: 0
; COMPUTE_PGM_RSRC2:USER_SGPR: 15
; COMPUTE_PGM_RSRC2:TRAP_HANDLER: 0
; COMPUTE_PGM_RSRC2:TGID_X_EN: 1
; COMPUTE_PGM_RSRC2:TGID_Y_EN: 0
; COMPUTE_PGM_RSRC2:TGID_Z_EN: 0
; COMPUTE_PGM_RSRC2:TIDIG_COMP_CNT: 0
	.section	.text._Z33warp_inclusive_scan_reduce_kernelI12hip_bfloat16Lj32ELj4EENSt9enable_ifIXsr10test_utilsE35device_test_enabled_for_warp_size_vIXT1_EEEvE4typeEPT_S5_S5_,"axG",@progbits,_Z33warp_inclusive_scan_reduce_kernelI12hip_bfloat16Lj32ELj4EENSt9enable_ifIXsr10test_utilsE35device_test_enabled_for_warp_size_vIXT1_EEEvE4typeEPT_S5_S5_,comdat
	.protected	_Z33warp_inclusive_scan_reduce_kernelI12hip_bfloat16Lj32ELj4EENSt9enable_ifIXsr10test_utilsE35device_test_enabled_for_warp_size_vIXT1_EEEvE4typeEPT_S5_S5_ ; -- Begin function _Z33warp_inclusive_scan_reduce_kernelI12hip_bfloat16Lj32ELj4EENSt9enable_ifIXsr10test_utilsE35device_test_enabled_for_warp_size_vIXT1_EEEvE4typeEPT_S5_S5_
	.globl	_Z33warp_inclusive_scan_reduce_kernelI12hip_bfloat16Lj32ELj4EENSt9enable_ifIXsr10test_utilsE35device_test_enabled_for_warp_size_vIXT1_EEEvE4typeEPT_S5_S5_
	.p2align	8
	.type	_Z33warp_inclusive_scan_reduce_kernelI12hip_bfloat16Lj32ELj4EENSt9enable_ifIXsr10test_utilsE35device_test_enabled_for_warp_size_vIXT1_EEEvE4typeEPT_S5_S5_,@function
_Z33warp_inclusive_scan_reduce_kernelI12hip_bfloat16Lj32ELj4EENSt9enable_ifIXsr10test_utilsE35device_test_enabled_for_warp_size_vIXT1_EEEvE4typeEPT_S5_S5_: ; @_Z33warp_inclusive_scan_reduce_kernelI12hip_bfloat16Lj32ELj4EENSt9enable_ifIXsr10test_utilsE35device_test_enabled_for_warp_size_vIXT1_EEEvE4typeEPT_S5_S5_
; %bb.0:
	s_load_b128 s[4:7], s[0:1], 0x0
	v_mov_b32_e32 v2, 0
	v_lshl_or_b32 v1, s15, 5, v0
	s_load_b64 s[0:1], s[0:1], 0x10
	s_bitcmp1_b32 s15, 0
	s_cselect_b32 s2, -1, 0
	s_delay_alu instid0(VALU_DEP_1) | instskip(SKIP_1) | instid1(VALU_DEP_1)
	v_lshlrev_b64 v[2:3], 1, v[1:2]
	s_waitcnt lgkmcnt(0)
	v_add_co_u32 v4, vcc_lo, s4, v2
	s_delay_alu instid0(VALU_DEP_2) | instskip(SKIP_4) | instid1(VALU_DEP_1)
	v_add_co_ci_u32_e32 v5, vcc_lo, s5, v3, vcc_lo
	s_and_b32 vcc_lo, exec_lo, s2
	s_mov_b32 s2, -1
	global_load_u16 v6, v[4:5], off
	v_mbcnt_lo_u32_b32 v4, -1, 0
	v_and_b32_e32 v5, 3, v4
	s_waitcnt vmcnt(0)
	v_lshlrev_b32_e32 v7, 16, v6
	s_cbranch_vccz .LBB81_10
; %bb.1:
	v_mov_b32_dpp v8, v6 row_shr:1 row_mask:0xf bank_mask:0xf
	s_delay_alu instid0(VALU_DEP_1) | instskip(NEXT) | instid1(VALU_DEP_1)
	v_lshlrev_b32_e32 v8, 16, v8
	v_add_f32_e32 v8, v7, v8
	s_delay_alu instid0(VALU_DEP_1) | instskip(NEXT) | instid1(VALU_DEP_1)
	v_and_b32_e32 v9, 0x7f800000, v8
	v_cmp_ne_u32_e32 vcc_lo, 0x7f800000, v9
                                        ; implicit-def: $vgpr9
	s_and_saveexec_b32 s2, vcc_lo
	s_delay_alu instid0(SALU_CYCLE_1)
	s_xor_b32 s2, exec_lo, s2
; %bb.2:
	v_bfe_u32 v9, v8, 16, 1
	s_delay_alu instid0(VALU_DEP_1)
	v_add3_u32 v9, v8, v9, 0x7fff
                                        ; implicit-def: $vgpr8
; %bb.3:
	s_and_not1_saveexec_b32 s2, s2
; %bb.4:
	v_and_b32_e32 v9, 0xffff, v8
	v_or_b32_e32 v10, 0x10000, v8
	s_delay_alu instid0(VALU_DEP_2) | instskip(NEXT) | instid1(VALU_DEP_2)
	v_cmp_eq_u32_e32 vcc_lo, 0, v9
	v_cndmask_b32_e32 v9, v10, v8, vcc_lo
; %bb.5:
	s_or_b32 exec_lo, exec_lo, s2
	s_delay_alu instid0(VALU_DEP_1) | instskip(SKIP_2) | instid1(VALU_DEP_3)
	v_and_b32_e32 v8, 0xffff0000, v9
	v_lshrrev_b32_e32 v9, 16, v9
	v_cmp_eq_u32_e32 vcc_lo, 0, v5
	v_cndmask_b32_e32 v10, v8, v7, vcc_lo
	s_delay_alu instid0(VALU_DEP_3) | instskip(NEXT) | instid1(VALU_DEP_1)
	v_cndmask_b32_e32 v8, v9, v6, vcc_lo
	v_mov_b32_dpp v9, v8 row_shr:2 row_mask:0xf bank_mask:0xf
	s_delay_alu instid0(VALU_DEP_1) | instskip(NEXT) | instid1(VALU_DEP_1)
	v_lshlrev_b32_e32 v9, 16, v9
	v_add_f32_e32 v9, v10, v9
	s_delay_alu instid0(VALU_DEP_1) | instskip(NEXT) | instid1(VALU_DEP_1)
	v_and_b32_e32 v10, 0x7f800000, v9
	v_cmp_ne_u32_e32 vcc_lo, 0x7f800000, v10
                                        ; implicit-def: $vgpr10
	s_and_saveexec_b32 s2, vcc_lo
	s_delay_alu instid0(SALU_CYCLE_1)
	s_xor_b32 s2, exec_lo, s2
; %bb.6:
	v_bfe_u32 v10, v9, 16, 1
	s_delay_alu instid0(VALU_DEP_1)
	v_add3_u32 v10, v9, v10, 0x7fff
                                        ; implicit-def: $vgpr9
; %bb.7:
	s_and_not1_saveexec_b32 s2, s2
; %bb.8:
	v_and_b32_e32 v10, 0xffff, v9
	v_or_b32_e32 v11, 0x10000, v9
	s_delay_alu instid0(VALU_DEP_2) | instskip(NEXT) | instid1(VALU_DEP_2)
	v_cmp_eq_u32_e32 vcc_lo, 0, v10
	v_cndmask_b32_e32 v10, v11, v9, vcc_lo
; %bb.9:
	s_or_b32 exec_lo, exec_lo, s2
	s_delay_alu instid0(VALU_DEP_1) | instskip(SKIP_2) | instid1(VALU_DEP_3)
	v_lshrrev_b32_e32 v9, 16, v10
	v_cmp_lt_u32_e32 vcc_lo, 1, v5
	v_lshl_or_b32 v10, v4, 2, 12
	v_cndmask_b32_e32 v9, v8, v9, vcc_lo
	s_delay_alu instid0(VALU_DEP_1)
	v_and_b32_e32 v8, 0xffff, v9
	ds_bpermute_b32 v8, v10, v8
	s_branch .LBB81_20
.LBB81_10:
                                        ; implicit-def: $vgpr9
                                        ; implicit-def: $vgpr8
	s_and_b32 vcc_lo, exec_lo, s2
	s_cbranch_vccz .LBB81_20
; %bb.11:
	s_waitcnt lgkmcnt(0)
	v_mov_b32_dpp v8, v6 row_shr:1 row_mask:0xf bank_mask:0xf
	s_delay_alu instid0(VALU_DEP_1) | instskip(NEXT) | instid1(VALU_DEP_1)
	v_lshlrev_b32_e32 v8, 16, v8
	v_add_f32_e32 v8, v7, v8
	s_delay_alu instid0(VALU_DEP_1) | instskip(NEXT) | instid1(VALU_DEP_1)
	v_and_b32_e32 v9, 0x7f800000, v8
	v_cmp_ne_u32_e32 vcc_lo, 0x7f800000, v9
                                        ; implicit-def: $vgpr9
	s_and_saveexec_b32 s2, vcc_lo
	s_delay_alu instid0(SALU_CYCLE_1)
	s_xor_b32 s2, exec_lo, s2
; %bb.12:
	v_bfe_u32 v9, v8, 16, 1
	s_delay_alu instid0(VALU_DEP_1)
	v_add3_u32 v9, v8, v9, 0x7fff
                                        ; implicit-def: $vgpr8
; %bb.13:
	s_and_not1_saveexec_b32 s2, s2
; %bb.14:
	v_and_b32_e32 v9, 0xffff, v8
	v_or_b32_e32 v10, 0x10000, v8
	s_delay_alu instid0(VALU_DEP_2) | instskip(NEXT) | instid1(VALU_DEP_2)
	v_cmp_eq_u32_e32 vcc_lo, 0, v9
	v_cndmask_b32_e32 v9, v10, v8, vcc_lo
; %bb.15:
	s_or_b32 exec_lo, exec_lo, s2
	s_delay_alu instid0(VALU_DEP_1) | instskip(SKIP_2) | instid1(VALU_DEP_2)
	v_and_b32_e32 v8, 0xffff0000, v9
	v_lshrrev_b32_e32 v9, 16, v9
	v_cmp_eq_u32_e32 vcc_lo, 0, v5
	v_dual_cndmask_b32 v7, v8, v7 :: v_dual_cndmask_b32 v6, v9, v6
	s_delay_alu instid0(VALU_DEP_1) | instskip(NEXT) | instid1(VALU_DEP_1)
	v_mov_b32_dpp v8, v6 row_shr:2 row_mask:0xf bank_mask:0xf
	v_lshlrev_b32_e32 v8, 16, v8
	s_delay_alu instid0(VALU_DEP_1) | instskip(NEXT) | instid1(VALU_DEP_1)
	v_add_f32_e32 v7, v7, v8
	v_and_b32_e32 v8, 0x7f800000, v7
	s_delay_alu instid0(VALU_DEP_1) | instskip(SKIP_1) | instid1(SALU_CYCLE_1)
	v_cmp_ne_u32_e32 vcc_lo, 0x7f800000, v8
                                        ; implicit-def: $vgpr8
	s_and_saveexec_b32 s2, vcc_lo
	s_xor_b32 s2, exec_lo, s2
; %bb.16:
	v_bfe_u32 v8, v7, 16, 1
	s_delay_alu instid0(VALU_DEP_1)
	v_add3_u32 v8, v7, v8, 0x7fff
                                        ; implicit-def: $vgpr7
; %bb.17:
	s_and_not1_saveexec_b32 s2, s2
; %bb.18:
	v_and_b32_e32 v8, 0xffff, v7
	v_or_b32_e32 v9, 0x10000, v7
	s_delay_alu instid0(VALU_DEP_2) | instskip(NEXT) | instid1(VALU_DEP_2)
	v_cmp_eq_u32_e32 vcc_lo, 0, v8
	v_cndmask_b32_e32 v8, v9, v7, vcc_lo
; %bb.19:
	s_or_b32 exec_lo, exec_lo, s2
	s_delay_alu instid0(VALU_DEP_1) | instskip(SKIP_2) | instid1(VALU_DEP_3)
	v_lshrrev_b32_e32 v7, 16, v8
	v_cmp_lt_u32_e32 vcc_lo, 1, v5
	v_lshl_or_b32 v4, v4, 2, 12
	v_cndmask_b32_e32 v9, v6, v7, vcc_lo
	s_delay_alu instid0(VALU_DEP_1)
	v_and_b32_e32 v5, 0xffff, v9
	ds_bpermute_b32 v8, v4, v5
.LBB81_20:
	v_add_co_u32 v2, vcc_lo, s6, v2
	v_and_b32_e32 v0, 3, v0
	v_add_co_ci_u32_e32 v3, vcc_lo, s7, v3, vcc_lo
	s_mov_b32 s2, exec_lo
	global_store_b16 v[2:3], v9, off
	v_cmpx_eq_u32_e32 0, v0
	s_cbranch_execz .LBB81_22
; %bb.21:
	v_lshrrev_b32_e32 v0, 1, v1
	s_waitcnt lgkmcnt(0)
	global_store_b16 v0, v8, s[0:1]
.LBB81_22:
	s_nop 0
	s_sendmsg sendmsg(MSG_DEALLOC_VGPRS)
	s_endpgm
	.section	.rodata,"a",@progbits
	.p2align	6, 0x0
	.amdhsa_kernel _Z33warp_inclusive_scan_reduce_kernelI12hip_bfloat16Lj32ELj4EENSt9enable_ifIXsr10test_utilsE35device_test_enabled_for_warp_size_vIXT1_EEEvE4typeEPT_S5_S5_
		.amdhsa_group_segment_fixed_size 0
		.amdhsa_private_segment_fixed_size 0
		.amdhsa_kernarg_size 24
		.amdhsa_user_sgpr_count 15
		.amdhsa_user_sgpr_dispatch_ptr 0
		.amdhsa_user_sgpr_queue_ptr 0
		.amdhsa_user_sgpr_kernarg_segment_ptr 1
		.amdhsa_user_sgpr_dispatch_id 0
		.amdhsa_user_sgpr_private_segment_size 0
		.amdhsa_wavefront_size32 1
		.amdhsa_uses_dynamic_stack 0
		.amdhsa_enable_private_segment 0
		.amdhsa_system_sgpr_workgroup_id_x 1
		.amdhsa_system_sgpr_workgroup_id_y 0
		.amdhsa_system_sgpr_workgroup_id_z 0
		.amdhsa_system_sgpr_workgroup_info 0
		.amdhsa_system_vgpr_workitem_id 0
		.amdhsa_next_free_vgpr 12
		.amdhsa_next_free_sgpr 16
		.amdhsa_reserve_vcc 1
		.amdhsa_float_round_mode_32 0
		.amdhsa_float_round_mode_16_64 0
		.amdhsa_float_denorm_mode_32 3
		.amdhsa_float_denorm_mode_16_64 3
		.amdhsa_dx10_clamp 1
		.amdhsa_ieee_mode 1
		.amdhsa_fp16_overflow 0
		.amdhsa_workgroup_processor_mode 1
		.amdhsa_memory_ordered 1
		.amdhsa_forward_progress 0
		.amdhsa_shared_vgpr_count 0
		.amdhsa_exception_fp_ieee_invalid_op 0
		.amdhsa_exception_fp_denorm_src 0
		.amdhsa_exception_fp_ieee_div_zero 0
		.amdhsa_exception_fp_ieee_overflow 0
		.amdhsa_exception_fp_ieee_underflow 0
		.amdhsa_exception_fp_ieee_inexact 0
		.amdhsa_exception_int_div_zero 0
	.end_amdhsa_kernel
	.section	.text._Z33warp_inclusive_scan_reduce_kernelI12hip_bfloat16Lj32ELj4EENSt9enable_ifIXsr10test_utilsE35device_test_enabled_for_warp_size_vIXT1_EEEvE4typeEPT_S5_S5_,"axG",@progbits,_Z33warp_inclusive_scan_reduce_kernelI12hip_bfloat16Lj32ELj4EENSt9enable_ifIXsr10test_utilsE35device_test_enabled_for_warp_size_vIXT1_EEEvE4typeEPT_S5_S5_,comdat
.Lfunc_end81:
	.size	_Z33warp_inclusive_scan_reduce_kernelI12hip_bfloat16Lj32ELj4EENSt9enable_ifIXsr10test_utilsE35device_test_enabled_for_warp_size_vIXT1_EEEvE4typeEPT_S5_S5_, .Lfunc_end81-_Z33warp_inclusive_scan_reduce_kernelI12hip_bfloat16Lj32ELj4EENSt9enable_ifIXsr10test_utilsE35device_test_enabled_for_warp_size_vIXT1_EEEvE4typeEPT_S5_S5_
                                        ; -- End function
	.section	.AMDGPU.csdata,"",@progbits
; Kernel info:
; codeLenInByte = 784
; NumSgprs: 18
; NumVgprs: 12
; ScratchSize: 0
; MemoryBound: 0
; FloatMode: 240
; IeeeMode: 1
; LDSByteSize: 0 bytes/workgroup (compile time only)
; SGPRBlocks: 2
; VGPRBlocks: 1
; NumSGPRsForWavesPerEU: 18
; NumVGPRsForWavesPerEU: 12
; Occupancy: 16
; WaveLimiterHint : 0
; COMPUTE_PGM_RSRC2:SCRATCH_EN: 0
; COMPUTE_PGM_RSRC2:USER_SGPR: 15
; COMPUTE_PGM_RSRC2:TRAP_HANDLER: 0
; COMPUTE_PGM_RSRC2:TGID_X_EN: 1
; COMPUTE_PGM_RSRC2:TGID_Y_EN: 0
; COMPUTE_PGM_RSRC2:TGID_Z_EN: 0
; COMPUTE_PGM_RSRC2:TIDIG_COMP_CNT: 0
	.section	.text._Z33warp_inclusive_scan_reduce_kernelI12hip_bfloat16Lj64ELj4EENSt9enable_ifIXsr10test_utilsE35device_test_enabled_for_warp_size_vIXT1_EEEvE4typeEPT_S5_S5_,"axG",@progbits,_Z33warp_inclusive_scan_reduce_kernelI12hip_bfloat16Lj64ELj4EENSt9enable_ifIXsr10test_utilsE35device_test_enabled_for_warp_size_vIXT1_EEEvE4typeEPT_S5_S5_,comdat
	.protected	_Z33warp_inclusive_scan_reduce_kernelI12hip_bfloat16Lj64ELj4EENSt9enable_ifIXsr10test_utilsE35device_test_enabled_for_warp_size_vIXT1_EEEvE4typeEPT_S5_S5_ ; -- Begin function _Z33warp_inclusive_scan_reduce_kernelI12hip_bfloat16Lj64ELj4EENSt9enable_ifIXsr10test_utilsE35device_test_enabled_for_warp_size_vIXT1_EEEvE4typeEPT_S5_S5_
	.globl	_Z33warp_inclusive_scan_reduce_kernelI12hip_bfloat16Lj64ELj4EENSt9enable_ifIXsr10test_utilsE35device_test_enabled_for_warp_size_vIXT1_EEEvE4typeEPT_S5_S5_
	.p2align	8
	.type	_Z33warp_inclusive_scan_reduce_kernelI12hip_bfloat16Lj64ELj4EENSt9enable_ifIXsr10test_utilsE35device_test_enabled_for_warp_size_vIXT1_EEEvE4typeEPT_S5_S5_,@function
_Z33warp_inclusive_scan_reduce_kernelI12hip_bfloat16Lj64ELj4EENSt9enable_ifIXsr10test_utilsE35device_test_enabled_for_warp_size_vIXT1_EEEvE4typeEPT_S5_S5_: ; @_Z33warp_inclusive_scan_reduce_kernelI12hip_bfloat16Lj64ELj4EENSt9enable_ifIXsr10test_utilsE35device_test_enabled_for_warp_size_vIXT1_EEEvE4typeEPT_S5_S5_
; %bb.0:
	s_load_b128 s[4:7], s[0:1], 0x0
	v_mov_b32_e32 v2, 0
	v_lshl_or_b32 v1, s15, 6, v0
	s_load_b64 s[0:1], s[0:1], 0x10
	s_bitcmp1_b32 s15, 0
	s_cselect_b32 s2, -1, 0
	s_delay_alu instid0(VALU_DEP_1) | instskip(SKIP_1) | instid1(VALU_DEP_1)
	v_lshlrev_b64 v[2:3], 1, v[1:2]
	s_waitcnt lgkmcnt(0)
	v_add_co_u32 v4, vcc_lo, s4, v2
	s_delay_alu instid0(VALU_DEP_2) | instskip(SKIP_4) | instid1(VALU_DEP_1)
	v_add_co_ci_u32_e32 v5, vcc_lo, s5, v3, vcc_lo
	s_and_b32 vcc_lo, exec_lo, s2
	s_mov_b32 s2, -1
	global_load_u16 v6, v[4:5], off
	v_mbcnt_lo_u32_b32 v4, -1, 0
	v_and_b32_e32 v5, 3, v4
	s_waitcnt vmcnt(0)
	v_lshlrev_b32_e32 v7, 16, v6
	s_cbranch_vccz .LBB82_10
; %bb.1:
	v_mov_b32_dpp v8, v6 row_shr:1 row_mask:0xf bank_mask:0xf
	s_delay_alu instid0(VALU_DEP_1) | instskip(NEXT) | instid1(VALU_DEP_1)
	v_lshlrev_b32_e32 v8, 16, v8
	v_add_f32_e32 v8, v7, v8
	s_delay_alu instid0(VALU_DEP_1) | instskip(NEXT) | instid1(VALU_DEP_1)
	v_and_b32_e32 v9, 0x7f800000, v8
	v_cmp_ne_u32_e32 vcc_lo, 0x7f800000, v9
                                        ; implicit-def: $vgpr9
	s_and_saveexec_b32 s2, vcc_lo
	s_delay_alu instid0(SALU_CYCLE_1)
	s_xor_b32 s2, exec_lo, s2
; %bb.2:
	v_bfe_u32 v9, v8, 16, 1
	s_delay_alu instid0(VALU_DEP_1)
	v_add3_u32 v9, v8, v9, 0x7fff
                                        ; implicit-def: $vgpr8
; %bb.3:
	s_and_not1_saveexec_b32 s2, s2
; %bb.4:
	v_and_b32_e32 v9, 0xffff, v8
	v_or_b32_e32 v10, 0x10000, v8
	s_delay_alu instid0(VALU_DEP_2) | instskip(NEXT) | instid1(VALU_DEP_2)
	v_cmp_eq_u32_e32 vcc_lo, 0, v9
	v_cndmask_b32_e32 v9, v10, v8, vcc_lo
; %bb.5:
	s_or_b32 exec_lo, exec_lo, s2
	s_delay_alu instid0(VALU_DEP_1) | instskip(SKIP_2) | instid1(VALU_DEP_3)
	v_and_b32_e32 v8, 0xffff0000, v9
	v_lshrrev_b32_e32 v9, 16, v9
	v_cmp_eq_u32_e32 vcc_lo, 0, v5
	v_cndmask_b32_e32 v10, v8, v7, vcc_lo
	s_delay_alu instid0(VALU_DEP_3) | instskip(NEXT) | instid1(VALU_DEP_1)
	v_cndmask_b32_e32 v8, v9, v6, vcc_lo
	v_mov_b32_dpp v9, v8 row_shr:2 row_mask:0xf bank_mask:0xf
	s_delay_alu instid0(VALU_DEP_1) | instskip(NEXT) | instid1(VALU_DEP_1)
	v_lshlrev_b32_e32 v9, 16, v9
	v_add_f32_e32 v9, v10, v9
	s_delay_alu instid0(VALU_DEP_1) | instskip(NEXT) | instid1(VALU_DEP_1)
	v_and_b32_e32 v10, 0x7f800000, v9
	v_cmp_ne_u32_e32 vcc_lo, 0x7f800000, v10
                                        ; implicit-def: $vgpr10
	s_and_saveexec_b32 s2, vcc_lo
	s_delay_alu instid0(SALU_CYCLE_1)
	s_xor_b32 s2, exec_lo, s2
; %bb.6:
	v_bfe_u32 v10, v9, 16, 1
	s_delay_alu instid0(VALU_DEP_1)
	v_add3_u32 v10, v9, v10, 0x7fff
                                        ; implicit-def: $vgpr9
; %bb.7:
	s_and_not1_saveexec_b32 s2, s2
; %bb.8:
	v_and_b32_e32 v10, 0xffff, v9
	v_or_b32_e32 v11, 0x10000, v9
	s_delay_alu instid0(VALU_DEP_2) | instskip(NEXT) | instid1(VALU_DEP_2)
	v_cmp_eq_u32_e32 vcc_lo, 0, v10
	v_cndmask_b32_e32 v10, v11, v9, vcc_lo
; %bb.9:
	s_or_b32 exec_lo, exec_lo, s2
	s_delay_alu instid0(VALU_DEP_1) | instskip(SKIP_2) | instid1(VALU_DEP_3)
	v_lshrrev_b32_e32 v9, 16, v10
	v_cmp_lt_u32_e32 vcc_lo, 1, v5
	v_lshl_or_b32 v10, v4, 2, 12
	v_cndmask_b32_e32 v9, v8, v9, vcc_lo
	s_delay_alu instid0(VALU_DEP_1)
	v_and_b32_e32 v8, 0xffff, v9
	ds_bpermute_b32 v8, v10, v8
	s_branch .LBB82_20
.LBB82_10:
                                        ; implicit-def: $vgpr9
                                        ; implicit-def: $vgpr8
	s_and_b32 vcc_lo, exec_lo, s2
	s_cbranch_vccz .LBB82_20
; %bb.11:
	s_waitcnt lgkmcnt(0)
	v_mov_b32_dpp v8, v6 row_shr:1 row_mask:0xf bank_mask:0xf
	s_delay_alu instid0(VALU_DEP_1) | instskip(NEXT) | instid1(VALU_DEP_1)
	v_lshlrev_b32_e32 v8, 16, v8
	v_add_f32_e32 v8, v7, v8
	s_delay_alu instid0(VALU_DEP_1) | instskip(NEXT) | instid1(VALU_DEP_1)
	v_and_b32_e32 v9, 0x7f800000, v8
	v_cmp_ne_u32_e32 vcc_lo, 0x7f800000, v9
                                        ; implicit-def: $vgpr9
	s_and_saveexec_b32 s2, vcc_lo
	s_delay_alu instid0(SALU_CYCLE_1)
	s_xor_b32 s2, exec_lo, s2
; %bb.12:
	v_bfe_u32 v9, v8, 16, 1
	s_delay_alu instid0(VALU_DEP_1)
	v_add3_u32 v9, v8, v9, 0x7fff
                                        ; implicit-def: $vgpr8
; %bb.13:
	s_and_not1_saveexec_b32 s2, s2
; %bb.14:
	v_and_b32_e32 v9, 0xffff, v8
	v_or_b32_e32 v10, 0x10000, v8
	s_delay_alu instid0(VALU_DEP_2) | instskip(NEXT) | instid1(VALU_DEP_2)
	v_cmp_eq_u32_e32 vcc_lo, 0, v9
	v_cndmask_b32_e32 v9, v10, v8, vcc_lo
; %bb.15:
	s_or_b32 exec_lo, exec_lo, s2
	s_delay_alu instid0(VALU_DEP_1) | instskip(SKIP_2) | instid1(VALU_DEP_2)
	v_and_b32_e32 v8, 0xffff0000, v9
	v_lshrrev_b32_e32 v9, 16, v9
	v_cmp_eq_u32_e32 vcc_lo, 0, v5
	v_dual_cndmask_b32 v7, v8, v7 :: v_dual_cndmask_b32 v6, v9, v6
	s_delay_alu instid0(VALU_DEP_1) | instskip(NEXT) | instid1(VALU_DEP_1)
	v_mov_b32_dpp v8, v6 row_shr:2 row_mask:0xf bank_mask:0xf
	v_lshlrev_b32_e32 v8, 16, v8
	s_delay_alu instid0(VALU_DEP_1) | instskip(NEXT) | instid1(VALU_DEP_1)
	v_add_f32_e32 v7, v7, v8
	v_and_b32_e32 v8, 0x7f800000, v7
	s_delay_alu instid0(VALU_DEP_1) | instskip(SKIP_1) | instid1(SALU_CYCLE_1)
	v_cmp_ne_u32_e32 vcc_lo, 0x7f800000, v8
                                        ; implicit-def: $vgpr8
	s_and_saveexec_b32 s2, vcc_lo
	s_xor_b32 s2, exec_lo, s2
; %bb.16:
	v_bfe_u32 v8, v7, 16, 1
	s_delay_alu instid0(VALU_DEP_1)
	v_add3_u32 v8, v7, v8, 0x7fff
                                        ; implicit-def: $vgpr7
; %bb.17:
	s_and_not1_saveexec_b32 s2, s2
; %bb.18:
	v_and_b32_e32 v8, 0xffff, v7
	v_or_b32_e32 v9, 0x10000, v7
	s_delay_alu instid0(VALU_DEP_2) | instskip(NEXT) | instid1(VALU_DEP_2)
	v_cmp_eq_u32_e32 vcc_lo, 0, v8
	v_cndmask_b32_e32 v8, v9, v7, vcc_lo
; %bb.19:
	s_or_b32 exec_lo, exec_lo, s2
	s_delay_alu instid0(VALU_DEP_1) | instskip(SKIP_2) | instid1(VALU_DEP_3)
	v_lshrrev_b32_e32 v7, 16, v8
	v_cmp_lt_u32_e32 vcc_lo, 1, v5
	v_lshl_or_b32 v4, v4, 2, 12
	v_cndmask_b32_e32 v9, v6, v7, vcc_lo
	s_delay_alu instid0(VALU_DEP_1)
	v_and_b32_e32 v5, 0xffff, v9
	ds_bpermute_b32 v8, v4, v5
.LBB82_20:
	v_add_co_u32 v2, vcc_lo, s6, v2
	v_and_b32_e32 v0, 3, v0
	v_add_co_ci_u32_e32 v3, vcc_lo, s7, v3, vcc_lo
	s_mov_b32 s2, exec_lo
	global_store_b16 v[2:3], v9, off
	v_cmpx_eq_u32_e32 0, v0
	s_cbranch_execz .LBB82_22
; %bb.21:
	v_lshrrev_b32_e32 v0, 1, v1
	s_waitcnt lgkmcnt(0)
	global_store_b16 v0, v8, s[0:1]
.LBB82_22:
	s_nop 0
	s_sendmsg sendmsg(MSG_DEALLOC_VGPRS)
	s_endpgm
	.section	.rodata,"a",@progbits
	.p2align	6, 0x0
	.amdhsa_kernel _Z33warp_inclusive_scan_reduce_kernelI12hip_bfloat16Lj64ELj4EENSt9enable_ifIXsr10test_utilsE35device_test_enabled_for_warp_size_vIXT1_EEEvE4typeEPT_S5_S5_
		.amdhsa_group_segment_fixed_size 0
		.amdhsa_private_segment_fixed_size 0
		.amdhsa_kernarg_size 24
		.amdhsa_user_sgpr_count 15
		.amdhsa_user_sgpr_dispatch_ptr 0
		.amdhsa_user_sgpr_queue_ptr 0
		.amdhsa_user_sgpr_kernarg_segment_ptr 1
		.amdhsa_user_sgpr_dispatch_id 0
		.amdhsa_user_sgpr_private_segment_size 0
		.amdhsa_wavefront_size32 1
		.amdhsa_uses_dynamic_stack 0
		.amdhsa_enable_private_segment 0
		.amdhsa_system_sgpr_workgroup_id_x 1
		.amdhsa_system_sgpr_workgroup_id_y 0
		.amdhsa_system_sgpr_workgroup_id_z 0
		.amdhsa_system_sgpr_workgroup_info 0
		.amdhsa_system_vgpr_workitem_id 0
		.amdhsa_next_free_vgpr 12
		.amdhsa_next_free_sgpr 16
		.amdhsa_reserve_vcc 1
		.amdhsa_float_round_mode_32 0
		.amdhsa_float_round_mode_16_64 0
		.amdhsa_float_denorm_mode_32 3
		.amdhsa_float_denorm_mode_16_64 3
		.amdhsa_dx10_clamp 1
		.amdhsa_ieee_mode 1
		.amdhsa_fp16_overflow 0
		.amdhsa_workgroup_processor_mode 1
		.amdhsa_memory_ordered 1
		.amdhsa_forward_progress 0
		.amdhsa_shared_vgpr_count 0
		.amdhsa_exception_fp_ieee_invalid_op 0
		.amdhsa_exception_fp_denorm_src 0
		.amdhsa_exception_fp_ieee_div_zero 0
		.amdhsa_exception_fp_ieee_overflow 0
		.amdhsa_exception_fp_ieee_underflow 0
		.amdhsa_exception_fp_ieee_inexact 0
		.amdhsa_exception_int_div_zero 0
	.end_amdhsa_kernel
	.section	.text._Z33warp_inclusive_scan_reduce_kernelI12hip_bfloat16Lj64ELj4EENSt9enable_ifIXsr10test_utilsE35device_test_enabled_for_warp_size_vIXT1_EEEvE4typeEPT_S5_S5_,"axG",@progbits,_Z33warp_inclusive_scan_reduce_kernelI12hip_bfloat16Lj64ELj4EENSt9enable_ifIXsr10test_utilsE35device_test_enabled_for_warp_size_vIXT1_EEEvE4typeEPT_S5_S5_,comdat
.Lfunc_end82:
	.size	_Z33warp_inclusive_scan_reduce_kernelI12hip_bfloat16Lj64ELj4EENSt9enable_ifIXsr10test_utilsE35device_test_enabled_for_warp_size_vIXT1_EEEvE4typeEPT_S5_S5_, .Lfunc_end82-_Z33warp_inclusive_scan_reduce_kernelI12hip_bfloat16Lj64ELj4EENSt9enable_ifIXsr10test_utilsE35device_test_enabled_for_warp_size_vIXT1_EEEvE4typeEPT_S5_S5_
                                        ; -- End function
	.section	.AMDGPU.csdata,"",@progbits
; Kernel info:
; codeLenInByte = 784
; NumSgprs: 18
; NumVgprs: 12
; ScratchSize: 0
; MemoryBound: 0
; FloatMode: 240
; IeeeMode: 1
; LDSByteSize: 0 bytes/workgroup (compile time only)
; SGPRBlocks: 2
; VGPRBlocks: 1
; NumSGPRsForWavesPerEU: 18
; NumVGPRsForWavesPerEU: 12
; Occupancy: 16
; WaveLimiterHint : 0
; COMPUTE_PGM_RSRC2:SCRATCH_EN: 0
; COMPUTE_PGM_RSRC2:USER_SGPR: 15
; COMPUTE_PGM_RSRC2:TRAP_HANDLER: 0
; COMPUTE_PGM_RSRC2:TGID_X_EN: 1
; COMPUTE_PGM_RSRC2:TGID_Y_EN: 0
; COMPUTE_PGM_RSRC2:TGID_Z_EN: 0
; COMPUTE_PGM_RSRC2:TIDIG_COMP_CNT: 0
	.section	.text._Z33warp_inclusive_scan_reduce_kernelI12hip_bfloat16Lj32ELj2EENSt9enable_ifIXsr10test_utilsE35device_test_enabled_for_warp_size_vIXT1_EEEvE4typeEPT_S5_S5_,"axG",@progbits,_Z33warp_inclusive_scan_reduce_kernelI12hip_bfloat16Lj32ELj2EENSt9enable_ifIXsr10test_utilsE35device_test_enabled_for_warp_size_vIXT1_EEEvE4typeEPT_S5_S5_,comdat
	.protected	_Z33warp_inclusive_scan_reduce_kernelI12hip_bfloat16Lj32ELj2EENSt9enable_ifIXsr10test_utilsE35device_test_enabled_for_warp_size_vIXT1_EEEvE4typeEPT_S5_S5_ ; -- Begin function _Z33warp_inclusive_scan_reduce_kernelI12hip_bfloat16Lj32ELj2EENSt9enable_ifIXsr10test_utilsE35device_test_enabled_for_warp_size_vIXT1_EEEvE4typeEPT_S5_S5_
	.globl	_Z33warp_inclusive_scan_reduce_kernelI12hip_bfloat16Lj32ELj2EENSt9enable_ifIXsr10test_utilsE35device_test_enabled_for_warp_size_vIXT1_EEEvE4typeEPT_S5_S5_
	.p2align	8
	.type	_Z33warp_inclusive_scan_reduce_kernelI12hip_bfloat16Lj32ELj2EENSt9enable_ifIXsr10test_utilsE35device_test_enabled_for_warp_size_vIXT1_EEEvE4typeEPT_S5_S5_,@function
_Z33warp_inclusive_scan_reduce_kernelI12hip_bfloat16Lj32ELj2EENSt9enable_ifIXsr10test_utilsE35device_test_enabled_for_warp_size_vIXT1_EEEvE4typeEPT_S5_S5_: ; @_Z33warp_inclusive_scan_reduce_kernelI12hip_bfloat16Lj32ELj2EENSt9enable_ifIXsr10test_utilsE35device_test_enabled_for_warp_size_vIXT1_EEEvE4typeEPT_S5_S5_
; %bb.0:
	s_load_b128 s[4:7], s[0:1], 0x0
	v_mov_b32_e32 v2, 0
	v_lshl_or_b32 v1, s15, 5, v0
	s_load_b64 s[0:1], s[0:1], 0x10
	s_bitcmp1_b32 s15, 0
	s_cselect_b32 s2, -1, 0
	s_delay_alu instid0(VALU_DEP_1) | instskip(SKIP_1) | instid1(VALU_DEP_1)
	v_lshlrev_b64 v[2:3], 1, v[1:2]
	s_waitcnt lgkmcnt(0)
	v_add_co_u32 v4, vcc_lo, s4, v2
	s_delay_alu instid0(VALU_DEP_2) | instskip(SKIP_4) | instid1(VALU_DEP_1)
	v_add_co_ci_u32_e32 v5, vcc_lo, s5, v3, vcc_lo
	s_and_b32 vcc_lo, exec_lo, s2
	s_mov_b32 s2, -1
	global_load_u16 v4, v[4:5], off
	v_mbcnt_lo_u32_b32 v5, -1, 0
	v_and_b32_e32 v6, 1, v5
	s_waitcnt vmcnt(0)
	v_lshlrev_b32_e32 v7, 16, v4
	s_cbranch_vccz .LBB83_6
; %bb.1:
	v_mov_b32_dpp v8, v4 row_shr:1 row_mask:0xf bank_mask:0xf
	s_delay_alu instid0(VALU_DEP_1) | instskip(NEXT) | instid1(VALU_DEP_1)
	v_lshlrev_b32_e32 v8, 16, v8
	v_add_f32_e32 v8, v7, v8
	s_delay_alu instid0(VALU_DEP_1) | instskip(NEXT) | instid1(VALU_DEP_1)
	v_and_b32_e32 v9, 0x7f800000, v8
	v_cmp_ne_u32_e32 vcc_lo, 0x7f800000, v9
                                        ; implicit-def: $vgpr9
	s_and_saveexec_b32 s2, vcc_lo
	s_delay_alu instid0(SALU_CYCLE_1)
	s_xor_b32 s2, exec_lo, s2
; %bb.2:
	v_bfe_u32 v9, v8, 16, 1
	s_delay_alu instid0(VALU_DEP_1)
	v_add3_u32 v9, v8, v9, 0x7fff
                                        ; implicit-def: $vgpr8
; %bb.3:
	s_and_not1_saveexec_b32 s2, s2
; %bb.4:
	v_and_b32_e32 v9, 0xffff, v8
	v_or_b32_e32 v10, 0x10000, v8
	s_delay_alu instid0(VALU_DEP_2) | instskip(NEXT) | instid1(VALU_DEP_2)
	v_cmp_eq_u32_e32 vcc_lo, 0, v9
	v_cndmask_b32_e32 v9, v10, v8, vcc_lo
; %bb.5:
	s_or_b32 exec_lo, exec_lo, s2
	s_delay_alu instid0(VALU_DEP_1) | instskip(SKIP_2) | instid1(VALU_DEP_3)
	v_lshrrev_b32_e32 v8, 16, v9
	v_cmp_eq_u32_e32 vcc_lo, 0, v6
	v_lshl_or_b32 v10, v5, 2, 4
	v_cndmask_b32_e32 v9, v8, v4, vcc_lo
	v_cndmask_b32_e32 v8, v8, v4, vcc_lo
	ds_bpermute_b32 v8, v10, v8
	s_branch .LBB83_12
.LBB83_6:
                                        ; implicit-def: $vgpr9
                                        ; implicit-def: $vgpr8
	s_and_b32 vcc_lo, exec_lo, s2
	s_cbranch_vccz .LBB83_12
; %bb.7:
	s_waitcnt lgkmcnt(0)
	v_mov_b32_dpp v8, v4 row_shr:1 row_mask:0xf bank_mask:0xf
	s_delay_alu instid0(VALU_DEP_1) | instskip(NEXT) | instid1(VALU_DEP_1)
	v_lshlrev_b32_e32 v8, 16, v8
	v_add_f32_e32 v7, v7, v8
	s_delay_alu instid0(VALU_DEP_1) | instskip(NEXT) | instid1(VALU_DEP_1)
	v_and_b32_e32 v8, 0x7f800000, v7
	v_cmp_ne_u32_e32 vcc_lo, 0x7f800000, v8
                                        ; implicit-def: $vgpr8
	s_and_saveexec_b32 s2, vcc_lo
	s_delay_alu instid0(SALU_CYCLE_1)
	s_xor_b32 s2, exec_lo, s2
; %bb.8:
	v_bfe_u32 v8, v7, 16, 1
	s_delay_alu instid0(VALU_DEP_1)
	v_add3_u32 v8, v7, v8, 0x7fff
                                        ; implicit-def: $vgpr7
; %bb.9:
	s_and_not1_saveexec_b32 s2, s2
; %bb.10:
	v_and_b32_e32 v8, 0xffff, v7
	v_or_b32_e32 v9, 0x10000, v7
	s_delay_alu instid0(VALU_DEP_2) | instskip(NEXT) | instid1(VALU_DEP_2)
	v_cmp_eq_u32_e32 vcc_lo, 0, v8
	v_cndmask_b32_e32 v8, v9, v7, vcc_lo
; %bb.11:
	s_or_b32 exec_lo, exec_lo, s2
	s_delay_alu instid0(VALU_DEP_1) | instskip(SKIP_2) | instid1(VALU_DEP_3)
	v_lshrrev_b32_e32 v7, 16, v8
	v_cmp_eq_u32_e32 vcc_lo, 0, v6
	v_lshl_or_b32 v5, v5, 2, 4
	v_cndmask_b32_e32 v9, v7, v4, vcc_lo
	v_cndmask_b32_e32 v4, v7, v4, vcc_lo
	ds_bpermute_b32 v8, v5, v4
.LBB83_12:
	v_add_co_u32 v2, vcc_lo, s6, v2
	v_and_b32_e32 v0, 1, v0
	v_add_co_ci_u32_e32 v3, vcc_lo, s7, v3, vcc_lo
	s_mov_b32 s2, exec_lo
	global_store_b16 v[2:3], v9, off
	v_cmpx_eq_u32_e32 0, v0
	s_cbranch_execz .LBB83_14
; %bb.13:
	v_add_co_u32 v0, s0, s0, v1
	s_delay_alu instid0(VALU_DEP_1)
	v_add_co_ci_u32_e64 v1, null, s1, 0, s0
	s_waitcnt lgkmcnt(0)
	global_store_b16 v[0:1], v8, off
.LBB83_14:
	s_nop 0
	s_sendmsg sendmsg(MSG_DEALLOC_VGPRS)
	s_endpgm
	.section	.rodata,"a",@progbits
	.p2align	6, 0x0
	.amdhsa_kernel _Z33warp_inclusive_scan_reduce_kernelI12hip_bfloat16Lj32ELj2EENSt9enable_ifIXsr10test_utilsE35device_test_enabled_for_warp_size_vIXT1_EEEvE4typeEPT_S5_S5_
		.amdhsa_group_segment_fixed_size 0
		.amdhsa_private_segment_fixed_size 0
		.amdhsa_kernarg_size 24
		.amdhsa_user_sgpr_count 15
		.amdhsa_user_sgpr_dispatch_ptr 0
		.amdhsa_user_sgpr_queue_ptr 0
		.amdhsa_user_sgpr_kernarg_segment_ptr 1
		.amdhsa_user_sgpr_dispatch_id 0
		.amdhsa_user_sgpr_private_segment_size 0
		.amdhsa_wavefront_size32 1
		.amdhsa_uses_dynamic_stack 0
		.amdhsa_enable_private_segment 0
		.amdhsa_system_sgpr_workgroup_id_x 1
		.amdhsa_system_sgpr_workgroup_id_y 0
		.amdhsa_system_sgpr_workgroup_id_z 0
		.amdhsa_system_sgpr_workgroup_info 0
		.amdhsa_system_vgpr_workitem_id 0
		.amdhsa_next_free_vgpr 11
		.amdhsa_next_free_sgpr 16
		.amdhsa_reserve_vcc 1
		.amdhsa_float_round_mode_32 0
		.amdhsa_float_round_mode_16_64 0
		.amdhsa_float_denorm_mode_32 3
		.amdhsa_float_denorm_mode_16_64 3
		.amdhsa_dx10_clamp 1
		.amdhsa_ieee_mode 1
		.amdhsa_fp16_overflow 0
		.amdhsa_workgroup_processor_mode 1
		.amdhsa_memory_ordered 1
		.amdhsa_forward_progress 0
		.amdhsa_shared_vgpr_count 0
		.amdhsa_exception_fp_ieee_invalid_op 0
		.amdhsa_exception_fp_denorm_src 0
		.amdhsa_exception_fp_ieee_div_zero 0
		.amdhsa_exception_fp_ieee_overflow 0
		.amdhsa_exception_fp_ieee_underflow 0
		.amdhsa_exception_fp_ieee_inexact 0
		.amdhsa_exception_int_div_zero 0
	.end_amdhsa_kernel
	.section	.text._Z33warp_inclusive_scan_reduce_kernelI12hip_bfloat16Lj32ELj2EENSt9enable_ifIXsr10test_utilsE35device_test_enabled_for_warp_size_vIXT1_EEEvE4typeEPT_S5_S5_,"axG",@progbits,_Z33warp_inclusive_scan_reduce_kernelI12hip_bfloat16Lj32ELj2EENSt9enable_ifIXsr10test_utilsE35device_test_enabled_for_warp_size_vIXT1_EEEvE4typeEPT_S5_S5_,comdat
.Lfunc_end83:
	.size	_Z33warp_inclusive_scan_reduce_kernelI12hip_bfloat16Lj32ELj2EENSt9enable_ifIXsr10test_utilsE35device_test_enabled_for_warp_size_vIXT1_EEEvE4typeEPT_S5_S5_, .Lfunc_end83-_Z33warp_inclusive_scan_reduce_kernelI12hip_bfloat16Lj32ELj2EENSt9enable_ifIXsr10test_utilsE35device_test_enabled_for_warp_size_vIXT1_EEEvE4typeEPT_S5_S5_
                                        ; -- End function
	.section	.AMDGPU.csdata,"",@progbits
; Kernel info:
; codeLenInByte = 500
; NumSgprs: 18
; NumVgprs: 11
; ScratchSize: 0
; MemoryBound: 0
; FloatMode: 240
; IeeeMode: 1
; LDSByteSize: 0 bytes/workgroup (compile time only)
; SGPRBlocks: 2
; VGPRBlocks: 1
; NumSGPRsForWavesPerEU: 18
; NumVGPRsForWavesPerEU: 11
; Occupancy: 16
; WaveLimiterHint : 0
; COMPUTE_PGM_RSRC2:SCRATCH_EN: 0
; COMPUTE_PGM_RSRC2:USER_SGPR: 15
; COMPUTE_PGM_RSRC2:TRAP_HANDLER: 0
; COMPUTE_PGM_RSRC2:TGID_X_EN: 1
; COMPUTE_PGM_RSRC2:TGID_Y_EN: 0
; COMPUTE_PGM_RSRC2:TGID_Z_EN: 0
; COMPUTE_PGM_RSRC2:TIDIG_COMP_CNT: 0
	.section	.text._Z33warp_inclusive_scan_reduce_kernelI12hip_bfloat16Lj64ELj2EENSt9enable_ifIXsr10test_utilsE35device_test_enabled_for_warp_size_vIXT1_EEEvE4typeEPT_S5_S5_,"axG",@progbits,_Z33warp_inclusive_scan_reduce_kernelI12hip_bfloat16Lj64ELj2EENSt9enable_ifIXsr10test_utilsE35device_test_enabled_for_warp_size_vIXT1_EEEvE4typeEPT_S5_S5_,comdat
	.protected	_Z33warp_inclusive_scan_reduce_kernelI12hip_bfloat16Lj64ELj2EENSt9enable_ifIXsr10test_utilsE35device_test_enabled_for_warp_size_vIXT1_EEEvE4typeEPT_S5_S5_ ; -- Begin function _Z33warp_inclusive_scan_reduce_kernelI12hip_bfloat16Lj64ELj2EENSt9enable_ifIXsr10test_utilsE35device_test_enabled_for_warp_size_vIXT1_EEEvE4typeEPT_S5_S5_
	.globl	_Z33warp_inclusive_scan_reduce_kernelI12hip_bfloat16Lj64ELj2EENSt9enable_ifIXsr10test_utilsE35device_test_enabled_for_warp_size_vIXT1_EEEvE4typeEPT_S5_S5_
	.p2align	8
	.type	_Z33warp_inclusive_scan_reduce_kernelI12hip_bfloat16Lj64ELj2EENSt9enable_ifIXsr10test_utilsE35device_test_enabled_for_warp_size_vIXT1_EEEvE4typeEPT_S5_S5_,@function
_Z33warp_inclusive_scan_reduce_kernelI12hip_bfloat16Lj64ELj2EENSt9enable_ifIXsr10test_utilsE35device_test_enabled_for_warp_size_vIXT1_EEEvE4typeEPT_S5_S5_: ; @_Z33warp_inclusive_scan_reduce_kernelI12hip_bfloat16Lj64ELj2EENSt9enable_ifIXsr10test_utilsE35device_test_enabled_for_warp_size_vIXT1_EEEvE4typeEPT_S5_S5_
; %bb.0:
	s_load_b128 s[4:7], s[0:1], 0x0
	v_mov_b32_e32 v2, 0
	v_lshl_or_b32 v1, s15, 6, v0
	s_load_b64 s[0:1], s[0:1], 0x10
	s_bitcmp1_b32 s15, 0
	s_cselect_b32 s2, -1, 0
	s_delay_alu instid0(VALU_DEP_1) | instskip(SKIP_1) | instid1(VALU_DEP_1)
	v_lshlrev_b64 v[2:3], 1, v[1:2]
	s_waitcnt lgkmcnt(0)
	v_add_co_u32 v4, vcc_lo, s4, v2
	s_delay_alu instid0(VALU_DEP_2) | instskip(SKIP_4) | instid1(VALU_DEP_1)
	v_add_co_ci_u32_e32 v5, vcc_lo, s5, v3, vcc_lo
	s_and_b32 vcc_lo, exec_lo, s2
	s_mov_b32 s2, -1
	global_load_u16 v4, v[4:5], off
	v_mbcnt_lo_u32_b32 v5, -1, 0
	v_and_b32_e32 v6, 1, v5
	s_waitcnt vmcnt(0)
	v_lshlrev_b32_e32 v7, 16, v4
	s_cbranch_vccz .LBB84_6
; %bb.1:
	v_mov_b32_dpp v8, v4 row_shr:1 row_mask:0xf bank_mask:0xf
	s_delay_alu instid0(VALU_DEP_1) | instskip(NEXT) | instid1(VALU_DEP_1)
	v_lshlrev_b32_e32 v8, 16, v8
	v_add_f32_e32 v8, v7, v8
	s_delay_alu instid0(VALU_DEP_1) | instskip(NEXT) | instid1(VALU_DEP_1)
	v_and_b32_e32 v9, 0x7f800000, v8
	v_cmp_ne_u32_e32 vcc_lo, 0x7f800000, v9
                                        ; implicit-def: $vgpr9
	s_and_saveexec_b32 s2, vcc_lo
	s_delay_alu instid0(SALU_CYCLE_1)
	s_xor_b32 s2, exec_lo, s2
; %bb.2:
	v_bfe_u32 v9, v8, 16, 1
	s_delay_alu instid0(VALU_DEP_1)
	v_add3_u32 v9, v8, v9, 0x7fff
                                        ; implicit-def: $vgpr8
; %bb.3:
	s_and_not1_saveexec_b32 s2, s2
; %bb.4:
	v_and_b32_e32 v9, 0xffff, v8
	v_or_b32_e32 v10, 0x10000, v8
	s_delay_alu instid0(VALU_DEP_2) | instskip(NEXT) | instid1(VALU_DEP_2)
	v_cmp_eq_u32_e32 vcc_lo, 0, v9
	v_cndmask_b32_e32 v9, v10, v8, vcc_lo
; %bb.5:
	s_or_b32 exec_lo, exec_lo, s2
	s_delay_alu instid0(VALU_DEP_1) | instskip(SKIP_2) | instid1(VALU_DEP_3)
	v_lshrrev_b32_e32 v8, 16, v9
	v_cmp_eq_u32_e32 vcc_lo, 0, v6
	v_lshl_or_b32 v10, v5, 2, 4
	v_cndmask_b32_e32 v9, v8, v4, vcc_lo
	v_cndmask_b32_e32 v8, v8, v4, vcc_lo
	ds_bpermute_b32 v8, v10, v8
	s_branch .LBB84_12
.LBB84_6:
                                        ; implicit-def: $vgpr9
                                        ; implicit-def: $vgpr8
	s_and_b32 vcc_lo, exec_lo, s2
	s_cbranch_vccz .LBB84_12
; %bb.7:
	s_waitcnt lgkmcnt(0)
	v_mov_b32_dpp v8, v4 row_shr:1 row_mask:0xf bank_mask:0xf
	s_delay_alu instid0(VALU_DEP_1) | instskip(NEXT) | instid1(VALU_DEP_1)
	v_lshlrev_b32_e32 v8, 16, v8
	v_add_f32_e32 v7, v7, v8
	s_delay_alu instid0(VALU_DEP_1) | instskip(NEXT) | instid1(VALU_DEP_1)
	v_and_b32_e32 v8, 0x7f800000, v7
	v_cmp_ne_u32_e32 vcc_lo, 0x7f800000, v8
                                        ; implicit-def: $vgpr8
	s_and_saveexec_b32 s2, vcc_lo
	s_delay_alu instid0(SALU_CYCLE_1)
	s_xor_b32 s2, exec_lo, s2
; %bb.8:
	v_bfe_u32 v8, v7, 16, 1
	s_delay_alu instid0(VALU_DEP_1)
	v_add3_u32 v8, v7, v8, 0x7fff
                                        ; implicit-def: $vgpr7
; %bb.9:
	s_and_not1_saveexec_b32 s2, s2
; %bb.10:
	v_and_b32_e32 v8, 0xffff, v7
	v_or_b32_e32 v9, 0x10000, v7
	s_delay_alu instid0(VALU_DEP_2) | instskip(NEXT) | instid1(VALU_DEP_2)
	v_cmp_eq_u32_e32 vcc_lo, 0, v8
	v_cndmask_b32_e32 v8, v9, v7, vcc_lo
; %bb.11:
	s_or_b32 exec_lo, exec_lo, s2
	s_delay_alu instid0(VALU_DEP_1) | instskip(SKIP_2) | instid1(VALU_DEP_3)
	v_lshrrev_b32_e32 v7, 16, v8
	v_cmp_eq_u32_e32 vcc_lo, 0, v6
	v_lshl_or_b32 v5, v5, 2, 4
	v_cndmask_b32_e32 v9, v7, v4, vcc_lo
	v_cndmask_b32_e32 v4, v7, v4, vcc_lo
	ds_bpermute_b32 v8, v5, v4
.LBB84_12:
	v_add_co_u32 v2, vcc_lo, s6, v2
	v_and_b32_e32 v0, 1, v0
	v_add_co_ci_u32_e32 v3, vcc_lo, s7, v3, vcc_lo
	s_mov_b32 s2, exec_lo
	global_store_b16 v[2:3], v9, off
	v_cmpx_eq_u32_e32 0, v0
	s_cbranch_execz .LBB84_14
; %bb.13:
	v_add_co_u32 v0, s0, s0, v1
	s_delay_alu instid0(VALU_DEP_1)
	v_add_co_ci_u32_e64 v1, null, s1, 0, s0
	s_waitcnt lgkmcnt(0)
	global_store_b16 v[0:1], v8, off
.LBB84_14:
	s_nop 0
	s_sendmsg sendmsg(MSG_DEALLOC_VGPRS)
	s_endpgm
	.section	.rodata,"a",@progbits
	.p2align	6, 0x0
	.amdhsa_kernel _Z33warp_inclusive_scan_reduce_kernelI12hip_bfloat16Lj64ELj2EENSt9enable_ifIXsr10test_utilsE35device_test_enabled_for_warp_size_vIXT1_EEEvE4typeEPT_S5_S5_
		.amdhsa_group_segment_fixed_size 0
		.amdhsa_private_segment_fixed_size 0
		.amdhsa_kernarg_size 24
		.amdhsa_user_sgpr_count 15
		.amdhsa_user_sgpr_dispatch_ptr 0
		.amdhsa_user_sgpr_queue_ptr 0
		.amdhsa_user_sgpr_kernarg_segment_ptr 1
		.amdhsa_user_sgpr_dispatch_id 0
		.amdhsa_user_sgpr_private_segment_size 0
		.amdhsa_wavefront_size32 1
		.amdhsa_uses_dynamic_stack 0
		.amdhsa_enable_private_segment 0
		.amdhsa_system_sgpr_workgroup_id_x 1
		.amdhsa_system_sgpr_workgroup_id_y 0
		.amdhsa_system_sgpr_workgroup_id_z 0
		.amdhsa_system_sgpr_workgroup_info 0
		.amdhsa_system_vgpr_workitem_id 0
		.amdhsa_next_free_vgpr 11
		.amdhsa_next_free_sgpr 16
		.amdhsa_reserve_vcc 1
		.amdhsa_float_round_mode_32 0
		.amdhsa_float_round_mode_16_64 0
		.amdhsa_float_denorm_mode_32 3
		.amdhsa_float_denorm_mode_16_64 3
		.amdhsa_dx10_clamp 1
		.amdhsa_ieee_mode 1
		.amdhsa_fp16_overflow 0
		.amdhsa_workgroup_processor_mode 1
		.amdhsa_memory_ordered 1
		.amdhsa_forward_progress 0
		.amdhsa_shared_vgpr_count 0
		.amdhsa_exception_fp_ieee_invalid_op 0
		.amdhsa_exception_fp_denorm_src 0
		.amdhsa_exception_fp_ieee_div_zero 0
		.amdhsa_exception_fp_ieee_overflow 0
		.amdhsa_exception_fp_ieee_underflow 0
		.amdhsa_exception_fp_ieee_inexact 0
		.amdhsa_exception_int_div_zero 0
	.end_amdhsa_kernel
	.section	.text._Z33warp_inclusive_scan_reduce_kernelI12hip_bfloat16Lj64ELj2EENSt9enable_ifIXsr10test_utilsE35device_test_enabled_for_warp_size_vIXT1_EEEvE4typeEPT_S5_S5_,"axG",@progbits,_Z33warp_inclusive_scan_reduce_kernelI12hip_bfloat16Lj64ELj2EENSt9enable_ifIXsr10test_utilsE35device_test_enabled_for_warp_size_vIXT1_EEEvE4typeEPT_S5_S5_,comdat
.Lfunc_end84:
	.size	_Z33warp_inclusive_scan_reduce_kernelI12hip_bfloat16Lj64ELj2EENSt9enable_ifIXsr10test_utilsE35device_test_enabled_for_warp_size_vIXT1_EEEvE4typeEPT_S5_S5_, .Lfunc_end84-_Z33warp_inclusive_scan_reduce_kernelI12hip_bfloat16Lj64ELj2EENSt9enable_ifIXsr10test_utilsE35device_test_enabled_for_warp_size_vIXT1_EEEvE4typeEPT_S5_S5_
                                        ; -- End function
	.section	.AMDGPU.csdata,"",@progbits
; Kernel info:
; codeLenInByte = 500
; NumSgprs: 18
; NumVgprs: 11
; ScratchSize: 0
; MemoryBound: 0
; FloatMode: 240
; IeeeMode: 1
; LDSByteSize: 0 bytes/workgroup (compile time only)
; SGPRBlocks: 2
; VGPRBlocks: 1
; NumSGPRsForWavesPerEU: 18
; NumVGPRsForWavesPerEU: 11
; Occupancy: 16
; WaveLimiterHint : 0
; COMPUTE_PGM_RSRC2:SCRATCH_EN: 0
; COMPUTE_PGM_RSRC2:USER_SGPR: 15
; COMPUTE_PGM_RSRC2:TRAP_HANDLER: 0
; COMPUTE_PGM_RSRC2:TGID_X_EN: 1
; COMPUTE_PGM_RSRC2:TGID_Y_EN: 0
; COMPUTE_PGM_RSRC2:TGID_Z_EN: 0
; COMPUTE_PGM_RSRC2:TIDIG_COMP_CNT: 0
	.section	.text._Z33warp_inclusive_scan_reduce_kernelI6__halfLj256ELj64EENSt9enable_ifIXntsr10test_utilsE35device_test_enabled_for_warp_size_vIXT1_EEEvE4typeEPT_S5_S5_,"axG",@progbits,_Z33warp_inclusive_scan_reduce_kernelI6__halfLj256ELj64EENSt9enable_ifIXntsr10test_utilsE35device_test_enabled_for_warp_size_vIXT1_EEEvE4typeEPT_S5_S5_,comdat
	.protected	_Z33warp_inclusive_scan_reduce_kernelI6__halfLj256ELj64EENSt9enable_ifIXntsr10test_utilsE35device_test_enabled_for_warp_size_vIXT1_EEEvE4typeEPT_S5_S5_ ; -- Begin function _Z33warp_inclusive_scan_reduce_kernelI6__halfLj256ELj64EENSt9enable_ifIXntsr10test_utilsE35device_test_enabled_for_warp_size_vIXT1_EEEvE4typeEPT_S5_S5_
	.globl	_Z33warp_inclusive_scan_reduce_kernelI6__halfLj256ELj64EENSt9enable_ifIXntsr10test_utilsE35device_test_enabled_for_warp_size_vIXT1_EEEvE4typeEPT_S5_S5_
	.p2align	8
	.type	_Z33warp_inclusive_scan_reduce_kernelI6__halfLj256ELj64EENSt9enable_ifIXntsr10test_utilsE35device_test_enabled_for_warp_size_vIXT1_EEEvE4typeEPT_S5_S5_,@function
_Z33warp_inclusive_scan_reduce_kernelI6__halfLj256ELj64EENSt9enable_ifIXntsr10test_utilsE35device_test_enabled_for_warp_size_vIXT1_EEEvE4typeEPT_S5_S5_: ; @_Z33warp_inclusive_scan_reduce_kernelI6__halfLj256ELj64EENSt9enable_ifIXntsr10test_utilsE35device_test_enabled_for_warp_size_vIXT1_EEEvE4typeEPT_S5_S5_
; %bb.0:
	s_endpgm
	.section	.rodata,"a",@progbits
	.p2align	6, 0x0
	.amdhsa_kernel _Z33warp_inclusive_scan_reduce_kernelI6__halfLj256ELj64EENSt9enable_ifIXntsr10test_utilsE35device_test_enabled_for_warp_size_vIXT1_EEEvE4typeEPT_S5_S5_
		.amdhsa_group_segment_fixed_size 0
		.amdhsa_private_segment_fixed_size 0
		.amdhsa_kernarg_size 24
		.amdhsa_user_sgpr_count 15
		.amdhsa_user_sgpr_dispatch_ptr 0
		.amdhsa_user_sgpr_queue_ptr 0
		.amdhsa_user_sgpr_kernarg_segment_ptr 1
		.amdhsa_user_sgpr_dispatch_id 0
		.amdhsa_user_sgpr_private_segment_size 0
		.amdhsa_wavefront_size32 1
		.amdhsa_uses_dynamic_stack 0
		.amdhsa_enable_private_segment 0
		.amdhsa_system_sgpr_workgroup_id_x 1
		.amdhsa_system_sgpr_workgroup_id_y 0
		.amdhsa_system_sgpr_workgroup_id_z 0
		.amdhsa_system_sgpr_workgroup_info 0
		.amdhsa_system_vgpr_workitem_id 0
		.amdhsa_next_free_vgpr 1
		.amdhsa_next_free_sgpr 1
		.amdhsa_reserve_vcc 0
		.amdhsa_float_round_mode_32 0
		.amdhsa_float_round_mode_16_64 0
		.amdhsa_float_denorm_mode_32 3
		.amdhsa_float_denorm_mode_16_64 3
		.amdhsa_dx10_clamp 1
		.amdhsa_ieee_mode 1
		.amdhsa_fp16_overflow 0
		.amdhsa_workgroup_processor_mode 1
		.amdhsa_memory_ordered 1
		.amdhsa_forward_progress 0
		.amdhsa_shared_vgpr_count 0
		.amdhsa_exception_fp_ieee_invalid_op 0
		.amdhsa_exception_fp_denorm_src 0
		.amdhsa_exception_fp_ieee_div_zero 0
		.amdhsa_exception_fp_ieee_overflow 0
		.amdhsa_exception_fp_ieee_underflow 0
		.amdhsa_exception_fp_ieee_inexact 0
		.amdhsa_exception_int_div_zero 0
	.end_amdhsa_kernel
	.section	.text._Z33warp_inclusive_scan_reduce_kernelI6__halfLj256ELj64EENSt9enable_ifIXntsr10test_utilsE35device_test_enabled_for_warp_size_vIXT1_EEEvE4typeEPT_S5_S5_,"axG",@progbits,_Z33warp_inclusive_scan_reduce_kernelI6__halfLj256ELj64EENSt9enable_ifIXntsr10test_utilsE35device_test_enabled_for_warp_size_vIXT1_EEEvE4typeEPT_S5_S5_,comdat
.Lfunc_end85:
	.size	_Z33warp_inclusive_scan_reduce_kernelI6__halfLj256ELj64EENSt9enable_ifIXntsr10test_utilsE35device_test_enabled_for_warp_size_vIXT1_EEEvE4typeEPT_S5_S5_, .Lfunc_end85-_Z33warp_inclusive_scan_reduce_kernelI6__halfLj256ELj64EENSt9enable_ifIXntsr10test_utilsE35device_test_enabled_for_warp_size_vIXT1_EEEvE4typeEPT_S5_S5_
                                        ; -- End function
	.section	.AMDGPU.csdata,"",@progbits
; Kernel info:
; codeLenInByte = 4
; NumSgprs: 0
; NumVgprs: 0
; ScratchSize: 0
; MemoryBound: 0
; FloatMode: 240
; IeeeMode: 1
; LDSByteSize: 0 bytes/workgroup (compile time only)
; SGPRBlocks: 0
; VGPRBlocks: 0
; NumSGPRsForWavesPerEU: 1
; NumVGPRsForWavesPerEU: 1
; Occupancy: 16
; WaveLimiterHint : 0
; COMPUTE_PGM_RSRC2:SCRATCH_EN: 0
; COMPUTE_PGM_RSRC2:USER_SGPR: 15
; COMPUTE_PGM_RSRC2:TRAP_HANDLER: 0
; COMPUTE_PGM_RSRC2:TGID_X_EN: 1
; COMPUTE_PGM_RSRC2:TGID_Y_EN: 0
; COMPUTE_PGM_RSRC2:TGID_Z_EN: 0
; COMPUTE_PGM_RSRC2:TIDIG_COMP_CNT: 0
	.section	.text._Z33warp_inclusive_scan_reduce_kernelI6__halfLj128ELj32EENSt9enable_ifIXsr10test_utilsE35device_test_enabled_for_warp_size_vIXT1_EEEvE4typeEPT_S5_S5_,"axG",@progbits,_Z33warp_inclusive_scan_reduce_kernelI6__halfLj128ELj32EENSt9enable_ifIXsr10test_utilsE35device_test_enabled_for_warp_size_vIXT1_EEEvE4typeEPT_S5_S5_,comdat
	.protected	_Z33warp_inclusive_scan_reduce_kernelI6__halfLj128ELj32EENSt9enable_ifIXsr10test_utilsE35device_test_enabled_for_warp_size_vIXT1_EEEvE4typeEPT_S5_S5_ ; -- Begin function _Z33warp_inclusive_scan_reduce_kernelI6__halfLj128ELj32EENSt9enable_ifIXsr10test_utilsE35device_test_enabled_for_warp_size_vIXT1_EEEvE4typeEPT_S5_S5_
	.globl	_Z33warp_inclusive_scan_reduce_kernelI6__halfLj128ELj32EENSt9enable_ifIXsr10test_utilsE35device_test_enabled_for_warp_size_vIXT1_EEEvE4typeEPT_S5_S5_
	.p2align	8
	.type	_Z33warp_inclusive_scan_reduce_kernelI6__halfLj128ELj32EENSt9enable_ifIXsr10test_utilsE35device_test_enabled_for_warp_size_vIXT1_EEEvE4typeEPT_S5_S5_,@function
_Z33warp_inclusive_scan_reduce_kernelI6__halfLj128ELj32EENSt9enable_ifIXsr10test_utilsE35device_test_enabled_for_warp_size_vIXT1_EEEvE4typeEPT_S5_S5_: ; @_Z33warp_inclusive_scan_reduce_kernelI6__halfLj128ELj32EENSt9enable_ifIXsr10test_utilsE35device_test_enabled_for_warp_size_vIXT1_EEEvE4typeEPT_S5_S5_
; %bb.0:
	s_clause 0x1
	s_load_b128 s[4:7], s[0:1], 0x0
	s_load_b64 s[8:9], s[0:1], 0x10
	v_lshl_or_b32 v1, s15, 7, v0
	v_mbcnt_lo_u32_b32 v7, -1, 0
	v_mov_b32_e32 v2, 0
	s_bitcmp1_b32 s15, 0
	s_cselect_b32 s0, -1, 0
	s_delay_alu instid0(VALU_DEP_1) | instskip(SKIP_1) | instid1(VALU_DEP_1)
	v_lshlrev_b64 v[3:4], 1, v[1:2]
	s_waitcnt lgkmcnt(0)
	v_add_co_u32 v5, vcc_lo, s4, v3
	s_delay_alu instid0(VALU_DEP_2)
	v_add_co_ci_u32_e32 v6, vcc_lo, s5, v4, vcc_lo
	s_and_b32 vcc_lo, exec_lo, s0
	s_mov_b32 s4, -1
	global_load_u16 v6, v[5:6], off
	v_and_b32_e32 v5, 15, v7
	v_and_b32_e32 v7, 16, v7
	s_delay_alu instid0(VALU_DEP_2)
	v_cmp_eq_u32_e64 s2, 0, v5
	v_cmp_lt_u32_e64 s1, 1, v5
	v_cmp_lt_u32_e64 s0, 3, v5
	;; [unrolled: 1-line block ×3, first 2 shown]
	s_waitcnt vmcnt(0)
	v_and_b32_e32 v8, 0xffff, v6
	s_cbranch_vccz .LBB86_2
; %bb.1:
	s_delay_alu instid0(VALU_DEP_1) | instskip(SKIP_1) | instid1(VALU_DEP_2)
	v_mov_b32_dpp v9, v8 row_shr:1 row_mask:0xf bank_mask:0xf
	v_cmp_eq_u32_e32 vcc_lo, 0, v7
	v_add_f16_e32 v9, v6, v9
	s_delay_alu instid0(VALU_DEP_1) | instskip(NEXT) | instid1(VALU_DEP_1)
	v_cndmask_b32_e64 v9, v9, v6, s2
	v_and_b32_e32 v10, 0xffff, v9
	s_delay_alu instid0(VALU_DEP_1) | instskip(NEXT) | instid1(VALU_DEP_1)
	v_mov_b32_dpp v10, v10 row_shr:2 row_mask:0xf bank_mask:0xf
	v_add_f16_e32 v10, v9, v10
	s_delay_alu instid0(VALU_DEP_1) | instskip(NEXT) | instid1(VALU_DEP_1)
	v_cndmask_b32_e64 v9, v9, v10, s1
	v_and_b32_e32 v10, 0xffff, v9
	s_delay_alu instid0(VALU_DEP_1) | instskip(NEXT) | instid1(VALU_DEP_1)
	v_mov_b32_dpp v10, v10 row_shr:4 row_mask:0xf bank_mask:0xf
	;; [unrolled: 6-line block ×3, first 2 shown]
	v_add_f16_e32 v10, v9, v10
	s_delay_alu instid0(VALU_DEP_1) | instskip(NEXT) | instid1(VALU_DEP_1)
	v_cndmask_b32_e64 v9, v9, v10, s3
	v_and_b32_e32 v10, 0xffff, v9
	ds_swizzle_b32 v10, v10 offset:swizzle(BROADCAST,32,15)
	s_waitcnt lgkmcnt(0)
	v_add_f16_e32 v10, v9, v10
	s_delay_alu instid0(VALU_DEP_1) | instskip(NEXT) | instid1(VALU_DEP_1)
	v_cndmask_b32_e32 v9, v10, v9, vcc_lo
	v_and_b32_e32 v10, 0xffff, v9
	ds_bpermute_b32 v2, v2, v10 offset:124
	s_cbranch_execz .LBB86_3
	s_branch .LBB86_4
.LBB86_2:
                                        ; implicit-def: $vgpr9
                                        ; implicit-def: $vgpr2
	s_and_not1_b32 vcc_lo, exec_lo, s4
	s_cbranch_vccnz .LBB86_4
.LBB86_3:
	s_waitcnt lgkmcnt(0)
	v_mov_b32_dpp v2, v8 row_shr:1 row_mask:0xf bank_mask:0xf
	v_cmp_lt_u32_e32 vcc_lo, 7, v5
	s_delay_alu instid0(VALU_DEP_2) | instskip(NEXT) | instid1(VALU_DEP_1)
	v_add_f16_e32 v2, v6, v2
	v_cndmask_b32_e64 v2, v2, v6, s2
	s_delay_alu instid0(VALU_DEP_1) | instskip(NEXT) | instid1(VALU_DEP_1)
	v_and_b32_e32 v6, 0xffff, v2
	v_mov_b32_dpp v6, v6 row_shr:2 row_mask:0xf bank_mask:0xf
	s_delay_alu instid0(VALU_DEP_1) | instskip(NEXT) | instid1(VALU_DEP_1)
	v_add_f16_e32 v6, v2, v6
	v_cndmask_b32_e64 v2, v2, v6, s1
	s_delay_alu instid0(VALU_DEP_1) | instskip(NEXT) | instid1(VALU_DEP_1)
	v_and_b32_e32 v6, 0xffff, v2
	v_mov_b32_dpp v6, v6 row_shr:4 row_mask:0xf bank_mask:0xf
	s_delay_alu instid0(VALU_DEP_1) | instskip(NEXT) | instid1(VALU_DEP_1)
	;; [unrolled: 6-line block ×3, first 2 shown]
	v_add_f16_e32 v6, v2, v6
	v_cndmask_b32_e32 v2, v2, v6, vcc_lo
	v_cmp_eq_u32_e32 vcc_lo, 0, v7
	s_delay_alu instid0(VALU_DEP_2) | instskip(SKIP_3) | instid1(VALU_DEP_1)
	v_and_b32_e32 v5, 0xffff, v2
	ds_swizzle_b32 v5, v5 offset:swizzle(BROADCAST,32,15)
	s_waitcnt lgkmcnt(0)
	v_add_f16_e32 v5, v2, v5
	v_cndmask_b32_e32 v9, v5, v2, vcc_lo
	s_delay_alu instid0(VALU_DEP_1)
	v_dual_mov_b32 v5, 0 :: v_dual_and_b32 v2, 0xffff, v9
	ds_bpermute_b32 v2, v5, v2 offset:124
.LBB86_4:
	v_add_co_u32 v3, vcc_lo, s6, v3
	v_and_b32_e32 v0, 31, v0
	v_add_co_ci_u32_e32 v4, vcc_lo, s7, v4, vcc_lo
	s_mov_b32 s0, exec_lo
	global_store_b16 v[3:4], v9, off
	v_cmpx_eq_u32_e32 0, v0
	s_cbranch_execz .LBB86_6
; %bb.5:
	v_lshrrev_b32_e32 v0, 4, v1
	s_waitcnt lgkmcnt(0)
	global_store_b16 v0, v2, s[8:9]
.LBB86_6:
	s_nop 0
	s_sendmsg sendmsg(MSG_DEALLOC_VGPRS)
	s_endpgm
	.section	.rodata,"a",@progbits
	.p2align	6, 0x0
	.amdhsa_kernel _Z33warp_inclusive_scan_reduce_kernelI6__halfLj128ELj32EENSt9enable_ifIXsr10test_utilsE35device_test_enabled_for_warp_size_vIXT1_EEEvE4typeEPT_S5_S5_
		.amdhsa_group_segment_fixed_size 0
		.amdhsa_private_segment_fixed_size 0
		.amdhsa_kernarg_size 24
		.amdhsa_user_sgpr_count 15
		.amdhsa_user_sgpr_dispatch_ptr 0
		.amdhsa_user_sgpr_queue_ptr 0
		.amdhsa_user_sgpr_kernarg_segment_ptr 1
		.amdhsa_user_sgpr_dispatch_id 0
		.amdhsa_user_sgpr_private_segment_size 0
		.amdhsa_wavefront_size32 1
		.amdhsa_uses_dynamic_stack 0
		.amdhsa_enable_private_segment 0
		.amdhsa_system_sgpr_workgroup_id_x 1
		.amdhsa_system_sgpr_workgroup_id_y 0
		.amdhsa_system_sgpr_workgroup_id_z 0
		.amdhsa_system_sgpr_workgroup_info 0
		.amdhsa_system_vgpr_workitem_id 0
		.amdhsa_next_free_vgpr 11
		.amdhsa_next_free_sgpr 16
		.amdhsa_reserve_vcc 1
		.amdhsa_float_round_mode_32 0
		.amdhsa_float_round_mode_16_64 0
		.amdhsa_float_denorm_mode_32 3
		.amdhsa_float_denorm_mode_16_64 3
		.amdhsa_dx10_clamp 1
		.amdhsa_ieee_mode 1
		.amdhsa_fp16_overflow 0
		.amdhsa_workgroup_processor_mode 1
		.amdhsa_memory_ordered 1
		.amdhsa_forward_progress 0
		.amdhsa_shared_vgpr_count 0
		.amdhsa_exception_fp_ieee_invalid_op 0
		.amdhsa_exception_fp_denorm_src 0
		.amdhsa_exception_fp_ieee_div_zero 0
		.amdhsa_exception_fp_ieee_overflow 0
		.amdhsa_exception_fp_ieee_underflow 0
		.amdhsa_exception_fp_ieee_inexact 0
		.amdhsa_exception_int_div_zero 0
	.end_amdhsa_kernel
	.section	.text._Z33warp_inclusive_scan_reduce_kernelI6__halfLj128ELj32EENSt9enable_ifIXsr10test_utilsE35device_test_enabled_for_warp_size_vIXT1_EEEvE4typeEPT_S5_S5_,"axG",@progbits,_Z33warp_inclusive_scan_reduce_kernelI6__halfLj128ELj32EENSt9enable_ifIXsr10test_utilsE35device_test_enabled_for_warp_size_vIXT1_EEEvE4typeEPT_S5_S5_,comdat
.Lfunc_end86:
	.size	_Z33warp_inclusive_scan_reduce_kernelI6__halfLj128ELj32EENSt9enable_ifIXsr10test_utilsE35device_test_enabled_for_warp_size_vIXT1_EEEvE4typeEPT_S5_S5_, .Lfunc_end86-_Z33warp_inclusive_scan_reduce_kernelI6__halfLj128ELj32EENSt9enable_ifIXsr10test_utilsE35device_test_enabled_for_warp_size_vIXT1_EEEvE4typeEPT_S5_S5_
                                        ; -- End function
	.section	.AMDGPU.csdata,"",@progbits
; Kernel info:
; codeLenInByte = 620
; NumSgprs: 18
; NumVgprs: 11
; ScratchSize: 0
; MemoryBound: 0
; FloatMode: 240
; IeeeMode: 1
; LDSByteSize: 0 bytes/workgroup (compile time only)
; SGPRBlocks: 2
; VGPRBlocks: 1
; NumSGPRsForWavesPerEU: 18
; NumVGPRsForWavesPerEU: 11
; Occupancy: 16
; WaveLimiterHint : 0
; COMPUTE_PGM_RSRC2:SCRATCH_EN: 0
; COMPUTE_PGM_RSRC2:USER_SGPR: 15
; COMPUTE_PGM_RSRC2:TRAP_HANDLER: 0
; COMPUTE_PGM_RSRC2:TGID_X_EN: 1
; COMPUTE_PGM_RSRC2:TGID_Y_EN: 0
; COMPUTE_PGM_RSRC2:TGID_Z_EN: 0
; COMPUTE_PGM_RSRC2:TIDIG_COMP_CNT: 0
	.section	.text._Z33warp_inclusive_scan_reduce_kernelI6__halfLj64ELj16EENSt9enable_ifIXsr10test_utilsE35device_test_enabled_for_warp_size_vIXT1_EEEvE4typeEPT_S5_S5_,"axG",@progbits,_Z33warp_inclusive_scan_reduce_kernelI6__halfLj64ELj16EENSt9enable_ifIXsr10test_utilsE35device_test_enabled_for_warp_size_vIXT1_EEEvE4typeEPT_S5_S5_,comdat
	.protected	_Z33warp_inclusive_scan_reduce_kernelI6__halfLj64ELj16EENSt9enable_ifIXsr10test_utilsE35device_test_enabled_for_warp_size_vIXT1_EEEvE4typeEPT_S5_S5_ ; -- Begin function _Z33warp_inclusive_scan_reduce_kernelI6__halfLj64ELj16EENSt9enable_ifIXsr10test_utilsE35device_test_enabled_for_warp_size_vIXT1_EEEvE4typeEPT_S5_S5_
	.globl	_Z33warp_inclusive_scan_reduce_kernelI6__halfLj64ELj16EENSt9enable_ifIXsr10test_utilsE35device_test_enabled_for_warp_size_vIXT1_EEEvE4typeEPT_S5_S5_
	.p2align	8
	.type	_Z33warp_inclusive_scan_reduce_kernelI6__halfLj64ELj16EENSt9enable_ifIXsr10test_utilsE35device_test_enabled_for_warp_size_vIXT1_EEEvE4typeEPT_S5_S5_,@function
_Z33warp_inclusive_scan_reduce_kernelI6__halfLj64ELj16EENSt9enable_ifIXsr10test_utilsE35device_test_enabled_for_warp_size_vIXT1_EEEvE4typeEPT_S5_S5_: ; @_Z33warp_inclusive_scan_reduce_kernelI6__halfLj64ELj16EENSt9enable_ifIXsr10test_utilsE35device_test_enabled_for_warp_size_vIXT1_EEEvE4typeEPT_S5_S5_
; %bb.0:
	s_clause 0x1
	s_load_b128 s[4:7], s[0:1], 0x0
	s_load_b64 s[8:9], s[0:1], 0x10
	v_mov_b32_e32 v2, 0
	v_lshl_or_b32 v1, s15, 6, v0
	v_mbcnt_lo_u32_b32 v6, -1, 0
	s_bitcmp1_b32 s15, 0
	s_cselect_b32 s0, -1, 0
	s_delay_alu instid0(VALU_DEP_2) | instskip(SKIP_1) | instid1(VALU_DEP_1)
	v_lshlrev_b64 v[2:3], 1, v[1:2]
	s_waitcnt lgkmcnt(0)
	v_add_co_u32 v4, vcc_lo, s4, v2
	s_delay_alu instid0(VALU_DEP_2)
	v_add_co_ci_u32_e32 v5, vcc_lo, s5, v3, vcc_lo
	s_and_b32 vcc_lo, exec_lo, s0
	s_mov_b32 s4, -1
	global_load_u16 v5, v[4:5], off
	v_and_b32_e32 v4, 15, v6
	v_lshl_or_b32 v6, v6, 2, 60
	s_delay_alu instid0(VALU_DEP_2)
	v_cmp_eq_u32_e64 s2, 0, v4
	v_cmp_lt_u32_e64 s1, 1, v4
	v_cmp_lt_u32_e64 s0, 3, v4
	;; [unrolled: 1-line block ×3, first 2 shown]
	s_waitcnt vmcnt(0)
	v_and_b32_e32 v8, 0xffff, v5
	s_cbranch_vccz .LBB87_2
; %bb.1:
	s_delay_alu instid0(VALU_DEP_1) | instskip(NEXT) | instid1(VALU_DEP_1)
	v_mov_b32_dpp v7, v8 row_shr:1 row_mask:0xf bank_mask:0xf
	v_add_f16_e32 v7, v5, v7
	s_delay_alu instid0(VALU_DEP_1) | instskip(NEXT) | instid1(VALU_DEP_1)
	v_cndmask_b32_e64 v7, v7, v5, s2
	v_and_b32_e32 v9, 0xffff, v7
	s_delay_alu instid0(VALU_DEP_1) | instskip(NEXT) | instid1(VALU_DEP_1)
	v_mov_b32_dpp v9, v9 row_shr:2 row_mask:0xf bank_mask:0xf
	v_add_f16_e32 v9, v7, v9
	s_delay_alu instid0(VALU_DEP_1) | instskip(NEXT) | instid1(VALU_DEP_1)
	v_cndmask_b32_e64 v7, v7, v9, s1
	v_and_b32_e32 v9, 0xffff, v7
	;; [unrolled: 6-line block ×4, first 2 shown]
	ds_bpermute_b32 v7, v6, v7
	s_cbranch_execz .LBB87_3
	s_branch .LBB87_4
.LBB87_2:
                                        ; implicit-def: $vgpr9
                                        ; implicit-def: $vgpr7
	s_and_not1_b32 vcc_lo, exec_lo, s4
	s_cbranch_vccnz .LBB87_4
.LBB87_3:
	s_waitcnt lgkmcnt(0)
	v_mov_b32_dpp v7, v8 row_shr:1 row_mask:0xf bank_mask:0xf
	v_cmp_lt_u32_e32 vcc_lo, 7, v4
	s_delay_alu instid0(VALU_DEP_2) | instskip(NEXT) | instid1(VALU_DEP_1)
	v_add_f16_e32 v7, v5, v7
	v_cndmask_b32_e64 v5, v7, v5, s2
	s_delay_alu instid0(VALU_DEP_1) | instskip(NEXT) | instid1(VALU_DEP_1)
	v_and_b32_e32 v7, 0xffff, v5
	v_mov_b32_dpp v7, v7 row_shr:2 row_mask:0xf bank_mask:0xf
	s_delay_alu instid0(VALU_DEP_1) | instskip(NEXT) | instid1(VALU_DEP_1)
	v_add_f16_e32 v7, v5, v7
	v_cndmask_b32_e64 v5, v5, v7, s1
	s_delay_alu instid0(VALU_DEP_1) | instskip(NEXT) | instid1(VALU_DEP_1)
	v_and_b32_e32 v7, 0xffff, v5
	v_mov_b32_dpp v7, v7 row_shr:4 row_mask:0xf bank_mask:0xf
	s_delay_alu instid0(VALU_DEP_1) | instskip(NEXT) | instid1(VALU_DEP_1)
	;; [unrolled: 6-line block ×3, first 2 shown]
	v_add_f16_e32 v7, v5, v7
	v_cndmask_b32_e32 v9, v5, v7, vcc_lo
	s_delay_alu instid0(VALU_DEP_1)
	v_and_b32_e32 v4, 0xffff, v9
	ds_bpermute_b32 v7, v6, v4
.LBB87_4:
	v_add_co_u32 v2, vcc_lo, s6, v2
	v_and_b32_e32 v0, 15, v0
	v_add_co_ci_u32_e32 v3, vcc_lo, s7, v3, vcc_lo
	s_mov_b32 s0, exec_lo
	global_store_b16 v[2:3], v9, off
	v_cmpx_eq_u32_e32 0, v0
	s_cbranch_execz .LBB87_6
; %bb.5:
	v_lshrrev_b32_e32 v0, 3, v1
	s_waitcnt lgkmcnt(0)
	global_store_b16 v0, v7, s[8:9]
.LBB87_6:
	s_nop 0
	s_sendmsg sendmsg(MSG_DEALLOC_VGPRS)
	s_endpgm
	.section	.rodata,"a",@progbits
	.p2align	6, 0x0
	.amdhsa_kernel _Z33warp_inclusive_scan_reduce_kernelI6__halfLj64ELj16EENSt9enable_ifIXsr10test_utilsE35device_test_enabled_for_warp_size_vIXT1_EEEvE4typeEPT_S5_S5_
		.amdhsa_group_segment_fixed_size 0
		.amdhsa_private_segment_fixed_size 0
		.amdhsa_kernarg_size 24
		.amdhsa_user_sgpr_count 15
		.amdhsa_user_sgpr_dispatch_ptr 0
		.amdhsa_user_sgpr_queue_ptr 0
		.amdhsa_user_sgpr_kernarg_segment_ptr 1
		.amdhsa_user_sgpr_dispatch_id 0
		.amdhsa_user_sgpr_private_segment_size 0
		.amdhsa_wavefront_size32 1
		.amdhsa_uses_dynamic_stack 0
		.amdhsa_enable_private_segment 0
		.amdhsa_system_sgpr_workgroup_id_x 1
		.amdhsa_system_sgpr_workgroup_id_y 0
		.amdhsa_system_sgpr_workgroup_id_z 0
		.amdhsa_system_sgpr_workgroup_info 0
		.amdhsa_system_vgpr_workitem_id 0
		.amdhsa_next_free_vgpr 10
		.amdhsa_next_free_sgpr 16
		.amdhsa_reserve_vcc 1
		.amdhsa_float_round_mode_32 0
		.amdhsa_float_round_mode_16_64 0
		.amdhsa_float_denorm_mode_32 3
		.amdhsa_float_denorm_mode_16_64 3
		.amdhsa_dx10_clamp 1
		.amdhsa_ieee_mode 1
		.amdhsa_fp16_overflow 0
		.amdhsa_workgroup_processor_mode 1
		.amdhsa_memory_ordered 1
		.amdhsa_forward_progress 0
		.amdhsa_shared_vgpr_count 0
		.amdhsa_exception_fp_ieee_invalid_op 0
		.amdhsa_exception_fp_denorm_src 0
		.amdhsa_exception_fp_ieee_div_zero 0
		.amdhsa_exception_fp_ieee_overflow 0
		.amdhsa_exception_fp_ieee_underflow 0
		.amdhsa_exception_fp_ieee_inexact 0
		.amdhsa_exception_int_div_zero 0
	.end_amdhsa_kernel
	.section	.text._Z33warp_inclusive_scan_reduce_kernelI6__halfLj64ELj16EENSt9enable_ifIXsr10test_utilsE35device_test_enabled_for_warp_size_vIXT1_EEEvE4typeEPT_S5_S5_,"axG",@progbits,_Z33warp_inclusive_scan_reduce_kernelI6__halfLj64ELj16EENSt9enable_ifIXsr10test_utilsE35device_test_enabled_for_warp_size_vIXT1_EEEvE4typeEPT_S5_S5_,comdat
.Lfunc_end87:
	.size	_Z33warp_inclusive_scan_reduce_kernelI6__halfLj64ELj16EENSt9enable_ifIXsr10test_utilsE35device_test_enabled_for_warp_size_vIXT1_EEEvE4typeEPT_S5_S5_, .Lfunc_end87-_Z33warp_inclusive_scan_reduce_kernelI6__halfLj64ELj16EENSt9enable_ifIXsr10test_utilsE35device_test_enabled_for_warp_size_vIXT1_EEEvE4typeEPT_S5_S5_
                                        ; -- End function
	.section	.AMDGPU.csdata,"",@progbits
; Kernel info:
; codeLenInByte = 548
; NumSgprs: 18
; NumVgprs: 10
; ScratchSize: 0
; MemoryBound: 0
; FloatMode: 240
; IeeeMode: 1
; LDSByteSize: 0 bytes/workgroup (compile time only)
; SGPRBlocks: 2
; VGPRBlocks: 1
; NumSGPRsForWavesPerEU: 18
; NumVGPRsForWavesPerEU: 10
; Occupancy: 16
; WaveLimiterHint : 0
; COMPUTE_PGM_RSRC2:SCRATCH_EN: 0
; COMPUTE_PGM_RSRC2:USER_SGPR: 15
; COMPUTE_PGM_RSRC2:TRAP_HANDLER: 0
; COMPUTE_PGM_RSRC2:TGID_X_EN: 1
; COMPUTE_PGM_RSRC2:TGID_Y_EN: 0
; COMPUTE_PGM_RSRC2:TGID_Z_EN: 0
; COMPUTE_PGM_RSRC2:TIDIG_COMP_CNT: 0
	.section	.text._Z33warp_inclusive_scan_reduce_kernelI6__halfLj32ELj8EENSt9enable_ifIXsr10test_utilsE35device_test_enabled_for_warp_size_vIXT1_EEEvE4typeEPT_S5_S5_,"axG",@progbits,_Z33warp_inclusive_scan_reduce_kernelI6__halfLj32ELj8EENSt9enable_ifIXsr10test_utilsE35device_test_enabled_for_warp_size_vIXT1_EEEvE4typeEPT_S5_S5_,comdat
	.protected	_Z33warp_inclusive_scan_reduce_kernelI6__halfLj32ELj8EENSt9enable_ifIXsr10test_utilsE35device_test_enabled_for_warp_size_vIXT1_EEEvE4typeEPT_S5_S5_ ; -- Begin function _Z33warp_inclusive_scan_reduce_kernelI6__halfLj32ELj8EENSt9enable_ifIXsr10test_utilsE35device_test_enabled_for_warp_size_vIXT1_EEEvE4typeEPT_S5_S5_
	.globl	_Z33warp_inclusive_scan_reduce_kernelI6__halfLj32ELj8EENSt9enable_ifIXsr10test_utilsE35device_test_enabled_for_warp_size_vIXT1_EEEvE4typeEPT_S5_S5_
	.p2align	8
	.type	_Z33warp_inclusive_scan_reduce_kernelI6__halfLj32ELj8EENSt9enable_ifIXsr10test_utilsE35device_test_enabled_for_warp_size_vIXT1_EEEvE4typeEPT_S5_S5_,@function
_Z33warp_inclusive_scan_reduce_kernelI6__halfLj32ELj8EENSt9enable_ifIXsr10test_utilsE35device_test_enabled_for_warp_size_vIXT1_EEEvE4typeEPT_S5_S5_: ; @_Z33warp_inclusive_scan_reduce_kernelI6__halfLj32ELj8EENSt9enable_ifIXsr10test_utilsE35device_test_enabled_for_warp_size_vIXT1_EEEvE4typeEPT_S5_S5_
; %bb.0:
	s_clause 0x1
	s_load_b128 s[4:7], s[0:1], 0x0
	s_load_b64 s[8:9], s[0:1], 0x10
	v_mov_b32_e32 v2, 0
	v_lshl_or_b32 v1, s15, 5, v0
	s_bitcmp1_b32 s15, 0
	s_mov_b32 s3, -1
	s_cselect_b32 s0, -1, 0
	s_delay_alu instid0(VALU_DEP_1) | instskip(SKIP_1) | instid1(VALU_DEP_1)
	v_lshlrev_b64 v[2:3], 1, v[1:2]
	s_waitcnt lgkmcnt(0)
	v_add_co_u32 v4, vcc_lo, s4, v2
	s_delay_alu instid0(VALU_DEP_2) | instskip(SKIP_3) | instid1(VALU_DEP_1)
	v_add_co_ci_u32_e32 v5, vcc_lo, s5, v3, vcc_lo
	s_and_b32 vcc_lo, exec_lo, s0
	global_load_u16 v4, v[4:5], off
	v_mbcnt_lo_u32_b32 v5, -1, 0
	v_and_b32_e32 v6, 7, v5
	v_lshl_or_b32 v5, v5, 2, 28
	s_delay_alu instid0(VALU_DEP_2)
	v_cmp_eq_u32_e64 s2, 0, v6
	v_cmp_lt_u32_e64 s1, 1, v6
	v_cmp_lt_u32_e64 s0, 3, v6
	s_waitcnt vmcnt(0)
	v_and_b32_e32 v7, 0xffff, v4
	s_cbranch_vccz .LBB88_2
; %bb.1:
	s_delay_alu instid0(VALU_DEP_1) | instskip(NEXT) | instid1(VALU_DEP_1)
	v_mov_b32_dpp v6, v7 row_shr:1 row_mask:0xf bank_mask:0xf
	v_add_f16_e32 v6, v4, v6
	s_delay_alu instid0(VALU_DEP_1) | instskip(NEXT) | instid1(VALU_DEP_1)
	v_cndmask_b32_e64 v6, v6, v4, s2
	v_and_b32_e32 v8, 0xffff, v6
	s_delay_alu instid0(VALU_DEP_1) | instskip(NEXT) | instid1(VALU_DEP_1)
	v_mov_b32_dpp v8, v8 row_shr:2 row_mask:0xf bank_mask:0xf
	v_add_f16_e32 v8, v6, v8
	s_delay_alu instid0(VALU_DEP_1) | instskip(NEXT) | instid1(VALU_DEP_1)
	v_cndmask_b32_e64 v6, v6, v8, s1
	v_and_b32_e32 v8, 0xffff, v6
	;; [unrolled: 6-line block ×3, first 2 shown]
	ds_bpermute_b32 v6, v5, v6
	s_cbranch_execz .LBB88_3
	s_branch .LBB88_4
.LBB88_2:
                                        ; implicit-def: $vgpr8
                                        ; implicit-def: $vgpr6
	s_and_not1_b32 vcc_lo, exec_lo, s3
	s_cbranch_vccnz .LBB88_4
.LBB88_3:
	s_waitcnt lgkmcnt(0)
	v_mov_b32_dpp v6, v7 row_shr:1 row_mask:0xf bank_mask:0xf
	s_delay_alu instid0(VALU_DEP_1) | instskip(NEXT) | instid1(VALU_DEP_1)
	v_add_f16_e32 v6, v4, v6
	v_cndmask_b32_e64 v4, v6, v4, s2
	s_delay_alu instid0(VALU_DEP_1) | instskip(NEXT) | instid1(VALU_DEP_1)
	v_and_b32_e32 v6, 0xffff, v4
	v_mov_b32_dpp v6, v6 row_shr:2 row_mask:0xf bank_mask:0xf
	s_delay_alu instid0(VALU_DEP_1) | instskip(NEXT) | instid1(VALU_DEP_1)
	v_add_f16_e32 v6, v4, v6
	v_cndmask_b32_e64 v4, v4, v6, s1
	s_delay_alu instid0(VALU_DEP_1) | instskip(NEXT) | instid1(VALU_DEP_1)
	v_and_b32_e32 v6, 0xffff, v4
	v_mov_b32_dpp v6, v6 row_shr:4 row_mask:0xf bank_mask:0xf
	s_delay_alu instid0(VALU_DEP_1) | instskip(NEXT) | instid1(VALU_DEP_1)
	v_add_f16_e32 v6, v4, v6
	v_cndmask_b32_e64 v8, v4, v6, s0
	s_delay_alu instid0(VALU_DEP_1)
	v_and_b32_e32 v4, 0xffff, v8
	ds_bpermute_b32 v6, v5, v4
.LBB88_4:
	v_add_co_u32 v2, vcc_lo, s6, v2
	v_and_b32_e32 v0, 7, v0
	v_add_co_ci_u32_e32 v3, vcc_lo, s7, v3, vcc_lo
	s_mov_b32 s0, exec_lo
	global_store_b16 v[2:3], v8, off
	v_cmpx_eq_u32_e32 0, v0
	s_cbranch_execz .LBB88_6
; %bb.5:
	v_lshrrev_b32_e32 v0, 2, v1
	s_waitcnt lgkmcnt(0)
	global_store_b16 v0, v6, s[8:9]
.LBB88_6:
	s_nop 0
	s_sendmsg sendmsg(MSG_DEALLOC_VGPRS)
	s_endpgm
	.section	.rodata,"a",@progbits
	.p2align	6, 0x0
	.amdhsa_kernel _Z33warp_inclusive_scan_reduce_kernelI6__halfLj32ELj8EENSt9enable_ifIXsr10test_utilsE35device_test_enabled_for_warp_size_vIXT1_EEEvE4typeEPT_S5_S5_
		.amdhsa_group_segment_fixed_size 0
		.amdhsa_private_segment_fixed_size 0
		.amdhsa_kernarg_size 24
		.amdhsa_user_sgpr_count 15
		.amdhsa_user_sgpr_dispatch_ptr 0
		.amdhsa_user_sgpr_queue_ptr 0
		.amdhsa_user_sgpr_kernarg_segment_ptr 1
		.amdhsa_user_sgpr_dispatch_id 0
		.amdhsa_user_sgpr_private_segment_size 0
		.amdhsa_wavefront_size32 1
		.amdhsa_uses_dynamic_stack 0
		.amdhsa_enable_private_segment 0
		.amdhsa_system_sgpr_workgroup_id_x 1
		.amdhsa_system_sgpr_workgroup_id_y 0
		.amdhsa_system_sgpr_workgroup_id_z 0
		.amdhsa_system_sgpr_workgroup_info 0
		.amdhsa_system_vgpr_workitem_id 0
		.amdhsa_next_free_vgpr 9
		.amdhsa_next_free_sgpr 16
		.amdhsa_reserve_vcc 1
		.amdhsa_float_round_mode_32 0
		.amdhsa_float_round_mode_16_64 0
		.amdhsa_float_denorm_mode_32 3
		.amdhsa_float_denorm_mode_16_64 3
		.amdhsa_dx10_clamp 1
		.amdhsa_ieee_mode 1
		.amdhsa_fp16_overflow 0
		.amdhsa_workgroup_processor_mode 1
		.amdhsa_memory_ordered 1
		.amdhsa_forward_progress 0
		.amdhsa_shared_vgpr_count 0
		.amdhsa_exception_fp_ieee_invalid_op 0
		.amdhsa_exception_fp_denorm_src 0
		.amdhsa_exception_fp_ieee_div_zero 0
		.amdhsa_exception_fp_ieee_overflow 0
		.amdhsa_exception_fp_ieee_underflow 0
		.amdhsa_exception_fp_ieee_inexact 0
		.amdhsa_exception_int_div_zero 0
	.end_amdhsa_kernel
	.section	.text._Z33warp_inclusive_scan_reduce_kernelI6__halfLj32ELj8EENSt9enable_ifIXsr10test_utilsE35device_test_enabled_for_warp_size_vIXT1_EEEvE4typeEPT_S5_S5_,"axG",@progbits,_Z33warp_inclusive_scan_reduce_kernelI6__halfLj32ELj8EENSt9enable_ifIXsr10test_utilsE35device_test_enabled_for_warp_size_vIXT1_EEEvE4typeEPT_S5_S5_,comdat
.Lfunc_end88:
	.size	_Z33warp_inclusive_scan_reduce_kernelI6__halfLj32ELj8EENSt9enable_ifIXsr10test_utilsE35device_test_enabled_for_warp_size_vIXT1_EEEvE4typeEPT_S5_S5_, .Lfunc_end88-_Z33warp_inclusive_scan_reduce_kernelI6__halfLj32ELj8EENSt9enable_ifIXsr10test_utilsE35device_test_enabled_for_warp_size_vIXT1_EEEvE4typeEPT_S5_S5_
                                        ; -- End function
	.section	.AMDGPU.csdata,"",@progbits
; Kernel info:
; codeLenInByte = 468
; NumSgprs: 18
; NumVgprs: 9
; ScratchSize: 0
; MemoryBound: 0
; FloatMode: 240
; IeeeMode: 1
; LDSByteSize: 0 bytes/workgroup (compile time only)
; SGPRBlocks: 2
; VGPRBlocks: 1
; NumSGPRsForWavesPerEU: 18
; NumVGPRsForWavesPerEU: 9
; Occupancy: 16
; WaveLimiterHint : 0
; COMPUTE_PGM_RSRC2:SCRATCH_EN: 0
; COMPUTE_PGM_RSRC2:USER_SGPR: 15
; COMPUTE_PGM_RSRC2:TRAP_HANDLER: 0
; COMPUTE_PGM_RSRC2:TGID_X_EN: 1
; COMPUTE_PGM_RSRC2:TGID_Y_EN: 0
; COMPUTE_PGM_RSRC2:TGID_Z_EN: 0
; COMPUTE_PGM_RSRC2:TIDIG_COMP_CNT: 0
	.section	.text._Z33warp_inclusive_scan_reduce_kernelI6__halfLj64ELj8EENSt9enable_ifIXsr10test_utilsE35device_test_enabled_for_warp_size_vIXT1_EEEvE4typeEPT_S5_S5_,"axG",@progbits,_Z33warp_inclusive_scan_reduce_kernelI6__halfLj64ELj8EENSt9enable_ifIXsr10test_utilsE35device_test_enabled_for_warp_size_vIXT1_EEEvE4typeEPT_S5_S5_,comdat
	.protected	_Z33warp_inclusive_scan_reduce_kernelI6__halfLj64ELj8EENSt9enable_ifIXsr10test_utilsE35device_test_enabled_for_warp_size_vIXT1_EEEvE4typeEPT_S5_S5_ ; -- Begin function _Z33warp_inclusive_scan_reduce_kernelI6__halfLj64ELj8EENSt9enable_ifIXsr10test_utilsE35device_test_enabled_for_warp_size_vIXT1_EEEvE4typeEPT_S5_S5_
	.globl	_Z33warp_inclusive_scan_reduce_kernelI6__halfLj64ELj8EENSt9enable_ifIXsr10test_utilsE35device_test_enabled_for_warp_size_vIXT1_EEEvE4typeEPT_S5_S5_
	.p2align	8
	.type	_Z33warp_inclusive_scan_reduce_kernelI6__halfLj64ELj8EENSt9enable_ifIXsr10test_utilsE35device_test_enabled_for_warp_size_vIXT1_EEEvE4typeEPT_S5_S5_,@function
_Z33warp_inclusive_scan_reduce_kernelI6__halfLj64ELj8EENSt9enable_ifIXsr10test_utilsE35device_test_enabled_for_warp_size_vIXT1_EEEvE4typeEPT_S5_S5_: ; @_Z33warp_inclusive_scan_reduce_kernelI6__halfLj64ELj8EENSt9enable_ifIXsr10test_utilsE35device_test_enabled_for_warp_size_vIXT1_EEEvE4typeEPT_S5_S5_
; %bb.0:
	s_clause 0x1
	s_load_b128 s[4:7], s[0:1], 0x0
	s_load_b64 s[8:9], s[0:1], 0x10
	v_mov_b32_e32 v2, 0
	v_lshl_or_b32 v1, s15, 6, v0
	s_bitcmp1_b32 s15, 0
	s_mov_b32 s3, -1
	s_cselect_b32 s0, -1, 0
	s_delay_alu instid0(VALU_DEP_1) | instskip(SKIP_1) | instid1(VALU_DEP_1)
	v_lshlrev_b64 v[2:3], 1, v[1:2]
	s_waitcnt lgkmcnt(0)
	v_add_co_u32 v4, vcc_lo, s4, v2
	s_delay_alu instid0(VALU_DEP_2) | instskip(SKIP_3) | instid1(VALU_DEP_1)
	v_add_co_ci_u32_e32 v5, vcc_lo, s5, v3, vcc_lo
	s_and_b32 vcc_lo, exec_lo, s0
	global_load_u16 v4, v[4:5], off
	v_mbcnt_lo_u32_b32 v5, -1, 0
	v_and_b32_e32 v6, 7, v5
	v_lshl_or_b32 v5, v5, 2, 28
	s_delay_alu instid0(VALU_DEP_2)
	v_cmp_eq_u32_e64 s2, 0, v6
	v_cmp_lt_u32_e64 s1, 1, v6
	v_cmp_lt_u32_e64 s0, 3, v6
	s_waitcnt vmcnt(0)
	v_and_b32_e32 v7, 0xffff, v4
	s_cbranch_vccz .LBB89_2
; %bb.1:
	s_delay_alu instid0(VALU_DEP_1) | instskip(NEXT) | instid1(VALU_DEP_1)
	v_mov_b32_dpp v6, v7 row_shr:1 row_mask:0xf bank_mask:0xf
	v_add_f16_e32 v6, v4, v6
	s_delay_alu instid0(VALU_DEP_1) | instskip(NEXT) | instid1(VALU_DEP_1)
	v_cndmask_b32_e64 v6, v6, v4, s2
	v_and_b32_e32 v8, 0xffff, v6
	s_delay_alu instid0(VALU_DEP_1) | instskip(NEXT) | instid1(VALU_DEP_1)
	v_mov_b32_dpp v8, v8 row_shr:2 row_mask:0xf bank_mask:0xf
	v_add_f16_e32 v8, v6, v8
	s_delay_alu instid0(VALU_DEP_1) | instskip(NEXT) | instid1(VALU_DEP_1)
	v_cndmask_b32_e64 v6, v6, v8, s1
	v_and_b32_e32 v8, 0xffff, v6
	;; [unrolled: 6-line block ×3, first 2 shown]
	ds_bpermute_b32 v6, v5, v6
	s_cbranch_execz .LBB89_3
	s_branch .LBB89_4
.LBB89_2:
                                        ; implicit-def: $vgpr8
                                        ; implicit-def: $vgpr6
	s_and_not1_b32 vcc_lo, exec_lo, s3
	s_cbranch_vccnz .LBB89_4
.LBB89_3:
	s_waitcnt lgkmcnt(0)
	v_mov_b32_dpp v6, v7 row_shr:1 row_mask:0xf bank_mask:0xf
	s_delay_alu instid0(VALU_DEP_1) | instskip(NEXT) | instid1(VALU_DEP_1)
	v_add_f16_e32 v6, v4, v6
	v_cndmask_b32_e64 v4, v6, v4, s2
	s_delay_alu instid0(VALU_DEP_1) | instskip(NEXT) | instid1(VALU_DEP_1)
	v_and_b32_e32 v6, 0xffff, v4
	v_mov_b32_dpp v6, v6 row_shr:2 row_mask:0xf bank_mask:0xf
	s_delay_alu instid0(VALU_DEP_1) | instskip(NEXT) | instid1(VALU_DEP_1)
	v_add_f16_e32 v6, v4, v6
	v_cndmask_b32_e64 v4, v4, v6, s1
	s_delay_alu instid0(VALU_DEP_1) | instskip(NEXT) | instid1(VALU_DEP_1)
	v_and_b32_e32 v6, 0xffff, v4
	v_mov_b32_dpp v6, v6 row_shr:4 row_mask:0xf bank_mask:0xf
	s_delay_alu instid0(VALU_DEP_1) | instskip(NEXT) | instid1(VALU_DEP_1)
	v_add_f16_e32 v6, v4, v6
	v_cndmask_b32_e64 v8, v4, v6, s0
	s_delay_alu instid0(VALU_DEP_1)
	v_and_b32_e32 v4, 0xffff, v8
	ds_bpermute_b32 v6, v5, v4
.LBB89_4:
	v_add_co_u32 v2, vcc_lo, s6, v2
	v_and_b32_e32 v0, 7, v0
	v_add_co_ci_u32_e32 v3, vcc_lo, s7, v3, vcc_lo
	s_mov_b32 s0, exec_lo
	global_store_b16 v[2:3], v8, off
	v_cmpx_eq_u32_e32 0, v0
	s_cbranch_execz .LBB89_6
; %bb.5:
	v_lshrrev_b32_e32 v0, 2, v1
	s_waitcnt lgkmcnt(0)
	global_store_b16 v0, v6, s[8:9]
.LBB89_6:
	s_nop 0
	s_sendmsg sendmsg(MSG_DEALLOC_VGPRS)
	s_endpgm
	.section	.rodata,"a",@progbits
	.p2align	6, 0x0
	.amdhsa_kernel _Z33warp_inclusive_scan_reduce_kernelI6__halfLj64ELj8EENSt9enable_ifIXsr10test_utilsE35device_test_enabled_for_warp_size_vIXT1_EEEvE4typeEPT_S5_S5_
		.amdhsa_group_segment_fixed_size 0
		.amdhsa_private_segment_fixed_size 0
		.amdhsa_kernarg_size 24
		.amdhsa_user_sgpr_count 15
		.amdhsa_user_sgpr_dispatch_ptr 0
		.amdhsa_user_sgpr_queue_ptr 0
		.amdhsa_user_sgpr_kernarg_segment_ptr 1
		.amdhsa_user_sgpr_dispatch_id 0
		.amdhsa_user_sgpr_private_segment_size 0
		.amdhsa_wavefront_size32 1
		.amdhsa_uses_dynamic_stack 0
		.amdhsa_enable_private_segment 0
		.amdhsa_system_sgpr_workgroup_id_x 1
		.amdhsa_system_sgpr_workgroup_id_y 0
		.amdhsa_system_sgpr_workgroup_id_z 0
		.amdhsa_system_sgpr_workgroup_info 0
		.amdhsa_system_vgpr_workitem_id 0
		.amdhsa_next_free_vgpr 9
		.amdhsa_next_free_sgpr 16
		.amdhsa_reserve_vcc 1
		.amdhsa_float_round_mode_32 0
		.amdhsa_float_round_mode_16_64 0
		.amdhsa_float_denorm_mode_32 3
		.amdhsa_float_denorm_mode_16_64 3
		.amdhsa_dx10_clamp 1
		.amdhsa_ieee_mode 1
		.amdhsa_fp16_overflow 0
		.amdhsa_workgroup_processor_mode 1
		.amdhsa_memory_ordered 1
		.amdhsa_forward_progress 0
		.amdhsa_shared_vgpr_count 0
		.amdhsa_exception_fp_ieee_invalid_op 0
		.amdhsa_exception_fp_denorm_src 0
		.amdhsa_exception_fp_ieee_div_zero 0
		.amdhsa_exception_fp_ieee_overflow 0
		.amdhsa_exception_fp_ieee_underflow 0
		.amdhsa_exception_fp_ieee_inexact 0
		.amdhsa_exception_int_div_zero 0
	.end_amdhsa_kernel
	.section	.text._Z33warp_inclusive_scan_reduce_kernelI6__halfLj64ELj8EENSt9enable_ifIXsr10test_utilsE35device_test_enabled_for_warp_size_vIXT1_EEEvE4typeEPT_S5_S5_,"axG",@progbits,_Z33warp_inclusive_scan_reduce_kernelI6__halfLj64ELj8EENSt9enable_ifIXsr10test_utilsE35device_test_enabled_for_warp_size_vIXT1_EEEvE4typeEPT_S5_S5_,comdat
.Lfunc_end89:
	.size	_Z33warp_inclusive_scan_reduce_kernelI6__halfLj64ELj8EENSt9enable_ifIXsr10test_utilsE35device_test_enabled_for_warp_size_vIXT1_EEEvE4typeEPT_S5_S5_, .Lfunc_end89-_Z33warp_inclusive_scan_reduce_kernelI6__halfLj64ELj8EENSt9enable_ifIXsr10test_utilsE35device_test_enabled_for_warp_size_vIXT1_EEEvE4typeEPT_S5_S5_
                                        ; -- End function
	.section	.AMDGPU.csdata,"",@progbits
; Kernel info:
; codeLenInByte = 468
; NumSgprs: 18
; NumVgprs: 9
; ScratchSize: 0
; MemoryBound: 0
; FloatMode: 240
; IeeeMode: 1
; LDSByteSize: 0 bytes/workgroup (compile time only)
; SGPRBlocks: 2
; VGPRBlocks: 1
; NumSGPRsForWavesPerEU: 18
; NumVGPRsForWavesPerEU: 9
; Occupancy: 16
; WaveLimiterHint : 0
; COMPUTE_PGM_RSRC2:SCRATCH_EN: 0
; COMPUTE_PGM_RSRC2:USER_SGPR: 15
; COMPUTE_PGM_RSRC2:TRAP_HANDLER: 0
; COMPUTE_PGM_RSRC2:TGID_X_EN: 1
; COMPUTE_PGM_RSRC2:TGID_Y_EN: 0
; COMPUTE_PGM_RSRC2:TGID_Z_EN: 0
; COMPUTE_PGM_RSRC2:TIDIG_COMP_CNT: 0
	.section	.text._Z33warp_inclusive_scan_reduce_kernelI6__halfLj32ELj4EENSt9enable_ifIXsr10test_utilsE35device_test_enabled_for_warp_size_vIXT1_EEEvE4typeEPT_S5_S5_,"axG",@progbits,_Z33warp_inclusive_scan_reduce_kernelI6__halfLj32ELj4EENSt9enable_ifIXsr10test_utilsE35device_test_enabled_for_warp_size_vIXT1_EEEvE4typeEPT_S5_S5_,comdat
	.protected	_Z33warp_inclusive_scan_reduce_kernelI6__halfLj32ELj4EENSt9enable_ifIXsr10test_utilsE35device_test_enabled_for_warp_size_vIXT1_EEEvE4typeEPT_S5_S5_ ; -- Begin function _Z33warp_inclusive_scan_reduce_kernelI6__halfLj32ELj4EENSt9enable_ifIXsr10test_utilsE35device_test_enabled_for_warp_size_vIXT1_EEEvE4typeEPT_S5_S5_
	.globl	_Z33warp_inclusive_scan_reduce_kernelI6__halfLj32ELj4EENSt9enable_ifIXsr10test_utilsE35device_test_enabled_for_warp_size_vIXT1_EEEvE4typeEPT_S5_S5_
	.p2align	8
	.type	_Z33warp_inclusive_scan_reduce_kernelI6__halfLj32ELj4EENSt9enable_ifIXsr10test_utilsE35device_test_enabled_for_warp_size_vIXT1_EEEvE4typeEPT_S5_S5_,@function
_Z33warp_inclusive_scan_reduce_kernelI6__halfLj32ELj4EENSt9enable_ifIXsr10test_utilsE35device_test_enabled_for_warp_size_vIXT1_EEEvE4typeEPT_S5_S5_: ; @_Z33warp_inclusive_scan_reduce_kernelI6__halfLj32ELj4EENSt9enable_ifIXsr10test_utilsE35device_test_enabled_for_warp_size_vIXT1_EEEvE4typeEPT_S5_S5_
; %bb.0:
	s_clause 0x1
	s_load_b128 s[4:7], s[0:1], 0x0
	s_load_b64 s[2:3], s[0:1], 0x10
	v_mov_b32_e32 v2, 0
	v_lshl_or_b32 v1, s15, 5, v0
	s_bitcmp1_b32 s15, 0
	s_delay_alu instid0(VALU_DEP_1) | instskip(SKIP_1) | instid1(VALU_DEP_1)
	v_lshlrev_b64 v[2:3], 1, v[1:2]
	s_waitcnt lgkmcnt(0)
	v_add_co_u32 v4, vcc_lo, s4, v2
	s_delay_alu instid0(VALU_DEP_2) | instskip(SKIP_1) | instid1(SALU_CYCLE_1)
	v_add_co_ci_u32_e32 v5, vcc_lo, s5, v3, vcc_lo
	s_cselect_b32 s4, -1, 0
	s_and_b32 vcc_lo, exec_lo, s4
	global_load_u16 v4, v[4:5], off
	v_mbcnt_lo_u32_b32 v5, -1, 0
	s_mov_b32 s4, -1
	s_delay_alu instid0(VALU_DEP_1) | instskip(SKIP_1) | instid1(VALU_DEP_2)
	v_and_b32_e32 v6, 3, v5
	v_lshl_or_b32 v5, v5, 2, 12
	v_cmp_eq_u32_e64 s1, 0, v6
	v_cmp_lt_u32_e64 s0, 1, v6
	s_waitcnt vmcnt(0)
	v_and_b32_e32 v8, 0xffff, v4
	s_cbranch_vccz .LBB90_2
; %bb.1:
	s_delay_alu instid0(VALU_DEP_1) | instskip(NEXT) | instid1(VALU_DEP_1)
	v_mov_b32_dpp v6, v8 row_shr:1 row_mask:0xf bank_mask:0xf
	v_add_f16_e32 v6, v4, v6
	s_delay_alu instid0(VALU_DEP_1) | instskip(NEXT) | instid1(VALU_DEP_1)
	v_cndmask_b32_e64 v6, v6, v4, s1
	v_and_b32_e32 v7, 0xffff, v6
	s_delay_alu instid0(VALU_DEP_1) | instskip(NEXT) | instid1(VALU_DEP_1)
	v_mov_b32_dpp v7, v7 row_shr:2 row_mask:0xf bank_mask:0xf
	v_add_f16_e32 v7, v6, v7
	s_delay_alu instid0(VALU_DEP_1) | instskip(NEXT) | instid1(VALU_DEP_1)
	v_cndmask_b32_e64 v7, v6, v7, s0
	v_and_b32_e32 v6, 0xffff, v7
	ds_bpermute_b32 v6, v5, v6
	s_cbranch_execz .LBB90_3
	s_branch .LBB90_4
.LBB90_2:
                                        ; implicit-def: $vgpr7
                                        ; implicit-def: $vgpr6
	s_and_not1_b32 vcc_lo, exec_lo, s4
	s_cbranch_vccnz .LBB90_4
.LBB90_3:
	s_waitcnt lgkmcnt(0)
	v_mov_b32_dpp v6, v8 row_shr:1 row_mask:0xf bank_mask:0xf
	s_delay_alu instid0(VALU_DEP_1) | instskip(NEXT) | instid1(VALU_DEP_1)
	v_add_f16_e32 v6, v4, v6
	v_cndmask_b32_e64 v4, v6, v4, s1
	s_delay_alu instid0(VALU_DEP_1) | instskip(NEXT) | instid1(VALU_DEP_1)
	v_and_b32_e32 v6, 0xffff, v4
	v_mov_b32_dpp v6, v6 row_shr:2 row_mask:0xf bank_mask:0xf
	s_delay_alu instid0(VALU_DEP_1) | instskip(NEXT) | instid1(VALU_DEP_1)
	v_add_f16_e32 v6, v4, v6
	v_cndmask_b32_e64 v7, v4, v6, s0
	s_delay_alu instid0(VALU_DEP_1)
	v_and_b32_e32 v4, 0xffff, v7
	ds_bpermute_b32 v6, v5, v4
.LBB90_4:
	v_add_co_u32 v2, vcc_lo, s6, v2
	v_and_b32_e32 v0, 3, v0
	v_add_co_ci_u32_e32 v3, vcc_lo, s7, v3, vcc_lo
	s_mov_b32 s0, exec_lo
	global_store_b16 v[2:3], v7, off
	v_cmpx_eq_u32_e32 0, v0
	s_cbranch_execz .LBB90_6
; %bb.5:
	v_lshrrev_b32_e32 v0, 1, v1
	s_waitcnt lgkmcnt(0)
	global_store_b16 v0, v6, s[2:3]
.LBB90_6:
	s_nop 0
	s_sendmsg sendmsg(MSG_DEALLOC_VGPRS)
	s_endpgm
	.section	.rodata,"a",@progbits
	.p2align	6, 0x0
	.amdhsa_kernel _Z33warp_inclusive_scan_reduce_kernelI6__halfLj32ELj4EENSt9enable_ifIXsr10test_utilsE35device_test_enabled_for_warp_size_vIXT1_EEEvE4typeEPT_S5_S5_
		.amdhsa_group_segment_fixed_size 0
		.amdhsa_private_segment_fixed_size 0
		.amdhsa_kernarg_size 24
		.amdhsa_user_sgpr_count 15
		.amdhsa_user_sgpr_dispatch_ptr 0
		.amdhsa_user_sgpr_queue_ptr 0
		.amdhsa_user_sgpr_kernarg_segment_ptr 1
		.amdhsa_user_sgpr_dispatch_id 0
		.amdhsa_user_sgpr_private_segment_size 0
		.amdhsa_wavefront_size32 1
		.amdhsa_uses_dynamic_stack 0
		.amdhsa_enable_private_segment 0
		.amdhsa_system_sgpr_workgroup_id_x 1
		.amdhsa_system_sgpr_workgroup_id_y 0
		.amdhsa_system_sgpr_workgroup_id_z 0
		.amdhsa_system_sgpr_workgroup_info 0
		.amdhsa_system_vgpr_workitem_id 0
		.amdhsa_next_free_vgpr 9
		.amdhsa_next_free_sgpr 16
		.amdhsa_reserve_vcc 1
		.amdhsa_float_round_mode_32 0
		.amdhsa_float_round_mode_16_64 0
		.amdhsa_float_denorm_mode_32 3
		.amdhsa_float_denorm_mode_16_64 3
		.amdhsa_dx10_clamp 1
		.amdhsa_ieee_mode 1
		.amdhsa_fp16_overflow 0
		.amdhsa_workgroup_processor_mode 1
		.amdhsa_memory_ordered 1
		.amdhsa_forward_progress 0
		.amdhsa_shared_vgpr_count 0
		.amdhsa_exception_fp_ieee_invalid_op 0
		.amdhsa_exception_fp_denorm_src 0
		.amdhsa_exception_fp_ieee_div_zero 0
		.amdhsa_exception_fp_ieee_overflow 0
		.amdhsa_exception_fp_ieee_underflow 0
		.amdhsa_exception_fp_ieee_inexact 0
		.amdhsa_exception_int_div_zero 0
	.end_amdhsa_kernel
	.section	.text._Z33warp_inclusive_scan_reduce_kernelI6__halfLj32ELj4EENSt9enable_ifIXsr10test_utilsE35device_test_enabled_for_warp_size_vIXT1_EEEvE4typeEPT_S5_S5_,"axG",@progbits,_Z33warp_inclusive_scan_reduce_kernelI6__halfLj32ELj4EENSt9enable_ifIXsr10test_utilsE35device_test_enabled_for_warp_size_vIXT1_EEEvE4typeEPT_S5_S5_,comdat
.Lfunc_end90:
	.size	_Z33warp_inclusive_scan_reduce_kernelI6__halfLj32ELj4EENSt9enable_ifIXsr10test_utilsE35device_test_enabled_for_warp_size_vIXT1_EEEvE4typeEPT_S5_S5_, .Lfunc_end90-_Z33warp_inclusive_scan_reduce_kernelI6__halfLj32ELj4EENSt9enable_ifIXsr10test_utilsE35device_test_enabled_for_warp_size_vIXT1_EEEvE4typeEPT_S5_S5_
                                        ; -- End function
	.section	.AMDGPU.csdata,"",@progbits
; Kernel info:
; codeLenInByte = 388
; NumSgprs: 18
; NumVgprs: 9
; ScratchSize: 0
; MemoryBound: 0
; FloatMode: 240
; IeeeMode: 1
; LDSByteSize: 0 bytes/workgroup (compile time only)
; SGPRBlocks: 2
; VGPRBlocks: 1
; NumSGPRsForWavesPerEU: 18
; NumVGPRsForWavesPerEU: 9
; Occupancy: 16
; WaveLimiterHint : 0
; COMPUTE_PGM_RSRC2:SCRATCH_EN: 0
; COMPUTE_PGM_RSRC2:USER_SGPR: 15
; COMPUTE_PGM_RSRC2:TRAP_HANDLER: 0
; COMPUTE_PGM_RSRC2:TGID_X_EN: 1
; COMPUTE_PGM_RSRC2:TGID_Y_EN: 0
; COMPUTE_PGM_RSRC2:TGID_Z_EN: 0
; COMPUTE_PGM_RSRC2:TIDIG_COMP_CNT: 0
	.section	.text._Z33warp_inclusive_scan_reduce_kernelI6__halfLj64ELj4EENSt9enable_ifIXsr10test_utilsE35device_test_enabled_for_warp_size_vIXT1_EEEvE4typeEPT_S5_S5_,"axG",@progbits,_Z33warp_inclusive_scan_reduce_kernelI6__halfLj64ELj4EENSt9enable_ifIXsr10test_utilsE35device_test_enabled_for_warp_size_vIXT1_EEEvE4typeEPT_S5_S5_,comdat
	.protected	_Z33warp_inclusive_scan_reduce_kernelI6__halfLj64ELj4EENSt9enable_ifIXsr10test_utilsE35device_test_enabled_for_warp_size_vIXT1_EEEvE4typeEPT_S5_S5_ ; -- Begin function _Z33warp_inclusive_scan_reduce_kernelI6__halfLj64ELj4EENSt9enable_ifIXsr10test_utilsE35device_test_enabled_for_warp_size_vIXT1_EEEvE4typeEPT_S5_S5_
	.globl	_Z33warp_inclusive_scan_reduce_kernelI6__halfLj64ELj4EENSt9enable_ifIXsr10test_utilsE35device_test_enabled_for_warp_size_vIXT1_EEEvE4typeEPT_S5_S5_
	.p2align	8
	.type	_Z33warp_inclusive_scan_reduce_kernelI6__halfLj64ELj4EENSt9enable_ifIXsr10test_utilsE35device_test_enabled_for_warp_size_vIXT1_EEEvE4typeEPT_S5_S5_,@function
_Z33warp_inclusive_scan_reduce_kernelI6__halfLj64ELj4EENSt9enable_ifIXsr10test_utilsE35device_test_enabled_for_warp_size_vIXT1_EEEvE4typeEPT_S5_S5_: ; @_Z33warp_inclusive_scan_reduce_kernelI6__halfLj64ELj4EENSt9enable_ifIXsr10test_utilsE35device_test_enabled_for_warp_size_vIXT1_EEEvE4typeEPT_S5_S5_
; %bb.0:
	s_clause 0x1
	s_load_b128 s[4:7], s[0:1], 0x0
	s_load_b64 s[2:3], s[0:1], 0x10
	v_mov_b32_e32 v2, 0
	v_lshl_or_b32 v1, s15, 6, v0
	s_bitcmp1_b32 s15, 0
	s_delay_alu instid0(VALU_DEP_1) | instskip(SKIP_1) | instid1(VALU_DEP_1)
	v_lshlrev_b64 v[2:3], 1, v[1:2]
	s_waitcnt lgkmcnt(0)
	v_add_co_u32 v4, vcc_lo, s4, v2
	s_delay_alu instid0(VALU_DEP_2) | instskip(SKIP_1) | instid1(SALU_CYCLE_1)
	v_add_co_ci_u32_e32 v5, vcc_lo, s5, v3, vcc_lo
	s_cselect_b32 s4, -1, 0
	s_and_b32 vcc_lo, exec_lo, s4
	global_load_u16 v4, v[4:5], off
	v_mbcnt_lo_u32_b32 v5, -1, 0
	s_mov_b32 s4, -1
	s_delay_alu instid0(VALU_DEP_1) | instskip(SKIP_1) | instid1(VALU_DEP_2)
	v_and_b32_e32 v6, 3, v5
	v_lshl_or_b32 v5, v5, 2, 12
	v_cmp_eq_u32_e64 s1, 0, v6
	v_cmp_lt_u32_e64 s0, 1, v6
	s_waitcnt vmcnt(0)
	v_and_b32_e32 v8, 0xffff, v4
	s_cbranch_vccz .LBB91_2
; %bb.1:
	s_delay_alu instid0(VALU_DEP_1) | instskip(NEXT) | instid1(VALU_DEP_1)
	v_mov_b32_dpp v6, v8 row_shr:1 row_mask:0xf bank_mask:0xf
	v_add_f16_e32 v6, v4, v6
	s_delay_alu instid0(VALU_DEP_1) | instskip(NEXT) | instid1(VALU_DEP_1)
	v_cndmask_b32_e64 v6, v6, v4, s1
	v_and_b32_e32 v7, 0xffff, v6
	s_delay_alu instid0(VALU_DEP_1) | instskip(NEXT) | instid1(VALU_DEP_1)
	v_mov_b32_dpp v7, v7 row_shr:2 row_mask:0xf bank_mask:0xf
	v_add_f16_e32 v7, v6, v7
	s_delay_alu instid0(VALU_DEP_1) | instskip(NEXT) | instid1(VALU_DEP_1)
	v_cndmask_b32_e64 v7, v6, v7, s0
	v_and_b32_e32 v6, 0xffff, v7
	ds_bpermute_b32 v6, v5, v6
	s_cbranch_execz .LBB91_3
	s_branch .LBB91_4
.LBB91_2:
                                        ; implicit-def: $vgpr7
                                        ; implicit-def: $vgpr6
	s_and_not1_b32 vcc_lo, exec_lo, s4
	s_cbranch_vccnz .LBB91_4
.LBB91_3:
	s_waitcnt lgkmcnt(0)
	v_mov_b32_dpp v6, v8 row_shr:1 row_mask:0xf bank_mask:0xf
	s_delay_alu instid0(VALU_DEP_1) | instskip(NEXT) | instid1(VALU_DEP_1)
	v_add_f16_e32 v6, v4, v6
	v_cndmask_b32_e64 v4, v6, v4, s1
	s_delay_alu instid0(VALU_DEP_1) | instskip(NEXT) | instid1(VALU_DEP_1)
	v_and_b32_e32 v6, 0xffff, v4
	v_mov_b32_dpp v6, v6 row_shr:2 row_mask:0xf bank_mask:0xf
	s_delay_alu instid0(VALU_DEP_1) | instskip(NEXT) | instid1(VALU_DEP_1)
	v_add_f16_e32 v6, v4, v6
	v_cndmask_b32_e64 v7, v4, v6, s0
	s_delay_alu instid0(VALU_DEP_1)
	v_and_b32_e32 v4, 0xffff, v7
	ds_bpermute_b32 v6, v5, v4
.LBB91_4:
	v_add_co_u32 v2, vcc_lo, s6, v2
	v_and_b32_e32 v0, 3, v0
	v_add_co_ci_u32_e32 v3, vcc_lo, s7, v3, vcc_lo
	s_mov_b32 s0, exec_lo
	global_store_b16 v[2:3], v7, off
	v_cmpx_eq_u32_e32 0, v0
	s_cbranch_execz .LBB91_6
; %bb.5:
	v_lshrrev_b32_e32 v0, 1, v1
	s_waitcnt lgkmcnt(0)
	global_store_b16 v0, v6, s[2:3]
.LBB91_6:
	s_nop 0
	s_sendmsg sendmsg(MSG_DEALLOC_VGPRS)
	s_endpgm
	.section	.rodata,"a",@progbits
	.p2align	6, 0x0
	.amdhsa_kernel _Z33warp_inclusive_scan_reduce_kernelI6__halfLj64ELj4EENSt9enable_ifIXsr10test_utilsE35device_test_enabled_for_warp_size_vIXT1_EEEvE4typeEPT_S5_S5_
		.amdhsa_group_segment_fixed_size 0
		.amdhsa_private_segment_fixed_size 0
		.amdhsa_kernarg_size 24
		.amdhsa_user_sgpr_count 15
		.amdhsa_user_sgpr_dispatch_ptr 0
		.amdhsa_user_sgpr_queue_ptr 0
		.amdhsa_user_sgpr_kernarg_segment_ptr 1
		.amdhsa_user_sgpr_dispatch_id 0
		.amdhsa_user_sgpr_private_segment_size 0
		.amdhsa_wavefront_size32 1
		.amdhsa_uses_dynamic_stack 0
		.amdhsa_enable_private_segment 0
		.amdhsa_system_sgpr_workgroup_id_x 1
		.amdhsa_system_sgpr_workgroup_id_y 0
		.amdhsa_system_sgpr_workgroup_id_z 0
		.amdhsa_system_sgpr_workgroup_info 0
		.amdhsa_system_vgpr_workitem_id 0
		.amdhsa_next_free_vgpr 9
		.amdhsa_next_free_sgpr 16
		.amdhsa_reserve_vcc 1
		.amdhsa_float_round_mode_32 0
		.amdhsa_float_round_mode_16_64 0
		.amdhsa_float_denorm_mode_32 3
		.amdhsa_float_denorm_mode_16_64 3
		.amdhsa_dx10_clamp 1
		.amdhsa_ieee_mode 1
		.amdhsa_fp16_overflow 0
		.amdhsa_workgroup_processor_mode 1
		.amdhsa_memory_ordered 1
		.amdhsa_forward_progress 0
		.amdhsa_shared_vgpr_count 0
		.amdhsa_exception_fp_ieee_invalid_op 0
		.amdhsa_exception_fp_denorm_src 0
		.amdhsa_exception_fp_ieee_div_zero 0
		.amdhsa_exception_fp_ieee_overflow 0
		.amdhsa_exception_fp_ieee_underflow 0
		.amdhsa_exception_fp_ieee_inexact 0
		.amdhsa_exception_int_div_zero 0
	.end_amdhsa_kernel
	.section	.text._Z33warp_inclusive_scan_reduce_kernelI6__halfLj64ELj4EENSt9enable_ifIXsr10test_utilsE35device_test_enabled_for_warp_size_vIXT1_EEEvE4typeEPT_S5_S5_,"axG",@progbits,_Z33warp_inclusive_scan_reduce_kernelI6__halfLj64ELj4EENSt9enable_ifIXsr10test_utilsE35device_test_enabled_for_warp_size_vIXT1_EEEvE4typeEPT_S5_S5_,comdat
.Lfunc_end91:
	.size	_Z33warp_inclusive_scan_reduce_kernelI6__halfLj64ELj4EENSt9enable_ifIXsr10test_utilsE35device_test_enabled_for_warp_size_vIXT1_EEEvE4typeEPT_S5_S5_, .Lfunc_end91-_Z33warp_inclusive_scan_reduce_kernelI6__halfLj64ELj4EENSt9enable_ifIXsr10test_utilsE35device_test_enabled_for_warp_size_vIXT1_EEEvE4typeEPT_S5_S5_
                                        ; -- End function
	.section	.AMDGPU.csdata,"",@progbits
; Kernel info:
; codeLenInByte = 388
; NumSgprs: 18
; NumVgprs: 9
; ScratchSize: 0
; MemoryBound: 0
; FloatMode: 240
; IeeeMode: 1
; LDSByteSize: 0 bytes/workgroup (compile time only)
; SGPRBlocks: 2
; VGPRBlocks: 1
; NumSGPRsForWavesPerEU: 18
; NumVGPRsForWavesPerEU: 9
; Occupancy: 16
; WaveLimiterHint : 0
; COMPUTE_PGM_RSRC2:SCRATCH_EN: 0
; COMPUTE_PGM_RSRC2:USER_SGPR: 15
; COMPUTE_PGM_RSRC2:TRAP_HANDLER: 0
; COMPUTE_PGM_RSRC2:TGID_X_EN: 1
; COMPUTE_PGM_RSRC2:TGID_Y_EN: 0
; COMPUTE_PGM_RSRC2:TGID_Z_EN: 0
; COMPUTE_PGM_RSRC2:TIDIG_COMP_CNT: 0
	.section	.text._Z33warp_inclusive_scan_reduce_kernelI6__halfLj32ELj2EENSt9enable_ifIXsr10test_utilsE35device_test_enabled_for_warp_size_vIXT1_EEEvE4typeEPT_S5_S5_,"axG",@progbits,_Z33warp_inclusive_scan_reduce_kernelI6__halfLj32ELj2EENSt9enable_ifIXsr10test_utilsE35device_test_enabled_for_warp_size_vIXT1_EEEvE4typeEPT_S5_S5_,comdat
	.protected	_Z33warp_inclusive_scan_reduce_kernelI6__halfLj32ELj2EENSt9enable_ifIXsr10test_utilsE35device_test_enabled_for_warp_size_vIXT1_EEEvE4typeEPT_S5_S5_ ; -- Begin function _Z33warp_inclusive_scan_reduce_kernelI6__halfLj32ELj2EENSt9enable_ifIXsr10test_utilsE35device_test_enabled_for_warp_size_vIXT1_EEEvE4typeEPT_S5_S5_
	.globl	_Z33warp_inclusive_scan_reduce_kernelI6__halfLj32ELj2EENSt9enable_ifIXsr10test_utilsE35device_test_enabled_for_warp_size_vIXT1_EEEvE4typeEPT_S5_S5_
	.p2align	8
	.type	_Z33warp_inclusive_scan_reduce_kernelI6__halfLj32ELj2EENSt9enable_ifIXsr10test_utilsE35device_test_enabled_for_warp_size_vIXT1_EEEvE4typeEPT_S5_S5_,@function
_Z33warp_inclusive_scan_reduce_kernelI6__halfLj32ELj2EENSt9enable_ifIXsr10test_utilsE35device_test_enabled_for_warp_size_vIXT1_EEEvE4typeEPT_S5_S5_: ; @_Z33warp_inclusive_scan_reduce_kernelI6__halfLj32ELj2EENSt9enable_ifIXsr10test_utilsE35device_test_enabled_for_warp_size_vIXT1_EEEvE4typeEPT_S5_S5_
; %bb.0:
	s_clause 0x1
	s_load_b128 s[4:7], s[0:1], 0x0
	s_load_b64 s[2:3], s[0:1], 0x10
	v_mov_b32_e32 v2, 0
	v_lshl_or_b32 v1, s15, 5, v0
	s_bitcmp1_b32 s15, 0
	s_cselect_b32 s1, -1, 0
	s_delay_alu instid0(VALU_DEP_1) | instskip(SKIP_1) | instid1(VALU_DEP_1)
	v_lshlrev_b64 v[2:3], 1, v[1:2]
	s_waitcnt lgkmcnt(0)
	v_add_co_u32 v4, vcc_lo, s4, v2
	s_delay_alu instid0(VALU_DEP_2) | instskip(SKIP_4) | instid1(VALU_DEP_1)
	v_add_co_ci_u32_e32 v5, vcc_lo, s5, v3, vcc_lo
	s_and_b32 vcc_lo, exec_lo, s1
	s_mov_b32 s1, -1
	global_load_u16 v5, v[4:5], off
	v_mbcnt_lo_u32_b32 v4, -1, 0
	v_and_b32_e32 v6, 1, v4
	v_lshl_or_b32 v7, v4, 2, 4
	s_delay_alu instid0(VALU_DEP_2)
	v_cmp_eq_u32_e64 s0, 0, v6
	s_waitcnt vmcnt(0)
	v_and_b32_e32 v8, 0xffff, v5
	s_cbranch_vccz .LBB92_2
; %bb.1:
	s_delay_alu instid0(VALU_DEP_1) | instskip(NEXT) | instid1(VALU_DEP_1)
	v_mov_b32_dpp v4, v8 row_shr:1 row_mask:0xf bank_mask:0xf
	v_add_f16_e32 v4, v5, v4
	s_delay_alu instid0(VALU_DEP_1) | instskip(NEXT) | instid1(VALU_DEP_1)
	v_cndmask_b32_e64 v6, v4, v5, s0
	v_and_b32_e32 v4, 0xffff, v6
	ds_bpermute_b32 v4, v7, v4
	s_cbranch_execz .LBB92_3
	s_branch .LBB92_4
.LBB92_2:
                                        ; implicit-def: $vgpr6
                                        ; implicit-def: $vgpr4
	s_and_not1_b32 vcc_lo, exec_lo, s1
	s_cbranch_vccnz .LBB92_4
.LBB92_3:
	s_waitcnt lgkmcnt(0)
	v_mov_b32_dpp v4, v8 row_shr:1 row_mask:0xf bank_mask:0xf
	s_delay_alu instid0(VALU_DEP_1) | instskip(NEXT) | instid1(VALU_DEP_1)
	v_add_f16_e32 v4, v5, v4
	v_cndmask_b32_e64 v6, v4, v5, s0
	s_delay_alu instid0(VALU_DEP_1)
	v_and_b32_e32 v4, 0xffff, v6
	ds_bpermute_b32 v4, v7, v4
.LBB92_4:
	v_add_co_u32 v2, vcc_lo, s6, v2
	v_and_b32_e32 v0, 1, v0
	v_add_co_ci_u32_e32 v3, vcc_lo, s7, v3, vcc_lo
	s_mov_b32 s0, exec_lo
	global_store_b16 v[2:3], v6, off
	v_cmpx_eq_u32_e32 0, v0
	s_cbranch_execz .LBB92_6
; %bb.5:
	v_add_co_u32 v0, s0, s2, v1
	s_delay_alu instid0(VALU_DEP_1)
	v_add_co_ci_u32_e64 v1, null, s3, 0, s0
	s_waitcnt lgkmcnt(0)
	global_store_b16 v[0:1], v4, off
.LBB92_6:
	s_nop 0
	s_sendmsg sendmsg(MSG_DEALLOC_VGPRS)
	s_endpgm
	.section	.rodata,"a",@progbits
	.p2align	6, 0x0
	.amdhsa_kernel _Z33warp_inclusive_scan_reduce_kernelI6__halfLj32ELj2EENSt9enable_ifIXsr10test_utilsE35device_test_enabled_for_warp_size_vIXT1_EEEvE4typeEPT_S5_S5_
		.amdhsa_group_segment_fixed_size 0
		.amdhsa_private_segment_fixed_size 0
		.amdhsa_kernarg_size 24
		.amdhsa_user_sgpr_count 15
		.amdhsa_user_sgpr_dispatch_ptr 0
		.amdhsa_user_sgpr_queue_ptr 0
		.amdhsa_user_sgpr_kernarg_segment_ptr 1
		.amdhsa_user_sgpr_dispatch_id 0
		.amdhsa_user_sgpr_private_segment_size 0
		.amdhsa_wavefront_size32 1
		.amdhsa_uses_dynamic_stack 0
		.amdhsa_enable_private_segment 0
		.amdhsa_system_sgpr_workgroup_id_x 1
		.amdhsa_system_sgpr_workgroup_id_y 0
		.amdhsa_system_sgpr_workgroup_id_z 0
		.amdhsa_system_sgpr_workgroup_info 0
		.amdhsa_system_vgpr_workitem_id 0
		.amdhsa_next_free_vgpr 9
		.amdhsa_next_free_sgpr 16
		.amdhsa_reserve_vcc 1
		.amdhsa_float_round_mode_32 0
		.amdhsa_float_round_mode_16_64 0
		.amdhsa_float_denorm_mode_32 3
		.amdhsa_float_denorm_mode_16_64 3
		.amdhsa_dx10_clamp 1
		.amdhsa_ieee_mode 1
		.amdhsa_fp16_overflow 0
		.amdhsa_workgroup_processor_mode 1
		.amdhsa_memory_ordered 1
		.amdhsa_forward_progress 0
		.amdhsa_shared_vgpr_count 0
		.amdhsa_exception_fp_ieee_invalid_op 0
		.amdhsa_exception_fp_denorm_src 0
		.amdhsa_exception_fp_ieee_div_zero 0
		.amdhsa_exception_fp_ieee_overflow 0
		.amdhsa_exception_fp_ieee_underflow 0
		.amdhsa_exception_fp_ieee_inexact 0
		.amdhsa_exception_int_div_zero 0
	.end_amdhsa_kernel
	.section	.text._Z33warp_inclusive_scan_reduce_kernelI6__halfLj32ELj2EENSt9enable_ifIXsr10test_utilsE35device_test_enabled_for_warp_size_vIXT1_EEEvE4typeEPT_S5_S5_,"axG",@progbits,_Z33warp_inclusive_scan_reduce_kernelI6__halfLj32ELj2EENSt9enable_ifIXsr10test_utilsE35device_test_enabled_for_warp_size_vIXT1_EEEvE4typeEPT_S5_S5_,comdat
.Lfunc_end92:
	.size	_Z33warp_inclusive_scan_reduce_kernelI6__halfLj32ELj2EENSt9enable_ifIXsr10test_utilsE35device_test_enabled_for_warp_size_vIXT1_EEEvE4typeEPT_S5_S5_, .Lfunc_end92-_Z33warp_inclusive_scan_reduce_kernelI6__halfLj32ELj2EENSt9enable_ifIXsr10test_utilsE35device_test_enabled_for_warp_size_vIXT1_EEEvE4typeEPT_S5_S5_
                                        ; -- End function
	.section	.AMDGPU.csdata,"",@progbits
; Kernel info:
; codeLenInByte = 324
; NumSgprs: 18
; NumVgprs: 9
; ScratchSize: 0
; MemoryBound: 0
; FloatMode: 240
; IeeeMode: 1
; LDSByteSize: 0 bytes/workgroup (compile time only)
; SGPRBlocks: 2
; VGPRBlocks: 1
; NumSGPRsForWavesPerEU: 18
; NumVGPRsForWavesPerEU: 9
; Occupancy: 16
; WaveLimiterHint : 0
; COMPUTE_PGM_RSRC2:SCRATCH_EN: 0
; COMPUTE_PGM_RSRC2:USER_SGPR: 15
; COMPUTE_PGM_RSRC2:TRAP_HANDLER: 0
; COMPUTE_PGM_RSRC2:TGID_X_EN: 1
; COMPUTE_PGM_RSRC2:TGID_Y_EN: 0
; COMPUTE_PGM_RSRC2:TGID_Z_EN: 0
; COMPUTE_PGM_RSRC2:TIDIG_COMP_CNT: 0
	.section	.text._Z33warp_inclusive_scan_reduce_kernelI6__halfLj64ELj2EENSt9enable_ifIXsr10test_utilsE35device_test_enabled_for_warp_size_vIXT1_EEEvE4typeEPT_S5_S5_,"axG",@progbits,_Z33warp_inclusive_scan_reduce_kernelI6__halfLj64ELj2EENSt9enable_ifIXsr10test_utilsE35device_test_enabled_for_warp_size_vIXT1_EEEvE4typeEPT_S5_S5_,comdat
	.protected	_Z33warp_inclusive_scan_reduce_kernelI6__halfLj64ELj2EENSt9enable_ifIXsr10test_utilsE35device_test_enabled_for_warp_size_vIXT1_EEEvE4typeEPT_S5_S5_ ; -- Begin function _Z33warp_inclusive_scan_reduce_kernelI6__halfLj64ELj2EENSt9enable_ifIXsr10test_utilsE35device_test_enabled_for_warp_size_vIXT1_EEEvE4typeEPT_S5_S5_
	.globl	_Z33warp_inclusive_scan_reduce_kernelI6__halfLj64ELj2EENSt9enable_ifIXsr10test_utilsE35device_test_enabled_for_warp_size_vIXT1_EEEvE4typeEPT_S5_S5_
	.p2align	8
	.type	_Z33warp_inclusive_scan_reduce_kernelI6__halfLj64ELj2EENSt9enable_ifIXsr10test_utilsE35device_test_enabled_for_warp_size_vIXT1_EEEvE4typeEPT_S5_S5_,@function
_Z33warp_inclusive_scan_reduce_kernelI6__halfLj64ELj2EENSt9enable_ifIXsr10test_utilsE35device_test_enabled_for_warp_size_vIXT1_EEEvE4typeEPT_S5_S5_: ; @_Z33warp_inclusive_scan_reduce_kernelI6__halfLj64ELj2EENSt9enable_ifIXsr10test_utilsE35device_test_enabled_for_warp_size_vIXT1_EEEvE4typeEPT_S5_S5_
; %bb.0:
	s_clause 0x1
	s_load_b128 s[4:7], s[0:1], 0x0
	s_load_b64 s[2:3], s[0:1], 0x10
	v_mov_b32_e32 v2, 0
	v_lshl_or_b32 v1, s15, 6, v0
	s_bitcmp1_b32 s15, 0
	s_cselect_b32 s1, -1, 0
	s_delay_alu instid0(VALU_DEP_1) | instskip(SKIP_1) | instid1(VALU_DEP_1)
	v_lshlrev_b64 v[2:3], 1, v[1:2]
	s_waitcnt lgkmcnt(0)
	v_add_co_u32 v4, vcc_lo, s4, v2
	s_delay_alu instid0(VALU_DEP_2) | instskip(SKIP_4) | instid1(VALU_DEP_1)
	v_add_co_ci_u32_e32 v5, vcc_lo, s5, v3, vcc_lo
	s_and_b32 vcc_lo, exec_lo, s1
	s_mov_b32 s1, -1
	global_load_u16 v5, v[4:5], off
	v_mbcnt_lo_u32_b32 v4, -1, 0
	v_and_b32_e32 v6, 1, v4
	v_lshl_or_b32 v7, v4, 2, 4
	s_delay_alu instid0(VALU_DEP_2)
	v_cmp_eq_u32_e64 s0, 0, v6
	s_waitcnt vmcnt(0)
	v_and_b32_e32 v8, 0xffff, v5
	s_cbranch_vccz .LBB93_2
; %bb.1:
	s_delay_alu instid0(VALU_DEP_1) | instskip(NEXT) | instid1(VALU_DEP_1)
	v_mov_b32_dpp v4, v8 row_shr:1 row_mask:0xf bank_mask:0xf
	v_add_f16_e32 v4, v5, v4
	s_delay_alu instid0(VALU_DEP_1) | instskip(NEXT) | instid1(VALU_DEP_1)
	v_cndmask_b32_e64 v6, v4, v5, s0
	v_and_b32_e32 v4, 0xffff, v6
	ds_bpermute_b32 v4, v7, v4
	s_cbranch_execz .LBB93_3
	s_branch .LBB93_4
.LBB93_2:
                                        ; implicit-def: $vgpr6
                                        ; implicit-def: $vgpr4
	s_and_not1_b32 vcc_lo, exec_lo, s1
	s_cbranch_vccnz .LBB93_4
.LBB93_3:
	s_waitcnt lgkmcnt(0)
	v_mov_b32_dpp v4, v8 row_shr:1 row_mask:0xf bank_mask:0xf
	s_delay_alu instid0(VALU_DEP_1) | instskip(NEXT) | instid1(VALU_DEP_1)
	v_add_f16_e32 v4, v5, v4
	v_cndmask_b32_e64 v6, v4, v5, s0
	s_delay_alu instid0(VALU_DEP_1)
	v_and_b32_e32 v4, 0xffff, v6
	ds_bpermute_b32 v4, v7, v4
.LBB93_4:
	v_add_co_u32 v2, vcc_lo, s6, v2
	v_and_b32_e32 v0, 1, v0
	v_add_co_ci_u32_e32 v3, vcc_lo, s7, v3, vcc_lo
	s_mov_b32 s0, exec_lo
	global_store_b16 v[2:3], v6, off
	v_cmpx_eq_u32_e32 0, v0
	s_cbranch_execz .LBB93_6
; %bb.5:
	v_add_co_u32 v0, s0, s2, v1
	s_delay_alu instid0(VALU_DEP_1)
	v_add_co_ci_u32_e64 v1, null, s3, 0, s0
	s_waitcnt lgkmcnt(0)
	global_store_b16 v[0:1], v4, off
.LBB93_6:
	s_nop 0
	s_sendmsg sendmsg(MSG_DEALLOC_VGPRS)
	s_endpgm
	.section	.rodata,"a",@progbits
	.p2align	6, 0x0
	.amdhsa_kernel _Z33warp_inclusive_scan_reduce_kernelI6__halfLj64ELj2EENSt9enable_ifIXsr10test_utilsE35device_test_enabled_for_warp_size_vIXT1_EEEvE4typeEPT_S5_S5_
		.amdhsa_group_segment_fixed_size 0
		.amdhsa_private_segment_fixed_size 0
		.amdhsa_kernarg_size 24
		.amdhsa_user_sgpr_count 15
		.amdhsa_user_sgpr_dispatch_ptr 0
		.amdhsa_user_sgpr_queue_ptr 0
		.amdhsa_user_sgpr_kernarg_segment_ptr 1
		.amdhsa_user_sgpr_dispatch_id 0
		.amdhsa_user_sgpr_private_segment_size 0
		.amdhsa_wavefront_size32 1
		.amdhsa_uses_dynamic_stack 0
		.amdhsa_enable_private_segment 0
		.amdhsa_system_sgpr_workgroup_id_x 1
		.amdhsa_system_sgpr_workgroup_id_y 0
		.amdhsa_system_sgpr_workgroup_id_z 0
		.amdhsa_system_sgpr_workgroup_info 0
		.amdhsa_system_vgpr_workitem_id 0
		.amdhsa_next_free_vgpr 9
		.amdhsa_next_free_sgpr 16
		.amdhsa_reserve_vcc 1
		.amdhsa_float_round_mode_32 0
		.amdhsa_float_round_mode_16_64 0
		.amdhsa_float_denorm_mode_32 3
		.amdhsa_float_denorm_mode_16_64 3
		.amdhsa_dx10_clamp 1
		.amdhsa_ieee_mode 1
		.amdhsa_fp16_overflow 0
		.amdhsa_workgroup_processor_mode 1
		.amdhsa_memory_ordered 1
		.amdhsa_forward_progress 0
		.amdhsa_shared_vgpr_count 0
		.amdhsa_exception_fp_ieee_invalid_op 0
		.amdhsa_exception_fp_denorm_src 0
		.amdhsa_exception_fp_ieee_div_zero 0
		.amdhsa_exception_fp_ieee_overflow 0
		.amdhsa_exception_fp_ieee_underflow 0
		.amdhsa_exception_fp_ieee_inexact 0
		.amdhsa_exception_int_div_zero 0
	.end_amdhsa_kernel
	.section	.text._Z33warp_inclusive_scan_reduce_kernelI6__halfLj64ELj2EENSt9enable_ifIXsr10test_utilsE35device_test_enabled_for_warp_size_vIXT1_EEEvE4typeEPT_S5_S5_,"axG",@progbits,_Z33warp_inclusive_scan_reduce_kernelI6__halfLj64ELj2EENSt9enable_ifIXsr10test_utilsE35device_test_enabled_for_warp_size_vIXT1_EEEvE4typeEPT_S5_S5_,comdat
.Lfunc_end93:
	.size	_Z33warp_inclusive_scan_reduce_kernelI6__halfLj64ELj2EENSt9enable_ifIXsr10test_utilsE35device_test_enabled_for_warp_size_vIXT1_EEEvE4typeEPT_S5_S5_, .Lfunc_end93-_Z33warp_inclusive_scan_reduce_kernelI6__halfLj64ELj2EENSt9enable_ifIXsr10test_utilsE35device_test_enabled_for_warp_size_vIXT1_EEEvE4typeEPT_S5_S5_
                                        ; -- End function
	.section	.AMDGPU.csdata,"",@progbits
; Kernel info:
; codeLenInByte = 324
; NumSgprs: 18
; NumVgprs: 9
; ScratchSize: 0
; MemoryBound: 0
; FloatMode: 240
; IeeeMode: 1
; LDSByteSize: 0 bytes/workgroup (compile time only)
; SGPRBlocks: 2
; VGPRBlocks: 1
; NumSGPRsForWavesPerEU: 18
; NumVGPRsForWavesPerEU: 9
; Occupancy: 16
; WaveLimiterHint : 0
; COMPUTE_PGM_RSRC2:SCRATCH_EN: 0
; COMPUTE_PGM_RSRC2:USER_SGPR: 15
; COMPUTE_PGM_RSRC2:TRAP_HANDLER: 0
; COMPUTE_PGM_RSRC2:TGID_X_EN: 1
; COMPUTE_PGM_RSRC2:TGID_Y_EN: 0
; COMPUTE_PGM_RSRC2:TGID_Z_EN: 0
; COMPUTE_PGM_RSRC2:TIDIG_COMP_CNT: 0
	.section	.text._Z33warp_inclusive_scan_reduce_kernelIfLj256ELj64EENSt9enable_ifIXntsr10test_utilsE35device_test_enabled_for_warp_size_vIXT1_EEEvE4typeEPT_S4_S4_,"axG",@progbits,_Z33warp_inclusive_scan_reduce_kernelIfLj256ELj64EENSt9enable_ifIXntsr10test_utilsE35device_test_enabled_for_warp_size_vIXT1_EEEvE4typeEPT_S4_S4_,comdat
	.protected	_Z33warp_inclusive_scan_reduce_kernelIfLj256ELj64EENSt9enable_ifIXntsr10test_utilsE35device_test_enabled_for_warp_size_vIXT1_EEEvE4typeEPT_S4_S4_ ; -- Begin function _Z33warp_inclusive_scan_reduce_kernelIfLj256ELj64EENSt9enable_ifIXntsr10test_utilsE35device_test_enabled_for_warp_size_vIXT1_EEEvE4typeEPT_S4_S4_
	.globl	_Z33warp_inclusive_scan_reduce_kernelIfLj256ELj64EENSt9enable_ifIXntsr10test_utilsE35device_test_enabled_for_warp_size_vIXT1_EEEvE4typeEPT_S4_S4_
	.p2align	8
	.type	_Z33warp_inclusive_scan_reduce_kernelIfLj256ELj64EENSt9enable_ifIXntsr10test_utilsE35device_test_enabled_for_warp_size_vIXT1_EEEvE4typeEPT_S4_S4_,@function
_Z33warp_inclusive_scan_reduce_kernelIfLj256ELj64EENSt9enable_ifIXntsr10test_utilsE35device_test_enabled_for_warp_size_vIXT1_EEEvE4typeEPT_S4_S4_: ; @_Z33warp_inclusive_scan_reduce_kernelIfLj256ELj64EENSt9enable_ifIXntsr10test_utilsE35device_test_enabled_for_warp_size_vIXT1_EEEvE4typeEPT_S4_S4_
; %bb.0:
	s_endpgm
	.section	.rodata,"a",@progbits
	.p2align	6, 0x0
	.amdhsa_kernel _Z33warp_inclusive_scan_reduce_kernelIfLj256ELj64EENSt9enable_ifIXntsr10test_utilsE35device_test_enabled_for_warp_size_vIXT1_EEEvE4typeEPT_S4_S4_
		.amdhsa_group_segment_fixed_size 0
		.amdhsa_private_segment_fixed_size 0
		.amdhsa_kernarg_size 24
		.amdhsa_user_sgpr_count 15
		.amdhsa_user_sgpr_dispatch_ptr 0
		.amdhsa_user_sgpr_queue_ptr 0
		.amdhsa_user_sgpr_kernarg_segment_ptr 1
		.amdhsa_user_sgpr_dispatch_id 0
		.amdhsa_user_sgpr_private_segment_size 0
		.amdhsa_wavefront_size32 1
		.amdhsa_uses_dynamic_stack 0
		.amdhsa_enable_private_segment 0
		.amdhsa_system_sgpr_workgroup_id_x 1
		.amdhsa_system_sgpr_workgroup_id_y 0
		.amdhsa_system_sgpr_workgroup_id_z 0
		.amdhsa_system_sgpr_workgroup_info 0
		.amdhsa_system_vgpr_workitem_id 0
		.amdhsa_next_free_vgpr 1
		.amdhsa_next_free_sgpr 1
		.amdhsa_reserve_vcc 0
		.amdhsa_float_round_mode_32 0
		.amdhsa_float_round_mode_16_64 0
		.amdhsa_float_denorm_mode_32 3
		.amdhsa_float_denorm_mode_16_64 3
		.amdhsa_dx10_clamp 1
		.amdhsa_ieee_mode 1
		.amdhsa_fp16_overflow 0
		.amdhsa_workgroup_processor_mode 1
		.amdhsa_memory_ordered 1
		.amdhsa_forward_progress 0
		.amdhsa_shared_vgpr_count 0
		.amdhsa_exception_fp_ieee_invalid_op 0
		.amdhsa_exception_fp_denorm_src 0
		.amdhsa_exception_fp_ieee_div_zero 0
		.amdhsa_exception_fp_ieee_overflow 0
		.amdhsa_exception_fp_ieee_underflow 0
		.amdhsa_exception_fp_ieee_inexact 0
		.amdhsa_exception_int_div_zero 0
	.end_amdhsa_kernel
	.section	.text._Z33warp_inclusive_scan_reduce_kernelIfLj256ELj64EENSt9enable_ifIXntsr10test_utilsE35device_test_enabled_for_warp_size_vIXT1_EEEvE4typeEPT_S4_S4_,"axG",@progbits,_Z33warp_inclusive_scan_reduce_kernelIfLj256ELj64EENSt9enable_ifIXntsr10test_utilsE35device_test_enabled_for_warp_size_vIXT1_EEEvE4typeEPT_S4_S4_,comdat
.Lfunc_end94:
	.size	_Z33warp_inclusive_scan_reduce_kernelIfLj256ELj64EENSt9enable_ifIXntsr10test_utilsE35device_test_enabled_for_warp_size_vIXT1_EEEvE4typeEPT_S4_S4_, .Lfunc_end94-_Z33warp_inclusive_scan_reduce_kernelIfLj256ELj64EENSt9enable_ifIXntsr10test_utilsE35device_test_enabled_for_warp_size_vIXT1_EEEvE4typeEPT_S4_S4_
                                        ; -- End function
	.section	.AMDGPU.csdata,"",@progbits
; Kernel info:
; codeLenInByte = 4
; NumSgprs: 0
; NumVgprs: 0
; ScratchSize: 0
; MemoryBound: 0
; FloatMode: 240
; IeeeMode: 1
; LDSByteSize: 0 bytes/workgroup (compile time only)
; SGPRBlocks: 0
; VGPRBlocks: 0
; NumSGPRsForWavesPerEU: 1
; NumVGPRsForWavesPerEU: 1
; Occupancy: 16
; WaveLimiterHint : 0
; COMPUTE_PGM_RSRC2:SCRATCH_EN: 0
; COMPUTE_PGM_RSRC2:USER_SGPR: 15
; COMPUTE_PGM_RSRC2:TRAP_HANDLER: 0
; COMPUTE_PGM_RSRC2:TGID_X_EN: 1
; COMPUTE_PGM_RSRC2:TGID_Y_EN: 0
; COMPUTE_PGM_RSRC2:TGID_Z_EN: 0
; COMPUTE_PGM_RSRC2:TIDIG_COMP_CNT: 0
	.section	.text._Z33warp_inclusive_scan_reduce_kernelIfLj128ELj32EENSt9enable_ifIXsr10test_utilsE35device_test_enabled_for_warp_size_vIXT1_EEEvE4typeEPT_S4_S4_,"axG",@progbits,_Z33warp_inclusive_scan_reduce_kernelIfLj128ELj32EENSt9enable_ifIXsr10test_utilsE35device_test_enabled_for_warp_size_vIXT1_EEEvE4typeEPT_S4_S4_,comdat
	.protected	_Z33warp_inclusive_scan_reduce_kernelIfLj128ELj32EENSt9enable_ifIXsr10test_utilsE35device_test_enabled_for_warp_size_vIXT1_EEEvE4typeEPT_S4_S4_ ; -- Begin function _Z33warp_inclusive_scan_reduce_kernelIfLj128ELj32EENSt9enable_ifIXsr10test_utilsE35device_test_enabled_for_warp_size_vIXT1_EEEvE4typeEPT_S4_S4_
	.globl	_Z33warp_inclusive_scan_reduce_kernelIfLj128ELj32EENSt9enable_ifIXsr10test_utilsE35device_test_enabled_for_warp_size_vIXT1_EEEvE4typeEPT_S4_S4_
	.p2align	8
	.type	_Z33warp_inclusive_scan_reduce_kernelIfLj128ELj32EENSt9enable_ifIXsr10test_utilsE35device_test_enabled_for_warp_size_vIXT1_EEEvE4typeEPT_S4_S4_,@function
_Z33warp_inclusive_scan_reduce_kernelIfLj128ELj32EENSt9enable_ifIXsr10test_utilsE35device_test_enabled_for_warp_size_vIXT1_EEEvE4typeEPT_S4_S4_: ; @_Z33warp_inclusive_scan_reduce_kernelIfLj128ELj32EENSt9enable_ifIXsr10test_utilsE35device_test_enabled_for_warp_size_vIXT1_EEEvE4typeEPT_S4_S4_
; %bb.0:
	s_clause 0x1
	s_load_b128 s[4:7], s[0:1], 0x0
	s_load_b64 s[8:9], s[0:1], 0x10
	v_mov_b32_e32 v2, 0
	v_lshl_or_b32 v1, s15, 7, v0
	s_bitcmp1_b32 s15, 0
	s_delay_alu instid0(VALU_DEP_1) | instskip(SKIP_1) | instid1(VALU_DEP_1)
	v_lshlrev_b64 v[3:4], 2, v[1:2]
	s_waitcnt lgkmcnt(0)
	v_add_co_u32 v5, vcc_lo, s4, v3
	s_delay_alu instid0(VALU_DEP_2) | instskip(SKIP_1) | instid1(SALU_CYCLE_1)
	v_add_co_ci_u32_e32 v6, vcc_lo, s5, v4, vcc_lo
	s_cselect_b32 s4, -1, 0
	s_and_b32 vcc_lo, exec_lo, s4
	global_load_b32 v5, v[5:6], off
	v_mbcnt_lo_u32_b32 v6, -1, 0
	s_mov_b32 s4, -1
	s_delay_alu instid0(VALU_DEP_1) | instskip(SKIP_1) | instid1(VALU_DEP_2)
	v_and_b32_e32 v7, 15, v6
	v_and_b32_e32 v6, 16, v6
	v_cmp_eq_u32_e64 s3, 0, v7
	v_cmp_lt_u32_e64 s2, 1, v7
	v_cmp_lt_u32_e64 s1, 3, v7
	;; [unrolled: 1-line block ×3, first 2 shown]
	s_cbranch_vccz .LBB95_2
; %bb.1:
	s_waitcnt vmcnt(0)
	v_mov_b32_dpp v7, v5 row_shr:1 row_mask:0xf bank_mask:0xf
	v_cmp_eq_u32_e32 vcc_lo, 0, v6
	s_delay_alu instid0(VALU_DEP_2) | instskip(NEXT) | instid1(VALU_DEP_1)
	v_add_f32_e32 v7, v5, v7
	v_cndmask_b32_e64 v7, v7, v5, s3
	s_delay_alu instid0(VALU_DEP_1) | instskip(NEXT) | instid1(VALU_DEP_1)
	v_mov_b32_dpp v8, v7 row_shr:2 row_mask:0xf bank_mask:0xf
	v_add_f32_e32 v8, v7, v8
	s_delay_alu instid0(VALU_DEP_1) | instskip(NEXT) | instid1(VALU_DEP_1)
	v_cndmask_b32_e64 v7, v7, v8, s2
	v_mov_b32_dpp v8, v7 row_shr:4 row_mask:0xf bank_mask:0xf
	s_delay_alu instid0(VALU_DEP_1) | instskip(NEXT) | instid1(VALU_DEP_1)
	v_add_f32_e32 v8, v7, v8
	v_cndmask_b32_e64 v7, v7, v8, s1
	s_delay_alu instid0(VALU_DEP_1) | instskip(NEXT) | instid1(VALU_DEP_1)
	v_mov_b32_dpp v8, v7 row_shr:8 row_mask:0xf bank_mask:0xf
	v_add_f32_e32 v8, v7, v8
	s_delay_alu instid0(VALU_DEP_1) | instskip(SKIP_3) | instid1(VALU_DEP_1)
	v_cndmask_b32_e64 v7, v7, v8, s0
	ds_swizzle_b32 v8, v7 offset:swizzle(BROADCAST,32,15)
	s_waitcnt lgkmcnt(0)
	v_add_f32_e32 v8, v7, v8
	v_cndmask_b32_e32 v7, v8, v7, vcc_lo
	ds_bpermute_b32 v2, v2, v7 offset:124
	s_cbranch_execz .LBB95_3
	s_branch .LBB95_4
.LBB95_2:
                                        ; implicit-def: $vgpr7
                                        ; implicit-def: $vgpr2
	s_and_not1_b32 vcc_lo, exec_lo, s4
	s_cbranch_vccnz .LBB95_4
.LBB95_3:
	s_waitcnt vmcnt(0) lgkmcnt(0)
	v_mov_b32_dpp v2, v5 row_shr:1 row_mask:0xf bank_mask:0xf
	v_cmp_eq_u32_e32 vcc_lo, 0, v6
	s_delay_alu instid0(VALU_DEP_2) | instskip(NEXT) | instid1(VALU_DEP_1)
	v_add_f32_e32 v2, v5, v2
	v_cndmask_b32_e64 v2, v2, v5, s3
	s_delay_alu instid0(VALU_DEP_1) | instskip(NEXT) | instid1(VALU_DEP_1)
	v_mov_b32_dpp v5, v2 row_shr:2 row_mask:0xf bank_mask:0xf
	v_add_f32_e32 v5, v2, v5
	s_delay_alu instid0(VALU_DEP_1) | instskip(NEXT) | instid1(VALU_DEP_1)
	v_cndmask_b32_e64 v2, v2, v5, s2
	v_mov_b32_dpp v5, v2 row_shr:4 row_mask:0xf bank_mask:0xf
	s_delay_alu instid0(VALU_DEP_1) | instskip(NEXT) | instid1(VALU_DEP_1)
	v_add_f32_e32 v5, v2, v5
	v_cndmask_b32_e64 v2, v2, v5, s1
	s_delay_alu instid0(VALU_DEP_1) | instskip(NEXT) | instid1(VALU_DEP_1)
	v_mov_b32_dpp v5, v2 row_shr:8 row_mask:0xf bank_mask:0xf
	v_add_f32_e32 v5, v2, v5
	s_delay_alu instid0(VALU_DEP_1) | instskip(SKIP_3) | instid1(VALU_DEP_1)
	v_cndmask_b32_e64 v2, v2, v5, s0
	ds_swizzle_b32 v5, v2 offset:swizzle(BROADCAST,32,15)
	s_waitcnt lgkmcnt(0)
	v_add_f32_e32 v5, v2, v5
	v_dual_cndmask_b32 v7, v5, v2 :: v_dual_mov_b32 v2, 0
	ds_bpermute_b32 v2, v2, v7 offset:124
.LBB95_4:
	v_add_co_u32 v3, vcc_lo, s6, v3
	v_and_b32_e32 v0, 31, v0
	v_add_co_ci_u32_e32 v4, vcc_lo, s7, v4, vcc_lo
	s_mov_b32 s0, exec_lo
	global_store_b32 v[3:4], v7, off
	v_cmpx_eq_u32_e32 0, v0
	s_cbranch_execz .LBB95_6
; %bb.5:
	v_lshrrev_b32_e32 v0, 3, v1
	s_waitcnt lgkmcnt(0)
	global_store_b32 v0, v2, s[8:9]
.LBB95_6:
	s_nop 0
	s_sendmsg sendmsg(MSG_DEALLOC_VGPRS)
	s_endpgm
	.section	.rodata,"a",@progbits
	.p2align	6, 0x0
	.amdhsa_kernel _Z33warp_inclusive_scan_reduce_kernelIfLj128ELj32EENSt9enable_ifIXsr10test_utilsE35device_test_enabled_for_warp_size_vIXT1_EEEvE4typeEPT_S4_S4_
		.amdhsa_group_segment_fixed_size 0
		.amdhsa_private_segment_fixed_size 0
		.amdhsa_kernarg_size 24
		.amdhsa_user_sgpr_count 15
		.amdhsa_user_sgpr_dispatch_ptr 0
		.amdhsa_user_sgpr_queue_ptr 0
		.amdhsa_user_sgpr_kernarg_segment_ptr 1
		.amdhsa_user_sgpr_dispatch_id 0
		.amdhsa_user_sgpr_private_segment_size 0
		.amdhsa_wavefront_size32 1
		.amdhsa_uses_dynamic_stack 0
		.amdhsa_enable_private_segment 0
		.amdhsa_system_sgpr_workgroup_id_x 1
		.amdhsa_system_sgpr_workgroup_id_y 0
		.amdhsa_system_sgpr_workgroup_id_z 0
		.amdhsa_system_sgpr_workgroup_info 0
		.amdhsa_system_vgpr_workitem_id 0
		.amdhsa_next_free_vgpr 9
		.amdhsa_next_free_sgpr 16
		.amdhsa_reserve_vcc 1
		.amdhsa_float_round_mode_32 0
		.amdhsa_float_round_mode_16_64 0
		.amdhsa_float_denorm_mode_32 3
		.amdhsa_float_denorm_mode_16_64 3
		.amdhsa_dx10_clamp 1
		.amdhsa_ieee_mode 1
		.amdhsa_fp16_overflow 0
		.amdhsa_workgroup_processor_mode 1
		.amdhsa_memory_ordered 1
		.amdhsa_forward_progress 0
		.amdhsa_shared_vgpr_count 0
		.amdhsa_exception_fp_ieee_invalid_op 0
		.amdhsa_exception_fp_denorm_src 0
		.amdhsa_exception_fp_ieee_div_zero 0
		.amdhsa_exception_fp_ieee_overflow 0
		.amdhsa_exception_fp_ieee_underflow 0
		.amdhsa_exception_fp_ieee_inexact 0
		.amdhsa_exception_int_div_zero 0
	.end_amdhsa_kernel
	.section	.text._Z33warp_inclusive_scan_reduce_kernelIfLj128ELj32EENSt9enable_ifIXsr10test_utilsE35device_test_enabled_for_warp_size_vIXT1_EEEvE4typeEPT_S4_S4_,"axG",@progbits,_Z33warp_inclusive_scan_reduce_kernelIfLj128ELj32EENSt9enable_ifIXsr10test_utilsE35device_test_enabled_for_warp_size_vIXT1_EEEvE4typeEPT_S4_S4_,comdat
.Lfunc_end95:
	.size	_Z33warp_inclusive_scan_reduce_kernelIfLj128ELj32EENSt9enable_ifIXsr10test_utilsE35device_test_enabled_for_warp_size_vIXT1_EEEvE4typeEPT_S4_S4_, .Lfunc_end95-_Z33warp_inclusive_scan_reduce_kernelIfLj128ELj32EENSt9enable_ifIXsr10test_utilsE35device_test_enabled_for_warp_size_vIXT1_EEEvE4typeEPT_S4_S4_
                                        ; -- End function
	.section	.AMDGPU.csdata,"",@progbits
; Kernel info:
; codeLenInByte = 508
; NumSgprs: 18
; NumVgprs: 9
; ScratchSize: 0
; MemoryBound: 0
; FloatMode: 240
; IeeeMode: 1
; LDSByteSize: 0 bytes/workgroup (compile time only)
; SGPRBlocks: 2
; VGPRBlocks: 1
; NumSGPRsForWavesPerEU: 18
; NumVGPRsForWavesPerEU: 9
; Occupancy: 16
; WaveLimiterHint : 0
; COMPUTE_PGM_RSRC2:SCRATCH_EN: 0
; COMPUTE_PGM_RSRC2:USER_SGPR: 15
; COMPUTE_PGM_RSRC2:TRAP_HANDLER: 0
; COMPUTE_PGM_RSRC2:TGID_X_EN: 1
; COMPUTE_PGM_RSRC2:TGID_Y_EN: 0
; COMPUTE_PGM_RSRC2:TGID_Z_EN: 0
; COMPUTE_PGM_RSRC2:TIDIG_COMP_CNT: 0
	.section	.text._Z33warp_inclusive_scan_reduce_kernelIfLj64ELj16EENSt9enable_ifIXsr10test_utilsE35device_test_enabled_for_warp_size_vIXT1_EEEvE4typeEPT_S4_S4_,"axG",@progbits,_Z33warp_inclusive_scan_reduce_kernelIfLj64ELj16EENSt9enable_ifIXsr10test_utilsE35device_test_enabled_for_warp_size_vIXT1_EEEvE4typeEPT_S4_S4_,comdat
	.protected	_Z33warp_inclusive_scan_reduce_kernelIfLj64ELj16EENSt9enable_ifIXsr10test_utilsE35device_test_enabled_for_warp_size_vIXT1_EEEvE4typeEPT_S4_S4_ ; -- Begin function _Z33warp_inclusive_scan_reduce_kernelIfLj64ELj16EENSt9enable_ifIXsr10test_utilsE35device_test_enabled_for_warp_size_vIXT1_EEEvE4typeEPT_S4_S4_
	.globl	_Z33warp_inclusive_scan_reduce_kernelIfLj64ELj16EENSt9enable_ifIXsr10test_utilsE35device_test_enabled_for_warp_size_vIXT1_EEEvE4typeEPT_S4_S4_
	.p2align	8
	.type	_Z33warp_inclusive_scan_reduce_kernelIfLj64ELj16EENSt9enable_ifIXsr10test_utilsE35device_test_enabled_for_warp_size_vIXT1_EEEvE4typeEPT_S4_S4_,@function
_Z33warp_inclusive_scan_reduce_kernelIfLj64ELj16EENSt9enable_ifIXsr10test_utilsE35device_test_enabled_for_warp_size_vIXT1_EEEvE4typeEPT_S4_S4_: ; @_Z33warp_inclusive_scan_reduce_kernelIfLj64ELj16EENSt9enable_ifIXsr10test_utilsE35device_test_enabled_for_warp_size_vIXT1_EEEvE4typeEPT_S4_S4_
; %bb.0:
	s_clause 0x1
	s_load_b128 s[4:7], s[0:1], 0x0
	s_load_b64 s[8:9], s[0:1], 0x10
	v_mov_b32_e32 v2, 0
	v_lshl_or_b32 v1, s15, 6, v0
	s_bitcmp1_b32 s15, 0
	s_delay_alu instid0(VALU_DEP_1) | instskip(SKIP_1) | instid1(VALU_DEP_1)
	v_lshlrev_b64 v[2:3], 2, v[1:2]
	s_waitcnt lgkmcnt(0)
	v_add_co_u32 v4, vcc_lo, s4, v2
	s_delay_alu instid0(VALU_DEP_2) | instskip(SKIP_1) | instid1(SALU_CYCLE_1)
	v_add_co_ci_u32_e32 v5, vcc_lo, s5, v3, vcc_lo
	s_cselect_b32 s4, -1, 0
	s_and_b32 vcc_lo, exec_lo, s4
	global_load_b32 v4, v[4:5], off
	v_mbcnt_lo_u32_b32 v5, -1, 0
	s_mov_b32 s4, -1
	s_delay_alu instid0(VALU_DEP_1) | instskip(SKIP_1) | instid1(VALU_DEP_2)
	v_and_b32_e32 v6, 15, v5
	v_lshl_or_b32 v5, v5, 2, 60
	v_cmp_eq_u32_e64 s3, 0, v6
	v_cmp_lt_u32_e64 s2, 1, v6
	v_cmp_lt_u32_e64 s1, 3, v6
	v_cmp_lt_u32_e64 s0, 7, v6
	s_cbranch_vccz .LBB96_2
; %bb.1:
	s_waitcnt vmcnt(0)
	v_mov_b32_dpp v6, v4 row_shr:1 row_mask:0xf bank_mask:0xf
	s_delay_alu instid0(VALU_DEP_1) | instskip(NEXT) | instid1(VALU_DEP_1)
	v_add_f32_e32 v6, v4, v6
	v_cndmask_b32_e64 v6, v6, v4, s3
	s_delay_alu instid0(VALU_DEP_1) | instskip(NEXT) | instid1(VALU_DEP_1)
	v_mov_b32_dpp v7, v6 row_shr:2 row_mask:0xf bank_mask:0xf
	v_add_f32_e32 v7, v6, v7
	s_delay_alu instid0(VALU_DEP_1) | instskip(NEXT) | instid1(VALU_DEP_1)
	v_cndmask_b32_e64 v6, v6, v7, s2
	v_mov_b32_dpp v7, v6 row_shr:4 row_mask:0xf bank_mask:0xf
	s_delay_alu instid0(VALU_DEP_1) | instskip(NEXT) | instid1(VALU_DEP_1)
	v_add_f32_e32 v7, v6, v7
	v_cndmask_b32_e64 v6, v6, v7, s1
	s_delay_alu instid0(VALU_DEP_1) | instskip(NEXT) | instid1(VALU_DEP_1)
	v_mov_b32_dpp v7, v6 row_shr:8 row_mask:0xf bank_mask:0xf
	v_add_f32_e32 v7, v6, v7
	s_delay_alu instid0(VALU_DEP_1)
	v_cndmask_b32_e64 v7, v6, v7, s0
	ds_bpermute_b32 v6, v5, v7
	s_cbranch_execz .LBB96_3
	s_branch .LBB96_4
.LBB96_2:
                                        ; implicit-def: $vgpr7
                                        ; implicit-def: $vgpr6
	s_and_not1_b32 vcc_lo, exec_lo, s4
	s_cbranch_vccnz .LBB96_4
.LBB96_3:
	s_waitcnt vmcnt(0) lgkmcnt(0)
	v_mov_b32_dpp v6, v4 row_shr:1 row_mask:0xf bank_mask:0xf
	s_delay_alu instid0(VALU_DEP_1) | instskip(NEXT) | instid1(VALU_DEP_1)
	v_add_f32_e32 v6, v4, v6
	v_cndmask_b32_e64 v4, v6, v4, s3
	s_delay_alu instid0(VALU_DEP_1) | instskip(NEXT) | instid1(VALU_DEP_1)
	v_mov_b32_dpp v6, v4 row_shr:2 row_mask:0xf bank_mask:0xf
	v_add_f32_e32 v6, v4, v6
	s_delay_alu instid0(VALU_DEP_1) | instskip(NEXT) | instid1(VALU_DEP_1)
	v_cndmask_b32_e64 v4, v4, v6, s2
	v_mov_b32_dpp v6, v4 row_shr:4 row_mask:0xf bank_mask:0xf
	s_delay_alu instid0(VALU_DEP_1) | instskip(NEXT) | instid1(VALU_DEP_1)
	v_add_f32_e32 v6, v4, v6
	v_cndmask_b32_e64 v4, v4, v6, s1
	s_delay_alu instid0(VALU_DEP_1) | instskip(NEXT) | instid1(VALU_DEP_1)
	v_mov_b32_dpp v6, v4 row_shr:8 row_mask:0xf bank_mask:0xf
	v_add_f32_e32 v6, v4, v6
	s_delay_alu instid0(VALU_DEP_1)
	v_cndmask_b32_e64 v7, v4, v6, s0
	ds_bpermute_b32 v6, v5, v7
.LBB96_4:
	v_add_co_u32 v2, vcc_lo, s6, v2
	v_and_b32_e32 v0, 15, v0
	v_add_co_ci_u32_e32 v3, vcc_lo, s7, v3, vcc_lo
	s_mov_b32 s0, exec_lo
	global_store_b32 v[2:3], v7, off
	v_cmpx_eq_u32_e32 0, v0
	s_cbranch_execz .LBB96_6
; %bb.5:
	v_lshrrev_b32_e32 v0, 2, v1
	s_waitcnt lgkmcnt(0)
	global_store_b32 v0, v6, s[8:9]
.LBB96_6:
	s_nop 0
	s_sendmsg sendmsg(MSG_DEALLOC_VGPRS)
	s_endpgm
	.section	.rodata,"a",@progbits
	.p2align	6, 0x0
	.amdhsa_kernel _Z33warp_inclusive_scan_reduce_kernelIfLj64ELj16EENSt9enable_ifIXsr10test_utilsE35device_test_enabled_for_warp_size_vIXT1_EEEvE4typeEPT_S4_S4_
		.amdhsa_group_segment_fixed_size 0
		.amdhsa_private_segment_fixed_size 0
		.amdhsa_kernarg_size 24
		.amdhsa_user_sgpr_count 15
		.amdhsa_user_sgpr_dispatch_ptr 0
		.amdhsa_user_sgpr_queue_ptr 0
		.amdhsa_user_sgpr_kernarg_segment_ptr 1
		.amdhsa_user_sgpr_dispatch_id 0
		.amdhsa_user_sgpr_private_segment_size 0
		.amdhsa_wavefront_size32 1
		.amdhsa_uses_dynamic_stack 0
		.amdhsa_enable_private_segment 0
		.amdhsa_system_sgpr_workgroup_id_x 1
		.amdhsa_system_sgpr_workgroup_id_y 0
		.amdhsa_system_sgpr_workgroup_id_z 0
		.amdhsa_system_sgpr_workgroup_info 0
		.amdhsa_system_vgpr_workitem_id 0
		.amdhsa_next_free_vgpr 8
		.amdhsa_next_free_sgpr 16
		.amdhsa_reserve_vcc 1
		.amdhsa_float_round_mode_32 0
		.amdhsa_float_round_mode_16_64 0
		.amdhsa_float_denorm_mode_32 3
		.amdhsa_float_denorm_mode_16_64 3
		.amdhsa_dx10_clamp 1
		.amdhsa_ieee_mode 1
		.amdhsa_fp16_overflow 0
		.amdhsa_workgroup_processor_mode 1
		.amdhsa_memory_ordered 1
		.amdhsa_forward_progress 0
		.amdhsa_shared_vgpr_count 0
		.amdhsa_exception_fp_ieee_invalid_op 0
		.amdhsa_exception_fp_denorm_src 0
		.amdhsa_exception_fp_ieee_div_zero 0
		.amdhsa_exception_fp_ieee_overflow 0
		.amdhsa_exception_fp_ieee_underflow 0
		.amdhsa_exception_fp_ieee_inexact 0
		.amdhsa_exception_int_div_zero 0
	.end_amdhsa_kernel
	.section	.text._Z33warp_inclusive_scan_reduce_kernelIfLj64ELj16EENSt9enable_ifIXsr10test_utilsE35device_test_enabled_for_warp_size_vIXT1_EEEvE4typeEPT_S4_S4_,"axG",@progbits,_Z33warp_inclusive_scan_reduce_kernelIfLj64ELj16EENSt9enable_ifIXsr10test_utilsE35device_test_enabled_for_warp_size_vIXT1_EEEvE4typeEPT_S4_S4_,comdat
.Lfunc_end96:
	.size	_Z33warp_inclusive_scan_reduce_kernelIfLj64ELj16EENSt9enable_ifIXsr10test_utilsE35device_test_enabled_for_warp_size_vIXT1_EEEvE4typeEPT_S4_S4_, .Lfunc_end96-_Z33warp_inclusive_scan_reduce_kernelIfLj64ELj16EENSt9enable_ifIXsr10test_utilsE35device_test_enabled_for_warp_size_vIXT1_EEEvE4typeEPT_S4_S4_
                                        ; -- End function
	.section	.AMDGPU.csdata,"",@progbits
; Kernel info:
; codeLenInByte = 460
; NumSgprs: 18
; NumVgprs: 8
; ScratchSize: 0
; MemoryBound: 0
; FloatMode: 240
; IeeeMode: 1
; LDSByteSize: 0 bytes/workgroup (compile time only)
; SGPRBlocks: 2
; VGPRBlocks: 0
; NumSGPRsForWavesPerEU: 18
; NumVGPRsForWavesPerEU: 8
; Occupancy: 16
; WaveLimiterHint : 0
; COMPUTE_PGM_RSRC2:SCRATCH_EN: 0
; COMPUTE_PGM_RSRC2:USER_SGPR: 15
; COMPUTE_PGM_RSRC2:TRAP_HANDLER: 0
; COMPUTE_PGM_RSRC2:TGID_X_EN: 1
; COMPUTE_PGM_RSRC2:TGID_Y_EN: 0
; COMPUTE_PGM_RSRC2:TGID_Z_EN: 0
; COMPUTE_PGM_RSRC2:TIDIG_COMP_CNT: 0
	.section	.text._Z33warp_inclusive_scan_reduce_kernelIfLj32ELj8EENSt9enable_ifIXsr10test_utilsE35device_test_enabled_for_warp_size_vIXT1_EEEvE4typeEPT_S4_S4_,"axG",@progbits,_Z33warp_inclusive_scan_reduce_kernelIfLj32ELj8EENSt9enable_ifIXsr10test_utilsE35device_test_enabled_for_warp_size_vIXT1_EEEvE4typeEPT_S4_S4_,comdat
	.protected	_Z33warp_inclusive_scan_reduce_kernelIfLj32ELj8EENSt9enable_ifIXsr10test_utilsE35device_test_enabled_for_warp_size_vIXT1_EEEvE4typeEPT_S4_S4_ ; -- Begin function _Z33warp_inclusive_scan_reduce_kernelIfLj32ELj8EENSt9enable_ifIXsr10test_utilsE35device_test_enabled_for_warp_size_vIXT1_EEEvE4typeEPT_S4_S4_
	.globl	_Z33warp_inclusive_scan_reduce_kernelIfLj32ELj8EENSt9enable_ifIXsr10test_utilsE35device_test_enabled_for_warp_size_vIXT1_EEEvE4typeEPT_S4_S4_
	.p2align	8
	.type	_Z33warp_inclusive_scan_reduce_kernelIfLj32ELj8EENSt9enable_ifIXsr10test_utilsE35device_test_enabled_for_warp_size_vIXT1_EEEvE4typeEPT_S4_S4_,@function
_Z33warp_inclusive_scan_reduce_kernelIfLj32ELj8EENSt9enable_ifIXsr10test_utilsE35device_test_enabled_for_warp_size_vIXT1_EEEvE4typeEPT_S4_S4_: ; @_Z33warp_inclusive_scan_reduce_kernelIfLj32ELj8EENSt9enable_ifIXsr10test_utilsE35device_test_enabled_for_warp_size_vIXT1_EEEvE4typeEPT_S4_S4_
; %bb.0:
	s_clause 0x1
	s_load_b128 s[4:7], s[0:1], 0x0
	s_load_b64 s[8:9], s[0:1], 0x10
	v_mov_b32_e32 v2, 0
	v_lshl_or_b32 v1, s15, 5, v0
	s_bitcmp1_b32 s15, 0
	s_cselect_b32 s3, -1, 0
	s_delay_alu instid0(VALU_DEP_1) | instskip(SKIP_1) | instid1(VALU_DEP_1)
	v_lshlrev_b64 v[2:3], 2, v[1:2]
	s_waitcnt lgkmcnt(0)
	v_add_co_u32 v4, vcc_lo, s4, v2
	s_delay_alu instid0(VALU_DEP_2) | instskip(SKIP_4) | instid1(VALU_DEP_1)
	v_add_co_ci_u32_e32 v5, vcc_lo, s5, v3, vcc_lo
	s_and_b32 vcc_lo, exec_lo, s3
	s_mov_b32 s3, -1
	global_load_b32 v4, v[4:5], off
	v_mbcnt_lo_u32_b32 v5, -1, 0
	v_and_b32_e32 v6, 7, v5
	v_lshl_or_b32 v5, v5, 2, 28
	s_delay_alu instid0(VALU_DEP_2)
	v_cmp_eq_u32_e64 s2, 0, v6
	v_cmp_lt_u32_e64 s1, 1, v6
	v_cmp_lt_u32_e64 s0, 3, v6
	s_cbranch_vccz .LBB97_2
; %bb.1:
	s_waitcnt vmcnt(0)
	v_mov_b32_dpp v6, v4 row_shr:1 row_mask:0xf bank_mask:0xf
	s_delay_alu instid0(VALU_DEP_1) | instskip(NEXT) | instid1(VALU_DEP_1)
	v_add_f32_e32 v6, v4, v6
	v_cndmask_b32_e64 v6, v6, v4, s2
	s_delay_alu instid0(VALU_DEP_1) | instskip(NEXT) | instid1(VALU_DEP_1)
	v_mov_b32_dpp v7, v6 row_shr:2 row_mask:0xf bank_mask:0xf
	v_add_f32_e32 v7, v6, v7
	s_delay_alu instid0(VALU_DEP_1) | instskip(NEXT) | instid1(VALU_DEP_1)
	v_cndmask_b32_e64 v6, v6, v7, s1
	v_mov_b32_dpp v7, v6 row_shr:4 row_mask:0xf bank_mask:0xf
	s_delay_alu instid0(VALU_DEP_1) | instskip(NEXT) | instid1(VALU_DEP_1)
	v_add_f32_e32 v7, v6, v7
	v_cndmask_b32_e64 v7, v6, v7, s0
	ds_bpermute_b32 v6, v5, v7
	s_cbranch_execz .LBB97_3
	s_branch .LBB97_4
.LBB97_2:
                                        ; implicit-def: $vgpr7
                                        ; implicit-def: $vgpr6
	s_and_not1_b32 vcc_lo, exec_lo, s3
	s_cbranch_vccnz .LBB97_4
.LBB97_3:
	s_waitcnt vmcnt(0) lgkmcnt(0)
	v_mov_b32_dpp v6, v4 row_shr:1 row_mask:0xf bank_mask:0xf
	s_delay_alu instid0(VALU_DEP_1) | instskip(NEXT) | instid1(VALU_DEP_1)
	v_add_f32_e32 v6, v4, v6
	v_cndmask_b32_e64 v4, v6, v4, s2
	s_delay_alu instid0(VALU_DEP_1) | instskip(NEXT) | instid1(VALU_DEP_1)
	v_mov_b32_dpp v6, v4 row_shr:2 row_mask:0xf bank_mask:0xf
	v_add_f32_e32 v6, v4, v6
	s_delay_alu instid0(VALU_DEP_1) | instskip(NEXT) | instid1(VALU_DEP_1)
	v_cndmask_b32_e64 v4, v4, v6, s1
	v_mov_b32_dpp v6, v4 row_shr:4 row_mask:0xf bank_mask:0xf
	s_delay_alu instid0(VALU_DEP_1) | instskip(NEXT) | instid1(VALU_DEP_1)
	v_add_f32_e32 v6, v4, v6
	v_cndmask_b32_e64 v7, v4, v6, s0
	ds_bpermute_b32 v6, v5, v7
.LBB97_4:
	v_add_co_u32 v2, vcc_lo, s6, v2
	v_and_b32_e32 v0, 7, v0
	v_add_co_ci_u32_e32 v3, vcc_lo, s7, v3, vcc_lo
	s_mov_b32 s0, exec_lo
	global_store_b32 v[2:3], v7, off
	v_cmpx_eq_u32_e32 0, v0
	s_cbranch_execz .LBB97_6
; %bb.5:
	v_lshrrev_b32_e32 v0, 1, v1
	s_waitcnt lgkmcnt(0)
	global_store_b32 v0, v6, s[8:9]
.LBB97_6:
	s_nop 0
	s_sendmsg sendmsg(MSG_DEALLOC_VGPRS)
	s_endpgm
	.section	.rodata,"a",@progbits
	.p2align	6, 0x0
	.amdhsa_kernel _Z33warp_inclusive_scan_reduce_kernelIfLj32ELj8EENSt9enable_ifIXsr10test_utilsE35device_test_enabled_for_warp_size_vIXT1_EEEvE4typeEPT_S4_S4_
		.amdhsa_group_segment_fixed_size 0
		.amdhsa_private_segment_fixed_size 0
		.amdhsa_kernarg_size 24
		.amdhsa_user_sgpr_count 15
		.amdhsa_user_sgpr_dispatch_ptr 0
		.amdhsa_user_sgpr_queue_ptr 0
		.amdhsa_user_sgpr_kernarg_segment_ptr 1
		.amdhsa_user_sgpr_dispatch_id 0
		.amdhsa_user_sgpr_private_segment_size 0
		.amdhsa_wavefront_size32 1
		.amdhsa_uses_dynamic_stack 0
		.amdhsa_enable_private_segment 0
		.amdhsa_system_sgpr_workgroup_id_x 1
		.amdhsa_system_sgpr_workgroup_id_y 0
		.amdhsa_system_sgpr_workgroup_id_z 0
		.amdhsa_system_sgpr_workgroup_info 0
		.amdhsa_system_vgpr_workitem_id 0
		.amdhsa_next_free_vgpr 8
		.amdhsa_next_free_sgpr 16
		.amdhsa_reserve_vcc 1
		.amdhsa_float_round_mode_32 0
		.amdhsa_float_round_mode_16_64 0
		.amdhsa_float_denorm_mode_32 3
		.amdhsa_float_denorm_mode_16_64 3
		.amdhsa_dx10_clamp 1
		.amdhsa_ieee_mode 1
		.amdhsa_fp16_overflow 0
		.amdhsa_workgroup_processor_mode 1
		.amdhsa_memory_ordered 1
		.amdhsa_forward_progress 0
		.amdhsa_shared_vgpr_count 0
		.amdhsa_exception_fp_ieee_invalid_op 0
		.amdhsa_exception_fp_denorm_src 0
		.amdhsa_exception_fp_ieee_div_zero 0
		.amdhsa_exception_fp_ieee_overflow 0
		.amdhsa_exception_fp_ieee_underflow 0
		.amdhsa_exception_fp_ieee_inexact 0
		.amdhsa_exception_int_div_zero 0
	.end_amdhsa_kernel
	.section	.text._Z33warp_inclusive_scan_reduce_kernelIfLj32ELj8EENSt9enable_ifIXsr10test_utilsE35device_test_enabled_for_warp_size_vIXT1_EEEvE4typeEPT_S4_S4_,"axG",@progbits,_Z33warp_inclusive_scan_reduce_kernelIfLj32ELj8EENSt9enable_ifIXsr10test_utilsE35device_test_enabled_for_warp_size_vIXT1_EEEvE4typeEPT_S4_S4_,comdat
.Lfunc_end97:
	.size	_Z33warp_inclusive_scan_reduce_kernelIfLj32ELj8EENSt9enable_ifIXsr10test_utilsE35device_test_enabled_for_warp_size_vIXT1_EEEvE4typeEPT_S4_S4_, .Lfunc_end97-_Z33warp_inclusive_scan_reduce_kernelIfLj32ELj8EENSt9enable_ifIXsr10test_utilsE35device_test_enabled_for_warp_size_vIXT1_EEEvE4typeEPT_S4_S4_
                                        ; -- End function
	.section	.AMDGPU.csdata,"",@progbits
; Kernel info:
; codeLenInByte = 396
; NumSgprs: 18
; NumVgprs: 8
; ScratchSize: 0
; MemoryBound: 0
; FloatMode: 240
; IeeeMode: 1
; LDSByteSize: 0 bytes/workgroup (compile time only)
; SGPRBlocks: 2
; VGPRBlocks: 0
; NumSGPRsForWavesPerEU: 18
; NumVGPRsForWavesPerEU: 8
; Occupancy: 16
; WaveLimiterHint : 0
; COMPUTE_PGM_RSRC2:SCRATCH_EN: 0
; COMPUTE_PGM_RSRC2:USER_SGPR: 15
; COMPUTE_PGM_RSRC2:TRAP_HANDLER: 0
; COMPUTE_PGM_RSRC2:TGID_X_EN: 1
; COMPUTE_PGM_RSRC2:TGID_Y_EN: 0
; COMPUTE_PGM_RSRC2:TGID_Z_EN: 0
; COMPUTE_PGM_RSRC2:TIDIG_COMP_CNT: 0
	.section	.text._Z33warp_inclusive_scan_reduce_kernelIfLj64ELj8EENSt9enable_ifIXsr10test_utilsE35device_test_enabled_for_warp_size_vIXT1_EEEvE4typeEPT_S4_S4_,"axG",@progbits,_Z33warp_inclusive_scan_reduce_kernelIfLj64ELj8EENSt9enable_ifIXsr10test_utilsE35device_test_enabled_for_warp_size_vIXT1_EEEvE4typeEPT_S4_S4_,comdat
	.protected	_Z33warp_inclusive_scan_reduce_kernelIfLj64ELj8EENSt9enable_ifIXsr10test_utilsE35device_test_enabled_for_warp_size_vIXT1_EEEvE4typeEPT_S4_S4_ ; -- Begin function _Z33warp_inclusive_scan_reduce_kernelIfLj64ELj8EENSt9enable_ifIXsr10test_utilsE35device_test_enabled_for_warp_size_vIXT1_EEEvE4typeEPT_S4_S4_
	.globl	_Z33warp_inclusive_scan_reduce_kernelIfLj64ELj8EENSt9enable_ifIXsr10test_utilsE35device_test_enabled_for_warp_size_vIXT1_EEEvE4typeEPT_S4_S4_
	.p2align	8
	.type	_Z33warp_inclusive_scan_reduce_kernelIfLj64ELj8EENSt9enable_ifIXsr10test_utilsE35device_test_enabled_for_warp_size_vIXT1_EEEvE4typeEPT_S4_S4_,@function
_Z33warp_inclusive_scan_reduce_kernelIfLj64ELj8EENSt9enable_ifIXsr10test_utilsE35device_test_enabled_for_warp_size_vIXT1_EEEvE4typeEPT_S4_S4_: ; @_Z33warp_inclusive_scan_reduce_kernelIfLj64ELj8EENSt9enable_ifIXsr10test_utilsE35device_test_enabled_for_warp_size_vIXT1_EEEvE4typeEPT_S4_S4_
; %bb.0:
	s_clause 0x1
	s_load_b128 s[4:7], s[0:1], 0x0
	s_load_b64 s[8:9], s[0:1], 0x10
	v_mov_b32_e32 v2, 0
	v_lshl_or_b32 v1, s15, 6, v0
	s_bitcmp1_b32 s15, 0
	s_cselect_b32 s3, -1, 0
	s_delay_alu instid0(VALU_DEP_1) | instskip(SKIP_1) | instid1(VALU_DEP_1)
	v_lshlrev_b64 v[2:3], 2, v[1:2]
	s_waitcnt lgkmcnt(0)
	v_add_co_u32 v4, vcc_lo, s4, v2
	s_delay_alu instid0(VALU_DEP_2) | instskip(SKIP_4) | instid1(VALU_DEP_1)
	v_add_co_ci_u32_e32 v5, vcc_lo, s5, v3, vcc_lo
	s_and_b32 vcc_lo, exec_lo, s3
	s_mov_b32 s3, -1
	global_load_b32 v4, v[4:5], off
	v_mbcnt_lo_u32_b32 v5, -1, 0
	v_and_b32_e32 v6, 7, v5
	v_lshl_or_b32 v5, v5, 2, 28
	s_delay_alu instid0(VALU_DEP_2)
	v_cmp_eq_u32_e64 s2, 0, v6
	v_cmp_lt_u32_e64 s1, 1, v6
	v_cmp_lt_u32_e64 s0, 3, v6
	s_cbranch_vccz .LBB98_2
; %bb.1:
	s_waitcnt vmcnt(0)
	v_mov_b32_dpp v6, v4 row_shr:1 row_mask:0xf bank_mask:0xf
	s_delay_alu instid0(VALU_DEP_1) | instskip(NEXT) | instid1(VALU_DEP_1)
	v_add_f32_e32 v6, v4, v6
	v_cndmask_b32_e64 v6, v6, v4, s2
	s_delay_alu instid0(VALU_DEP_1) | instskip(NEXT) | instid1(VALU_DEP_1)
	v_mov_b32_dpp v7, v6 row_shr:2 row_mask:0xf bank_mask:0xf
	v_add_f32_e32 v7, v6, v7
	s_delay_alu instid0(VALU_DEP_1) | instskip(NEXT) | instid1(VALU_DEP_1)
	v_cndmask_b32_e64 v6, v6, v7, s1
	v_mov_b32_dpp v7, v6 row_shr:4 row_mask:0xf bank_mask:0xf
	s_delay_alu instid0(VALU_DEP_1) | instskip(NEXT) | instid1(VALU_DEP_1)
	v_add_f32_e32 v7, v6, v7
	v_cndmask_b32_e64 v7, v6, v7, s0
	ds_bpermute_b32 v6, v5, v7
	s_cbranch_execz .LBB98_3
	s_branch .LBB98_4
.LBB98_2:
                                        ; implicit-def: $vgpr7
                                        ; implicit-def: $vgpr6
	s_and_not1_b32 vcc_lo, exec_lo, s3
	s_cbranch_vccnz .LBB98_4
.LBB98_3:
	s_waitcnt vmcnt(0) lgkmcnt(0)
	v_mov_b32_dpp v6, v4 row_shr:1 row_mask:0xf bank_mask:0xf
	s_delay_alu instid0(VALU_DEP_1) | instskip(NEXT) | instid1(VALU_DEP_1)
	v_add_f32_e32 v6, v4, v6
	v_cndmask_b32_e64 v4, v6, v4, s2
	s_delay_alu instid0(VALU_DEP_1) | instskip(NEXT) | instid1(VALU_DEP_1)
	v_mov_b32_dpp v6, v4 row_shr:2 row_mask:0xf bank_mask:0xf
	v_add_f32_e32 v6, v4, v6
	s_delay_alu instid0(VALU_DEP_1) | instskip(NEXT) | instid1(VALU_DEP_1)
	v_cndmask_b32_e64 v4, v4, v6, s1
	v_mov_b32_dpp v6, v4 row_shr:4 row_mask:0xf bank_mask:0xf
	s_delay_alu instid0(VALU_DEP_1) | instskip(NEXT) | instid1(VALU_DEP_1)
	v_add_f32_e32 v6, v4, v6
	v_cndmask_b32_e64 v7, v4, v6, s0
	ds_bpermute_b32 v6, v5, v7
.LBB98_4:
	v_add_co_u32 v2, vcc_lo, s6, v2
	v_and_b32_e32 v0, 7, v0
	v_add_co_ci_u32_e32 v3, vcc_lo, s7, v3, vcc_lo
	s_mov_b32 s0, exec_lo
	global_store_b32 v[2:3], v7, off
	v_cmpx_eq_u32_e32 0, v0
	s_cbranch_execz .LBB98_6
; %bb.5:
	v_lshrrev_b32_e32 v0, 1, v1
	s_waitcnt lgkmcnt(0)
	global_store_b32 v0, v6, s[8:9]
.LBB98_6:
	s_nop 0
	s_sendmsg sendmsg(MSG_DEALLOC_VGPRS)
	s_endpgm
	.section	.rodata,"a",@progbits
	.p2align	6, 0x0
	.amdhsa_kernel _Z33warp_inclusive_scan_reduce_kernelIfLj64ELj8EENSt9enable_ifIXsr10test_utilsE35device_test_enabled_for_warp_size_vIXT1_EEEvE4typeEPT_S4_S4_
		.amdhsa_group_segment_fixed_size 0
		.amdhsa_private_segment_fixed_size 0
		.amdhsa_kernarg_size 24
		.amdhsa_user_sgpr_count 15
		.amdhsa_user_sgpr_dispatch_ptr 0
		.amdhsa_user_sgpr_queue_ptr 0
		.amdhsa_user_sgpr_kernarg_segment_ptr 1
		.amdhsa_user_sgpr_dispatch_id 0
		.amdhsa_user_sgpr_private_segment_size 0
		.amdhsa_wavefront_size32 1
		.amdhsa_uses_dynamic_stack 0
		.amdhsa_enable_private_segment 0
		.amdhsa_system_sgpr_workgroup_id_x 1
		.amdhsa_system_sgpr_workgroup_id_y 0
		.amdhsa_system_sgpr_workgroup_id_z 0
		.amdhsa_system_sgpr_workgroup_info 0
		.amdhsa_system_vgpr_workitem_id 0
		.amdhsa_next_free_vgpr 8
		.amdhsa_next_free_sgpr 16
		.amdhsa_reserve_vcc 1
		.amdhsa_float_round_mode_32 0
		.amdhsa_float_round_mode_16_64 0
		.amdhsa_float_denorm_mode_32 3
		.amdhsa_float_denorm_mode_16_64 3
		.amdhsa_dx10_clamp 1
		.amdhsa_ieee_mode 1
		.amdhsa_fp16_overflow 0
		.amdhsa_workgroup_processor_mode 1
		.amdhsa_memory_ordered 1
		.amdhsa_forward_progress 0
		.amdhsa_shared_vgpr_count 0
		.amdhsa_exception_fp_ieee_invalid_op 0
		.amdhsa_exception_fp_denorm_src 0
		.amdhsa_exception_fp_ieee_div_zero 0
		.amdhsa_exception_fp_ieee_overflow 0
		.amdhsa_exception_fp_ieee_underflow 0
		.amdhsa_exception_fp_ieee_inexact 0
		.amdhsa_exception_int_div_zero 0
	.end_amdhsa_kernel
	.section	.text._Z33warp_inclusive_scan_reduce_kernelIfLj64ELj8EENSt9enable_ifIXsr10test_utilsE35device_test_enabled_for_warp_size_vIXT1_EEEvE4typeEPT_S4_S4_,"axG",@progbits,_Z33warp_inclusive_scan_reduce_kernelIfLj64ELj8EENSt9enable_ifIXsr10test_utilsE35device_test_enabled_for_warp_size_vIXT1_EEEvE4typeEPT_S4_S4_,comdat
.Lfunc_end98:
	.size	_Z33warp_inclusive_scan_reduce_kernelIfLj64ELj8EENSt9enable_ifIXsr10test_utilsE35device_test_enabled_for_warp_size_vIXT1_EEEvE4typeEPT_S4_S4_, .Lfunc_end98-_Z33warp_inclusive_scan_reduce_kernelIfLj64ELj8EENSt9enable_ifIXsr10test_utilsE35device_test_enabled_for_warp_size_vIXT1_EEEvE4typeEPT_S4_S4_
                                        ; -- End function
	.section	.AMDGPU.csdata,"",@progbits
; Kernel info:
; codeLenInByte = 396
; NumSgprs: 18
; NumVgprs: 8
; ScratchSize: 0
; MemoryBound: 0
; FloatMode: 240
; IeeeMode: 1
; LDSByteSize: 0 bytes/workgroup (compile time only)
; SGPRBlocks: 2
; VGPRBlocks: 0
; NumSGPRsForWavesPerEU: 18
; NumVGPRsForWavesPerEU: 8
; Occupancy: 16
; WaveLimiterHint : 0
; COMPUTE_PGM_RSRC2:SCRATCH_EN: 0
; COMPUTE_PGM_RSRC2:USER_SGPR: 15
; COMPUTE_PGM_RSRC2:TRAP_HANDLER: 0
; COMPUTE_PGM_RSRC2:TGID_X_EN: 1
; COMPUTE_PGM_RSRC2:TGID_Y_EN: 0
; COMPUTE_PGM_RSRC2:TGID_Z_EN: 0
; COMPUTE_PGM_RSRC2:TIDIG_COMP_CNT: 0
	.section	.text._Z33warp_inclusive_scan_reduce_kernelIfLj32ELj4EENSt9enable_ifIXsr10test_utilsE35device_test_enabled_for_warp_size_vIXT1_EEEvE4typeEPT_S4_S4_,"axG",@progbits,_Z33warp_inclusive_scan_reduce_kernelIfLj32ELj4EENSt9enable_ifIXsr10test_utilsE35device_test_enabled_for_warp_size_vIXT1_EEEvE4typeEPT_S4_S4_,comdat
	.protected	_Z33warp_inclusive_scan_reduce_kernelIfLj32ELj4EENSt9enable_ifIXsr10test_utilsE35device_test_enabled_for_warp_size_vIXT1_EEEvE4typeEPT_S4_S4_ ; -- Begin function _Z33warp_inclusive_scan_reduce_kernelIfLj32ELj4EENSt9enable_ifIXsr10test_utilsE35device_test_enabled_for_warp_size_vIXT1_EEEvE4typeEPT_S4_S4_
	.globl	_Z33warp_inclusive_scan_reduce_kernelIfLj32ELj4EENSt9enable_ifIXsr10test_utilsE35device_test_enabled_for_warp_size_vIXT1_EEEvE4typeEPT_S4_S4_
	.p2align	8
	.type	_Z33warp_inclusive_scan_reduce_kernelIfLj32ELj4EENSt9enable_ifIXsr10test_utilsE35device_test_enabled_for_warp_size_vIXT1_EEEvE4typeEPT_S4_S4_,@function
_Z33warp_inclusive_scan_reduce_kernelIfLj32ELj4EENSt9enable_ifIXsr10test_utilsE35device_test_enabled_for_warp_size_vIXT1_EEEvE4typeEPT_S4_S4_: ; @_Z33warp_inclusive_scan_reduce_kernelIfLj32ELj4EENSt9enable_ifIXsr10test_utilsE35device_test_enabled_for_warp_size_vIXT1_EEEvE4typeEPT_S4_S4_
; %bb.0:
	s_clause 0x1
	s_load_b128 s[4:7], s[0:1], 0x0
	s_load_b64 s[2:3], s[0:1], 0x10
	v_mov_b32_e32 v2, 0
	v_lshl_or_b32 v1, s15, 5, v0
	s_bitcmp1_b32 s15, 0
	s_delay_alu instid0(VALU_DEP_1) | instskip(SKIP_1) | instid1(VALU_DEP_1)
	v_lshlrev_b64 v[2:3], 2, v[1:2]
	s_waitcnt lgkmcnt(0)
	v_add_co_u32 v4, vcc_lo, s4, v2
	s_delay_alu instid0(VALU_DEP_2) | instskip(SKIP_1) | instid1(SALU_CYCLE_1)
	v_add_co_ci_u32_e32 v5, vcc_lo, s5, v3, vcc_lo
	s_cselect_b32 s4, -1, 0
	s_and_b32 vcc_lo, exec_lo, s4
	global_load_b32 v5, v[4:5], off
	v_mbcnt_lo_u32_b32 v4, -1, 0
	s_mov_b32 s4, -1
	s_delay_alu instid0(VALU_DEP_1) | instskip(NEXT) | instid1(VALU_DEP_1)
	v_and_b32_e32 v6, 3, v4
	v_cmp_eq_u32_e64 s1, 0, v6
	v_cmp_lt_u32_e64 s0, 1, v6
	v_lshl_or_b32 v6, v4, 2, 12
	s_cbranch_vccz .LBB99_2
; %bb.1:
	s_waitcnt vmcnt(0)
	v_mov_b32_dpp v4, v5 row_shr:1 row_mask:0xf bank_mask:0xf
	s_delay_alu instid0(VALU_DEP_1) | instskip(NEXT) | instid1(VALU_DEP_1)
	v_add_f32_e32 v4, v5, v4
	v_cndmask_b32_e64 v4, v4, v5, s1
	s_delay_alu instid0(VALU_DEP_1) | instskip(NEXT) | instid1(VALU_DEP_1)
	v_mov_b32_dpp v7, v4 row_shr:2 row_mask:0xf bank_mask:0xf
	v_add_f32_e32 v7, v4, v7
	s_delay_alu instid0(VALU_DEP_1)
	v_cndmask_b32_e64 v7, v4, v7, s0
	ds_bpermute_b32 v4, v6, v7
	s_cbranch_execz .LBB99_3
	s_branch .LBB99_4
.LBB99_2:
                                        ; implicit-def: $vgpr7
                                        ; implicit-def: $vgpr4
	s_and_not1_b32 vcc_lo, exec_lo, s4
	s_cbranch_vccnz .LBB99_4
.LBB99_3:
	s_waitcnt vmcnt(0) lgkmcnt(0)
	v_mov_b32_dpp v4, v5 row_shr:1 row_mask:0xf bank_mask:0xf
	s_delay_alu instid0(VALU_DEP_1) | instskip(NEXT) | instid1(VALU_DEP_1)
	v_add_f32_e32 v4, v5, v4
	v_cndmask_b32_e64 v4, v4, v5, s1
	s_delay_alu instid0(VALU_DEP_1) | instskip(NEXT) | instid1(VALU_DEP_1)
	v_mov_b32_dpp v5, v4 row_shr:2 row_mask:0xf bank_mask:0xf
	v_add_f32_e32 v5, v4, v5
	s_delay_alu instid0(VALU_DEP_1)
	v_cndmask_b32_e64 v7, v4, v5, s0
	ds_bpermute_b32 v4, v6, v7
.LBB99_4:
	v_add_co_u32 v2, vcc_lo, s6, v2
	v_and_b32_e32 v0, 3, v0
	v_add_co_ci_u32_e32 v3, vcc_lo, s7, v3, vcc_lo
	s_mov_b32 s0, exec_lo
	global_store_b32 v[2:3], v7, off
	v_cmpx_eq_u32_e32 0, v0
	s_cbranch_execz .LBB99_6
; %bb.5:
	v_add_co_u32 v0, s0, s2, v1
	s_delay_alu instid0(VALU_DEP_1)
	v_add_co_ci_u32_e64 v1, null, s3, 0, s0
	s_waitcnt lgkmcnt(0)
	global_store_b32 v[0:1], v4, off
.LBB99_6:
	s_nop 0
	s_sendmsg sendmsg(MSG_DEALLOC_VGPRS)
	s_endpgm
	.section	.rodata,"a",@progbits
	.p2align	6, 0x0
	.amdhsa_kernel _Z33warp_inclusive_scan_reduce_kernelIfLj32ELj4EENSt9enable_ifIXsr10test_utilsE35device_test_enabled_for_warp_size_vIXT1_EEEvE4typeEPT_S4_S4_
		.amdhsa_group_segment_fixed_size 0
		.amdhsa_private_segment_fixed_size 0
		.amdhsa_kernarg_size 24
		.amdhsa_user_sgpr_count 15
		.amdhsa_user_sgpr_dispatch_ptr 0
		.amdhsa_user_sgpr_queue_ptr 0
		.amdhsa_user_sgpr_kernarg_segment_ptr 1
		.amdhsa_user_sgpr_dispatch_id 0
		.amdhsa_user_sgpr_private_segment_size 0
		.amdhsa_wavefront_size32 1
		.amdhsa_uses_dynamic_stack 0
		.amdhsa_enable_private_segment 0
		.amdhsa_system_sgpr_workgroup_id_x 1
		.amdhsa_system_sgpr_workgroup_id_y 0
		.amdhsa_system_sgpr_workgroup_id_z 0
		.amdhsa_system_sgpr_workgroup_info 0
		.amdhsa_system_vgpr_workitem_id 0
		.amdhsa_next_free_vgpr 8
		.amdhsa_next_free_sgpr 16
		.amdhsa_reserve_vcc 1
		.amdhsa_float_round_mode_32 0
		.amdhsa_float_round_mode_16_64 0
		.amdhsa_float_denorm_mode_32 3
		.amdhsa_float_denorm_mode_16_64 3
		.amdhsa_dx10_clamp 1
		.amdhsa_ieee_mode 1
		.amdhsa_fp16_overflow 0
		.amdhsa_workgroup_processor_mode 1
		.amdhsa_memory_ordered 1
		.amdhsa_forward_progress 0
		.amdhsa_shared_vgpr_count 0
		.amdhsa_exception_fp_ieee_invalid_op 0
		.amdhsa_exception_fp_denorm_src 0
		.amdhsa_exception_fp_ieee_div_zero 0
		.amdhsa_exception_fp_ieee_overflow 0
		.amdhsa_exception_fp_ieee_underflow 0
		.amdhsa_exception_fp_ieee_inexact 0
		.amdhsa_exception_int_div_zero 0
	.end_amdhsa_kernel
	.section	.text._Z33warp_inclusive_scan_reduce_kernelIfLj32ELj4EENSt9enable_ifIXsr10test_utilsE35device_test_enabled_for_warp_size_vIXT1_EEEvE4typeEPT_S4_S4_,"axG",@progbits,_Z33warp_inclusive_scan_reduce_kernelIfLj32ELj4EENSt9enable_ifIXsr10test_utilsE35device_test_enabled_for_warp_size_vIXT1_EEEvE4typeEPT_S4_S4_,comdat
.Lfunc_end99:
	.size	_Z33warp_inclusive_scan_reduce_kernelIfLj32ELj4EENSt9enable_ifIXsr10test_utilsE35device_test_enabled_for_warp_size_vIXT1_EEEvE4typeEPT_S4_S4_, .Lfunc_end99-_Z33warp_inclusive_scan_reduce_kernelIfLj32ELj4EENSt9enable_ifIXsr10test_utilsE35device_test_enabled_for_warp_size_vIXT1_EEEvE4typeEPT_S4_S4_
                                        ; -- End function
	.section	.AMDGPU.csdata,"",@progbits
; Kernel info:
; codeLenInByte = 356
; NumSgprs: 18
; NumVgprs: 8
; ScratchSize: 0
; MemoryBound: 0
; FloatMode: 240
; IeeeMode: 1
; LDSByteSize: 0 bytes/workgroup (compile time only)
; SGPRBlocks: 2
; VGPRBlocks: 0
; NumSGPRsForWavesPerEU: 18
; NumVGPRsForWavesPerEU: 8
; Occupancy: 16
; WaveLimiterHint : 0
; COMPUTE_PGM_RSRC2:SCRATCH_EN: 0
; COMPUTE_PGM_RSRC2:USER_SGPR: 15
; COMPUTE_PGM_RSRC2:TRAP_HANDLER: 0
; COMPUTE_PGM_RSRC2:TGID_X_EN: 1
; COMPUTE_PGM_RSRC2:TGID_Y_EN: 0
; COMPUTE_PGM_RSRC2:TGID_Z_EN: 0
; COMPUTE_PGM_RSRC2:TIDIG_COMP_CNT: 0
	.section	.text._Z33warp_inclusive_scan_reduce_kernelIfLj64ELj4EENSt9enable_ifIXsr10test_utilsE35device_test_enabled_for_warp_size_vIXT1_EEEvE4typeEPT_S4_S4_,"axG",@progbits,_Z33warp_inclusive_scan_reduce_kernelIfLj64ELj4EENSt9enable_ifIXsr10test_utilsE35device_test_enabled_for_warp_size_vIXT1_EEEvE4typeEPT_S4_S4_,comdat
	.protected	_Z33warp_inclusive_scan_reduce_kernelIfLj64ELj4EENSt9enable_ifIXsr10test_utilsE35device_test_enabled_for_warp_size_vIXT1_EEEvE4typeEPT_S4_S4_ ; -- Begin function _Z33warp_inclusive_scan_reduce_kernelIfLj64ELj4EENSt9enable_ifIXsr10test_utilsE35device_test_enabled_for_warp_size_vIXT1_EEEvE4typeEPT_S4_S4_
	.globl	_Z33warp_inclusive_scan_reduce_kernelIfLj64ELj4EENSt9enable_ifIXsr10test_utilsE35device_test_enabled_for_warp_size_vIXT1_EEEvE4typeEPT_S4_S4_
	.p2align	8
	.type	_Z33warp_inclusive_scan_reduce_kernelIfLj64ELj4EENSt9enable_ifIXsr10test_utilsE35device_test_enabled_for_warp_size_vIXT1_EEEvE4typeEPT_S4_S4_,@function
_Z33warp_inclusive_scan_reduce_kernelIfLj64ELj4EENSt9enable_ifIXsr10test_utilsE35device_test_enabled_for_warp_size_vIXT1_EEEvE4typeEPT_S4_S4_: ; @_Z33warp_inclusive_scan_reduce_kernelIfLj64ELj4EENSt9enable_ifIXsr10test_utilsE35device_test_enabled_for_warp_size_vIXT1_EEEvE4typeEPT_S4_S4_
; %bb.0:
	s_clause 0x1
	s_load_b128 s[4:7], s[0:1], 0x0
	s_load_b64 s[2:3], s[0:1], 0x10
	v_mov_b32_e32 v2, 0
	v_lshl_or_b32 v1, s15, 6, v0
	s_bitcmp1_b32 s15, 0
	s_delay_alu instid0(VALU_DEP_1) | instskip(SKIP_1) | instid1(VALU_DEP_1)
	v_lshlrev_b64 v[2:3], 2, v[1:2]
	s_waitcnt lgkmcnt(0)
	v_add_co_u32 v4, vcc_lo, s4, v2
	s_delay_alu instid0(VALU_DEP_2) | instskip(SKIP_1) | instid1(SALU_CYCLE_1)
	v_add_co_ci_u32_e32 v5, vcc_lo, s5, v3, vcc_lo
	s_cselect_b32 s4, -1, 0
	s_and_b32 vcc_lo, exec_lo, s4
	global_load_b32 v5, v[4:5], off
	v_mbcnt_lo_u32_b32 v4, -1, 0
	s_mov_b32 s4, -1
	s_delay_alu instid0(VALU_DEP_1) | instskip(NEXT) | instid1(VALU_DEP_1)
	v_and_b32_e32 v6, 3, v4
	v_cmp_eq_u32_e64 s1, 0, v6
	v_cmp_lt_u32_e64 s0, 1, v6
	v_lshl_or_b32 v6, v4, 2, 12
	s_cbranch_vccz .LBB100_2
; %bb.1:
	s_waitcnt vmcnt(0)
	v_mov_b32_dpp v4, v5 row_shr:1 row_mask:0xf bank_mask:0xf
	s_delay_alu instid0(VALU_DEP_1) | instskip(NEXT) | instid1(VALU_DEP_1)
	v_add_f32_e32 v4, v5, v4
	v_cndmask_b32_e64 v4, v4, v5, s1
	s_delay_alu instid0(VALU_DEP_1) | instskip(NEXT) | instid1(VALU_DEP_1)
	v_mov_b32_dpp v7, v4 row_shr:2 row_mask:0xf bank_mask:0xf
	v_add_f32_e32 v7, v4, v7
	s_delay_alu instid0(VALU_DEP_1)
	v_cndmask_b32_e64 v7, v4, v7, s0
	ds_bpermute_b32 v4, v6, v7
	s_cbranch_execz .LBB100_3
	s_branch .LBB100_4
.LBB100_2:
                                        ; implicit-def: $vgpr7
                                        ; implicit-def: $vgpr4
	s_and_not1_b32 vcc_lo, exec_lo, s4
	s_cbranch_vccnz .LBB100_4
.LBB100_3:
	s_waitcnt vmcnt(0) lgkmcnt(0)
	v_mov_b32_dpp v4, v5 row_shr:1 row_mask:0xf bank_mask:0xf
	s_delay_alu instid0(VALU_DEP_1) | instskip(NEXT) | instid1(VALU_DEP_1)
	v_add_f32_e32 v4, v5, v4
	v_cndmask_b32_e64 v4, v4, v5, s1
	s_delay_alu instid0(VALU_DEP_1) | instskip(NEXT) | instid1(VALU_DEP_1)
	v_mov_b32_dpp v5, v4 row_shr:2 row_mask:0xf bank_mask:0xf
	v_add_f32_e32 v5, v4, v5
	s_delay_alu instid0(VALU_DEP_1)
	v_cndmask_b32_e64 v7, v4, v5, s0
	ds_bpermute_b32 v4, v6, v7
.LBB100_4:
	v_add_co_u32 v2, vcc_lo, s6, v2
	v_and_b32_e32 v0, 3, v0
	v_add_co_ci_u32_e32 v3, vcc_lo, s7, v3, vcc_lo
	s_mov_b32 s0, exec_lo
	global_store_b32 v[2:3], v7, off
	v_cmpx_eq_u32_e32 0, v0
	s_cbranch_execz .LBB100_6
; %bb.5:
	v_add_co_u32 v0, s0, s2, v1
	s_delay_alu instid0(VALU_DEP_1)
	v_add_co_ci_u32_e64 v1, null, s3, 0, s0
	s_waitcnt lgkmcnt(0)
	global_store_b32 v[0:1], v4, off
.LBB100_6:
	s_nop 0
	s_sendmsg sendmsg(MSG_DEALLOC_VGPRS)
	s_endpgm
	.section	.rodata,"a",@progbits
	.p2align	6, 0x0
	.amdhsa_kernel _Z33warp_inclusive_scan_reduce_kernelIfLj64ELj4EENSt9enable_ifIXsr10test_utilsE35device_test_enabled_for_warp_size_vIXT1_EEEvE4typeEPT_S4_S4_
		.amdhsa_group_segment_fixed_size 0
		.amdhsa_private_segment_fixed_size 0
		.amdhsa_kernarg_size 24
		.amdhsa_user_sgpr_count 15
		.amdhsa_user_sgpr_dispatch_ptr 0
		.amdhsa_user_sgpr_queue_ptr 0
		.amdhsa_user_sgpr_kernarg_segment_ptr 1
		.amdhsa_user_sgpr_dispatch_id 0
		.amdhsa_user_sgpr_private_segment_size 0
		.amdhsa_wavefront_size32 1
		.amdhsa_uses_dynamic_stack 0
		.amdhsa_enable_private_segment 0
		.amdhsa_system_sgpr_workgroup_id_x 1
		.amdhsa_system_sgpr_workgroup_id_y 0
		.amdhsa_system_sgpr_workgroup_id_z 0
		.amdhsa_system_sgpr_workgroup_info 0
		.amdhsa_system_vgpr_workitem_id 0
		.amdhsa_next_free_vgpr 8
		.amdhsa_next_free_sgpr 16
		.amdhsa_reserve_vcc 1
		.amdhsa_float_round_mode_32 0
		.amdhsa_float_round_mode_16_64 0
		.amdhsa_float_denorm_mode_32 3
		.amdhsa_float_denorm_mode_16_64 3
		.amdhsa_dx10_clamp 1
		.amdhsa_ieee_mode 1
		.amdhsa_fp16_overflow 0
		.amdhsa_workgroup_processor_mode 1
		.amdhsa_memory_ordered 1
		.amdhsa_forward_progress 0
		.amdhsa_shared_vgpr_count 0
		.amdhsa_exception_fp_ieee_invalid_op 0
		.amdhsa_exception_fp_denorm_src 0
		.amdhsa_exception_fp_ieee_div_zero 0
		.amdhsa_exception_fp_ieee_overflow 0
		.amdhsa_exception_fp_ieee_underflow 0
		.amdhsa_exception_fp_ieee_inexact 0
		.amdhsa_exception_int_div_zero 0
	.end_amdhsa_kernel
	.section	.text._Z33warp_inclusive_scan_reduce_kernelIfLj64ELj4EENSt9enable_ifIXsr10test_utilsE35device_test_enabled_for_warp_size_vIXT1_EEEvE4typeEPT_S4_S4_,"axG",@progbits,_Z33warp_inclusive_scan_reduce_kernelIfLj64ELj4EENSt9enable_ifIXsr10test_utilsE35device_test_enabled_for_warp_size_vIXT1_EEEvE4typeEPT_S4_S4_,comdat
.Lfunc_end100:
	.size	_Z33warp_inclusive_scan_reduce_kernelIfLj64ELj4EENSt9enable_ifIXsr10test_utilsE35device_test_enabled_for_warp_size_vIXT1_EEEvE4typeEPT_S4_S4_, .Lfunc_end100-_Z33warp_inclusive_scan_reduce_kernelIfLj64ELj4EENSt9enable_ifIXsr10test_utilsE35device_test_enabled_for_warp_size_vIXT1_EEEvE4typeEPT_S4_S4_
                                        ; -- End function
	.section	.AMDGPU.csdata,"",@progbits
; Kernel info:
; codeLenInByte = 356
; NumSgprs: 18
; NumVgprs: 8
; ScratchSize: 0
; MemoryBound: 0
; FloatMode: 240
; IeeeMode: 1
; LDSByteSize: 0 bytes/workgroup (compile time only)
; SGPRBlocks: 2
; VGPRBlocks: 0
; NumSGPRsForWavesPerEU: 18
; NumVGPRsForWavesPerEU: 8
; Occupancy: 16
; WaveLimiterHint : 0
; COMPUTE_PGM_RSRC2:SCRATCH_EN: 0
; COMPUTE_PGM_RSRC2:USER_SGPR: 15
; COMPUTE_PGM_RSRC2:TRAP_HANDLER: 0
; COMPUTE_PGM_RSRC2:TGID_X_EN: 1
; COMPUTE_PGM_RSRC2:TGID_Y_EN: 0
; COMPUTE_PGM_RSRC2:TGID_Z_EN: 0
; COMPUTE_PGM_RSRC2:TIDIG_COMP_CNT: 0
	.section	.text._Z33warp_inclusive_scan_reduce_kernelIfLj32ELj2EENSt9enable_ifIXsr10test_utilsE35device_test_enabled_for_warp_size_vIXT1_EEEvE4typeEPT_S4_S4_,"axG",@progbits,_Z33warp_inclusive_scan_reduce_kernelIfLj32ELj2EENSt9enable_ifIXsr10test_utilsE35device_test_enabled_for_warp_size_vIXT1_EEEvE4typeEPT_S4_S4_,comdat
	.protected	_Z33warp_inclusive_scan_reduce_kernelIfLj32ELj2EENSt9enable_ifIXsr10test_utilsE35device_test_enabled_for_warp_size_vIXT1_EEEvE4typeEPT_S4_S4_ ; -- Begin function _Z33warp_inclusive_scan_reduce_kernelIfLj32ELj2EENSt9enable_ifIXsr10test_utilsE35device_test_enabled_for_warp_size_vIXT1_EEEvE4typeEPT_S4_S4_
	.globl	_Z33warp_inclusive_scan_reduce_kernelIfLj32ELj2EENSt9enable_ifIXsr10test_utilsE35device_test_enabled_for_warp_size_vIXT1_EEEvE4typeEPT_S4_S4_
	.p2align	8
	.type	_Z33warp_inclusive_scan_reduce_kernelIfLj32ELj2EENSt9enable_ifIXsr10test_utilsE35device_test_enabled_for_warp_size_vIXT1_EEEvE4typeEPT_S4_S4_,@function
_Z33warp_inclusive_scan_reduce_kernelIfLj32ELj2EENSt9enable_ifIXsr10test_utilsE35device_test_enabled_for_warp_size_vIXT1_EEEvE4typeEPT_S4_S4_: ; @_Z33warp_inclusive_scan_reduce_kernelIfLj32ELj2EENSt9enable_ifIXsr10test_utilsE35device_test_enabled_for_warp_size_vIXT1_EEEvE4typeEPT_S4_S4_
; %bb.0:
	s_clause 0x1
	s_load_b128 s[4:7], s[0:1], 0x0
	s_load_b64 s[2:3], s[0:1], 0x10
	v_mov_b32_e32 v2, 0
	v_lshl_or_b32 v1, s15, 5, v0
	s_bitcmp1_b32 s15, 0
	s_cselect_b32 s1, -1, 0
	s_delay_alu instid0(VALU_DEP_1) | instskip(SKIP_1) | instid1(VALU_DEP_1)
	v_lshlrev_b64 v[2:3], 2, v[1:2]
	s_waitcnt lgkmcnt(0)
	v_add_co_u32 v4, vcc_lo, s4, v2
	s_delay_alu instid0(VALU_DEP_2) | instskip(SKIP_4) | instid1(VALU_DEP_1)
	v_add_co_ci_u32_e32 v5, vcc_lo, s5, v3, vcc_lo
	s_and_b32 vcc_lo, exec_lo, s1
	s_mov_b32 s1, -1
	global_load_b32 v5, v[4:5], off
	v_mbcnt_lo_u32_b32 v4, -1, 0
	v_and_b32_e32 v6, 1, v4
	v_lshl_or_b32 v7, v4, 2, 4
	s_delay_alu instid0(VALU_DEP_2)
	v_cmp_eq_u32_e64 s0, 0, v6
	s_cbranch_vccz .LBB101_2
; %bb.1:
	s_waitcnt vmcnt(0)
	v_mov_b32_dpp v4, v5 row_shr:1 row_mask:0xf bank_mask:0xf
	s_delay_alu instid0(VALU_DEP_1) | instskip(NEXT) | instid1(VALU_DEP_1)
	v_add_f32_e32 v4, v5, v4
	v_cndmask_b32_e64 v6, v4, v5, s0
	ds_bpermute_b32 v4, v7, v6
	s_cbranch_execz .LBB101_3
	s_branch .LBB101_4
.LBB101_2:
                                        ; implicit-def: $vgpr6
                                        ; implicit-def: $vgpr4
	s_and_not1_b32 vcc_lo, exec_lo, s1
	s_cbranch_vccnz .LBB101_4
.LBB101_3:
	s_waitcnt vmcnt(0) lgkmcnt(0)
	v_mov_b32_dpp v4, v5 row_shr:1 row_mask:0xf bank_mask:0xf
	s_delay_alu instid0(VALU_DEP_1) | instskip(NEXT) | instid1(VALU_DEP_1)
	v_add_f32_e32 v4, v5, v4
	v_cndmask_b32_e64 v6, v4, v5, s0
	ds_bpermute_b32 v4, v7, v6
.LBB101_4:
	v_add_co_u32 v2, vcc_lo, s6, v2
	v_and_b32_e32 v0, 1, v0
	v_add_co_ci_u32_e32 v3, vcc_lo, s7, v3, vcc_lo
	s_mov_b32 s0, exec_lo
	global_store_b32 v[2:3], v6, off
	v_cmpx_eq_u32_e32 0, v0
	s_cbranch_execz .LBB101_6
; %bb.5:
	v_lshrrev_b32_e32 v0, 1, v1
	v_mov_b32_e32 v1, 0
	s_delay_alu instid0(VALU_DEP_1) | instskip(NEXT) | instid1(VALU_DEP_1)
	v_lshlrev_b64 v[0:1], 2, v[0:1]
	v_add_co_u32 v0, vcc_lo, s2, v0
	s_delay_alu instid0(VALU_DEP_2)
	v_add_co_ci_u32_e32 v1, vcc_lo, s3, v1, vcc_lo
	s_waitcnt lgkmcnt(0)
	global_store_b32 v[0:1], v4, off
.LBB101_6:
	s_nop 0
	s_sendmsg sendmsg(MSG_DEALLOC_VGPRS)
	s_endpgm
	.section	.rodata,"a",@progbits
	.p2align	6, 0x0
	.amdhsa_kernel _Z33warp_inclusive_scan_reduce_kernelIfLj32ELj2EENSt9enable_ifIXsr10test_utilsE35device_test_enabled_for_warp_size_vIXT1_EEEvE4typeEPT_S4_S4_
		.amdhsa_group_segment_fixed_size 0
		.amdhsa_private_segment_fixed_size 0
		.amdhsa_kernarg_size 24
		.amdhsa_user_sgpr_count 15
		.amdhsa_user_sgpr_dispatch_ptr 0
		.amdhsa_user_sgpr_queue_ptr 0
		.amdhsa_user_sgpr_kernarg_segment_ptr 1
		.amdhsa_user_sgpr_dispatch_id 0
		.amdhsa_user_sgpr_private_segment_size 0
		.amdhsa_wavefront_size32 1
		.amdhsa_uses_dynamic_stack 0
		.amdhsa_enable_private_segment 0
		.amdhsa_system_sgpr_workgroup_id_x 1
		.amdhsa_system_sgpr_workgroup_id_y 0
		.amdhsa_system_sgpr_workgroup_id_z 0
		.amdhsa_system_sgpr_workgroup_info 0
		.amdhsa_system_vgpr_workitem_id 0
		.amdhsa_next_free_vgpr 8
		.amdhsa_next_free_sgpr 16
		.amdhsa_reserve_vcc 1
		.amdhsa_float_round_mode_32 0
		.amdhsa_float_round_mode_16_64 0
		.amdhsa_float_denorm_mode_32 3
		.amdhsa_float_denorm_mode_16_64 3
		.amdhsa_dx10_clamp 1
		.amdhsa_ieee_mode 1
		.amdhsa_fp16_overflow 0
		.amdhsa_workgroup_processor_mode 1
		.amdhsa_memory_ordered 1
		.amdhsa_forward_progress 0
		.amdhsa_shared_vgpr_count 0
		.amdhsa_exception_fp_ieee_invalid_op 0
		.amdhsa_exception_fp_denorm_src 0
		.amdhsa_exception_fp_ieee_div_zero 0
		.amdhsa_exception_fp_ieee_overflow 0
		.amdhsa_exception_fp_ieee_underflow 0
		.amdhsa_exception_fp_ieee_inexact 0
		.amdhsa_exception_int_div_zero 0
	.end_amdhsa_kernel
	.section	.text._Z33warp_inclusive_scan_reduce_kernelIfLj32ELj2EENSt9enable_ifIXsr10test_utilsE35device_test_enabled_for_warp_size_vIXT1_EEEvE4typeEPT_S4_S4_,"axG",@progbits,_Z33warp_inclusive_scan_reduce_kernelIfLj32ELj2EENSt9enable_ifIXsr10test_utilsE35device_test_enabled_for_warp_size_vIXT1_EEEvE4typeEPT_S4_S4_,comdat
.Lfunc_end101:
	.size	_Z33warp_inclusive_scan_reduce_kernelIfLj32ELj2EENSt9enable_ifIXsr10test_utilsE35device_test_enabled_for_warp_size_vIXT1_EEEvE4typeEPT_S4_S4_, .Lfunc_end101-_Z33warp_inclusive_scan_reduce_kernelIfLj32ELj2EENSt9enable_ifIXsr10test_utilsE35device_test_enabled_for_warp_size_vIXT1_EEEvE4typeEPT_S4_S4_
                                        ; -- End function
	.section	.AMDGPU.csdata,"",@progbits
; Kernel info:
; codeLenInByte = 308
; NumSgprs: 18
; NumVgprs: 8
; ScratchSize: 0
; MemoryBound: 0
; FloatMode: 240
; IeeeMode: 1
; LDSByteSize: 0 bytes/workgroup (compile time only)
; SGPRBlocks: 2
; VGPRBlocks: 0
; NumSGPRsForWavesPerEU: 18
; NumVGPRsForWavesPerEU: 8
; Occupancy: 16
; WaveLimiterHint : 0
; COMPUTE_PGM_RSRC2:SCRATCH_EN: 0
; COMPUTE_PGM_RSRC2:USER_SGPR: 15
; COMPUTE_PGM_RSRC2:TRAP_HANDLER: 0
; COMPUTE_PGM_RSRC2:TGID_X_EN: 1
; COMPUTE_PGM_RSRC2:TGID_Y_EN: 0
; COMPUTE_PGM_RSRC2:TGID_Z_EN: 0
; COMPUTE_PGM_RSRC2:TIDIG_COMP_CNT: 0
	.section	.text._Z33warp_inclusive_scan_reduce_kernelIfLj64ELj2EENSt9enable_ifIXsr10test_utilsE35device_test_enabled_for_warp_size_vIXT1_EEEvE4typeEPT_S4_S4_,"axG",@progbits,_Z33warp_inclusive_scan_reduce_kernelIfLj64ELj2EENSt9enable_ifIXsr10test_utilsE35device_test_enabled_for_warp_size_vIXT1_EEEvE4typeEPT_S4_S4_,comdat
	.protected	_Z33warp_inclusive_scan_reduce_kernelIfLj64ELj2EENSt9enable_ifIXsr10test_utilsE35device_test_enabled_for_warp_size_vIXT1_EEEvE4typeEPT_S4_S4_ ; -- Begin function _Z33warp_inclusive_scan_reduce_kernelIfLj64ELj2EENSt9enable_ifIXsr10test_utilsE35device_test_enabled_for_warp_size_vIXT1_EEEvE4typeEPT_S4_S4_
	.globl	_Z33warp_inclusive_scan_reduce_kernelIfLj64ELj2EENSt9enable_ifIXsr10test_utilsE35device_test_enabled_for_warp_size_vIXT1_EEEvE4typeEPT_S4_S4_
	.p2align	8
	.type	_Z33warp_inclusive_scan_reduce_kernelIfLj64ELj2EENSt9enable_ifIXsr10test_utilsE35device_test_enabled_for_warp_size_vIXT1_EEEvE4typeEPT_S4_S4_,@function
_Z33warp_inclusive_scan_reduce_kernelIfLj64ELj2EENSt9enable_ifIXsr10test_utilsE35device_test_enabled_for_warp_size_vIXT1_EEEvE4typeEPT_S4_S4_: ; @_Z33warp_inclusive_scan_reduce_kernelIfLj64ELj2EENSt9enable_ifIXsr10test_utilsE35device_test_enabled_for_warp_size_vIXT1_EEEvE4typeEPT_S4_S4_
; %bb.0:
	s_clause 0x1
	s_load_b128 s[4:7], s[0:1], 0x0
	s_load_b64 s[2:3], s[0:1], 0x10
	v_mov_b32_e32 v2, 0
	v_lshl_or_b32 v1, s15, 6, v0
	s_bitcmp1_b32 s15, 0
	s_cselect_b32 s1, -1, 0
	s_delay_alu instid0(VALU_DEP_1) | instskip(SKIP_1) | instid1(VALU_DEP_1)
	v_lshlrev_b64 v[2:3], 2, v[1:2]
	s_waitcnt lgkmcnt(0)
	v_add_co_u32 v4, vcc_lo, s4, v2
	s_delay_alu instid0(VALU_DEP_2) | instskip(SKIP_4) | instid1(VALU_DEP_1)
	v_add_co_ci_u32_e32 v5, vcc_lo, s5, v3, vcc_lo
	s_and_b32 vcc_lo, exec_lo, s1
	s_mov_b32 s1, -1
	global_load_b32 v5, v[4:5], off
	v_mbcnt_lo_u32_b32 v4, -1, 0
	v_and_b32_e32 v6, 1, v4
	v_lshl_or_b32 v7, v4, 2, 4
	s_delay_alu instid0(VALU_DEP_2)
	v_cmp_eq_u32_e64 s0, 0, v6
	s_cbranch_vccz .LBB102_2
; %bb.1:
	s_waitcnt vmcnt(0)
	v_mov_b32_dpp v4, v5 row_shr:1 row_mask:0xf bank_mask:0xf
	s_delay_alu instid0(VALU_DEP_1) | instskip(NEXT) | instid1(VALU_DEP_1)
	v_add_f32_e32 v4, v5, v4
	v_cndmask_b32_e64 v6, v4, v5, s0
	ds_bpermute_b32 v4, v7, v6
	s_cbranch_execz .LBB102_3
	s_branch .LBB102_4
.LBB102_2:
                                        ; implicit-def: $vgpr6
                                        ; implicit-def: $vgpr4
	s_and_not1_b32 vcc_lo, exec_lo, s1
	s_cbranch_vccnz .LBB102_4
.LBB102_3:
	s_waitcnt vmcnt(0) lgkmcnt(0)
	v_mov_b32_dpp v4, v5 row_shr:1 row_mask:0xf bank_mask:0xf
	s_delay_alu instid0(VALU_DEP_1) | instskip(NEXT) | instid1(VALU_DEP_1)
	v_add_f32_e32 v4, v5, v4
	v_cndmask_b32_e64 v6, v4, v5, s0
	ds_bpermute_b32 v4, v7, v6
.LBB102_4:
	v_add_co_u32 v2, vcc_lo, s6, v2
	v_and_b32_e32 v0, 1, v0
	v_add_co_ci_u32_e32 v3, vcc_lo, s7, v3, vcc_lo
	s_mov_b32 s0, exec_lo
	global_store_b32 v[2:3], v6, off
	v_cmpx_eq_u32_e32 0, v0
	s_cbranch_execz .LBB102_6
; %bb.5:
	v_lshrrev_b32_e32 v0, 1, v1
	v_mov_b32_e32 v1, 0
	s_delay_alu instid0(VALU_DEP_1) | instskip(NEXT) | instid1(VALU_DEP_1)
	v_lshlrev_b64 v[0:1], 2, v[0:1]
	v_add_co_u32 v0, vcc_lo, s2, v0
	s_delay_alu instid0(VALU_DEP_2)
	v_add_co_ci_u32_e32 v1, vcc_lo, s3, v1, vcc_lo
	s_waitcnt lgkmcnt(0)
	global_store_b32 v[0:1], v4, off
.LBB102_6:
	s_nop 0
	s_sendmsg sendmsg(MSG_DEALLOC_VGPRS)
	s_endpgm
	.section	.rodata,"a",@progbits
	.p2align	6, 0x0
	.amdhsa_kernel _Z33warp_inclusive_scan_reduce_kernelIfLj64ELj2EENSt9enable_ifIXsr10test_utilsE35device_test_enabled_for_warp_size_vIXT1_EEEvE4typeEPT_S4_S4_
		.amdhsa_group_segment_fixed_size 0
		.amdhsa_private_segment_fixed_size 0
		.amdhsa_kernarg_size 24
		.amdhsa_user_sgpr_count 15
		.amdhsa_user_sgpr_dispatch_ptr 0
		.amdhsa_user_sgpr_queue_ptr 0
		.amdhsa_user_sgpr_kernarg_segment_ptr 1
		.amdhsa_user_sgpr_dispatch_id 0
		.amdhsa_user_sgpr_private_segment_size 0
		.amdhsa_wavefront_size32 1
		.amdhsa_uses_dynamic_stack 0
		.amdhsa_enable_private_segment 0
		.amdhsa_system_sgpr_workgroup_id_x 1
		.amdhsa_system_sgpr_workgroup_id_y 0
		.amdhsa_system_sgpr_workgroup_id_z 0
		.amdhsa_system_sgpr_workgroup_info 0
		.amdhsa_system_vgpr_workitem_id 0
		.amdhsa_next_free_vgpr 8
		.amdhsa_next_free_sgpr 16
		.amdhsa_reserve_vcc 1
		.amdhsa_float_round_mode_32 0
		.amdhsa_float_round_mode_16_64 0
		.amdhsa_float_denorm_mode_32 3
		.amdhsa_float_denorm_mode_16_64 3
		.amdhsa_dx10_clamp 1
		.amdhsa_ieee_mode 1
		.amdhsa_fp16_overflow 0
		.amdhsa_workgroup_processor_mode 1
		.amdhsa_memory_ordered 1
		.amdhsa_forward_progress 0
		.amdhsa_shared_vgpr_count 0
		.amdhsa_exception_fp_ieee_invalid_op 0
		.amdhsa_exception_fp_denorm_src 0
		.amdhsa_exception_fp_ieee_div_zero 0
		.amdhsa_exception_fp_ieee_overflow 0
		.amdhsa_exception_fp_ieee_underflow 0
		.amdhsa_exception_fp_ieee_inexact 0
		.amdhsa_exception_int_div_zero 0
	.end_amdhsa_kernel
	.section	.text._Z33warp_inclusive_scan_reduce_kernelIfLj64ELj2EENSt9enable_ifIXsr10test_utilsE35device_test_enabled_for_warp_size_vIXT1_EEEvE4typeEPT_S4_S4_,"axG",@progbits,_Z33warp_inclusive_scan_reduce_kernelIfLj64ELj2EENSt9enable_ifIXsr10test_utilsE35device_test_enabled_for_warp_size_vIXT1_EEEvE4typeEPT_S4_S4_,comdat
.Lfunc_end102:
	.size	_Z33warp_inclusive_scan_reduce_kernelIfLj64ELj2EENSt9enable_ifIXsr10test_utilsE35device_test_enabled_for_warp_size_vIXT1_EEEvE4typeEPT_S4_S4_, .Lfunc_end102-_Z33warp_inclusive_scan_reduce_kernelIfLj64ELj2EENSt9enable_ifIXsr10test_utilsE35device_test_enabled_for_warp_size_vIXT1_EEEvE4typeEPT_S4_S4_
                                        ; -- End function
	.section	.AMDGPU.csdata,"",@progbits
; Kernel info:
; codeLenInByte = 308
; NumSgprs: 18
; NumVgprs: 8
; ScratchSize: 0
; MemoryBound: 0
; FloatMode: 240
; IeeeMode: 1
; LDSByteSize: 0 bytes/workgroup (compile time only)
; SGPRBlocks: 2
; VGPRBlocks: 0
; NumSGPRsForWavesPerEU: 18
; NumVGPRsForWavesPerEU: 8
; Occupancy: 16
; WaveLimiterHint : 0
; COMPUTE_PGM_RSRC2:SCRATCH_EN: 0
; COMPUTE_PGM_RSRC2:USER_SGPR: 15
; COMPUTE_PGM_RSRC2:TRAP_HANDLER: 0
; COMPUTE_PGM_RSRC2:TGID_X_EN: 1
; COMPUTE_PGM_RSRC2:TGID_Y_EN: 0
; COMPUTE_PGM_RSRC2:TGID_Z_EN: 0
; COMPUTE_PGM_RSRC2:TIDIG_COMP_CNT: 0
	.section	.text._Z33warp_inclusive_scan_reduce_kernelIiLj256ELj64EENSt9enable_ifIXntsr10test_utilsE35device_test_enabled_for_warp_size_vIXT1_EEEvE4typeEPT_S4_S4_,"axG",@progbits,_Z33warp_inclusive_scan_reduce_kernelIiLj256ELj64EENSt9enable_ifIXntsr10test_utilsE35device_test_enabled_for_warp_size_vIXT1_EEEvE4typeEPT_S4_S4_,comdat
	.protected	_Z33warp_inclusive_scan_reduce_kernelIiLj256ELj64EENSt9enable_ifIXntsr10test_utilsE35device_test_enabled_for_warp_size_vIXT1_EEEvE4typeEPT_S4_S4_ ; -- Begin function _Z33warp_inclusive_scan_reduce_kernelIiLj256ELj64EENSt9enable_ifIXntsr10test_utilsE35device_test_enabled_for_warp_size_vIXT1_EEEvE4typeEPT_S4_S4_
	.globl	_Z33warp_inclusive_scan_reduce_kernelIiLj256ELj64EENSt9enable_ifIXntsr10test_utilsE35device_test_enabled_for_warp_size_vIXT1_EEEvE4typeEPT_S4_S4_
	.p2align	8
	.type	_Z33warp_inclusive_scan_reduce_kernelIiLj256ELj64EENSt9enable_ifIXntsr10test_utilsE35device_test_enabled_for_warp_size_vIXT1_EEEvE4typeEPT_S4_S4_,@function
_Z33warp_inclusive_scan_reduce_kernelIiLj256ELj64EENSt9enable_ifIXntsr10test_utilsE35device_test_enabled_for_warp_size_vIXT1_EEEvE4typeEPT_S4_S4_: ; @_Z33warp_inclusive_scan_reduce_kernelIiLj256ELj64EENSt9enable_ifIXntsr10test_utilsE35device_test_enabled_for_warp_size_vIXT1_EEEvE4typeEPT_S4_S4_
; %bb.0:
	s_endpgm
	.section	.rodata,"a",@progbits
	.p2align	6, 0x0
	.amdhsa_kernel _Z33warp_inclusive_scan_reduce_kernelIiLj256ELj64EENSt9enable_ifIXntsr10test_utilsE35device_test_enabled_for_warp_size_vIXT1_EEEvE4typeEPT_S4_S4_
		.amdhsa_group_segment_fixed_size 0
		.amdhsa_private_segment_fixed_size 0
		.amdhsa_kernarg_size 24
		.amdhsa_user_sgpr_count 15
		.amdhsa_user_sgpr_dispatch_ptr 0
		.amdhsa_user_sgpr_queue_ptr 0
		.amdhsa_user_sgpr_kernarg_segment_ptr 1
		.amdhsa_user_sgpr_dispatch_id 0
		.amdhsa_user_sgpr_private_segment_size 0
		.amdhsa_wavefront_size32 1
		.amdhsa_uses_dynamic_stack 0
		.amdhsa_enable_private_segment 0
		.amdhsa_system_sgpr_workgroup_id_x 1
		.amdhsa_system_sgpr_workgroup_id_y 0
		.amdhsa_system_sgpr_workgroup_id_z 0
		.amdhsa_system_sgpr_workgroup_info 0
		.amdhsa_system_vgpr_workitem_id 0
		.amdhsa_next_free_vgpr 1
		.amdhsa_next_free_sgpr 1
		.amdhsa_reserve_vcc 0
		.amdhsa_float_round_mode_32 0
		.amdhsa_float_round_mode_16_64 0
		.amdhsa_float_denorm_mode_32 3
		.amdhsa_float_denorm_mode_16_64 3
		.amdhsa_dx10_clamp 1
		.amdhsa_ieee_mode 1
		.amdhsa_fp16_overflow 0
		.amdhsa_workgroup_processor_mode 1
		.amdhsa_memory_ordered 1
		.amdhsa_forward_progress 0
		.amdhsa_shared_vgpr_count 0
		.amdhsa_exception_fp_ieee_invalid_op 0
		.amdhsa_exception_fp_denorm_src 0
		.amdhsa_exception_fp_ieee_div_zero 0
		.amdhsa_exception_fp_ieee_overflow 0
		.amdhsa_exception_fp_ieee_underflow 0
		.amdhsa_exception_fp_ieee_inexact 0
		.amdhsa_exception_int_div_zero 0
	.end_amdhsa_kernel
	.section	.text._Z33warp_inclusive_scan_reduce_kernelIiLj256ELj64EENSt9enable_ifIXntsr10test_utilsE35device_test_enabled_for_warp_size_vIXT1_EEEvE4typeEPT_S4_S4_,"axG",@progbits,_Z33warp_inclusive_scan_reduce_kernelIiLj256ELj64EENSt9enable_ifIXntsr10test_utilsE35device_test_enabled_for_warp_size_vIXT1_EEEvE4typeEPT_S4_S4_,comdat
.Lfunc_end103:
	.size	_Z33warp_inclusive_scan_reduce_kernelIiLj256ELj64EENSt9enable_ifIXntsr10test_utilsE35device_test_enabled_for_warp_size_vIXT1_EEEvE4typeEPT_S4_S4_, .Lfunc_end103-_Z33warp_inclusive_scan_reduce_kernelIiLj256ELj64EENSt9enable_ifIXntsr10test_utilsE35device_test_enabled_for_warp_size_vIXT1_EEEvE4typeEPT_S4_S4_
                                        ; -- End function
	.section	.AMDGPU.csdata,"",@progbits
; Kernel info:
; codeLenInByte = 4
; NumSgprs: 0
; NumVgprs: 0
; ScratchSize: 0
; MemoryBound: 0
; FloatMode: 240
; IeeeMode: 1
; LDSByteSize: 0 bytes/workgroup (compile time only)
; SGPRBlocks: 0
; VGPRBlocks: 0
; NumSGPRsForWavesPerEU: 1
; NumVGPRsForWavesPerEU: 1
; Occupancy: 16
; WaveLimiterHint : 0
; COMPUTE_PGM_RSRC2:SCRATCH_EN: 0
; COMPUTE_PGM_RSRC2:USER_SGPR: 15
; COMPUTE_PGM_RSRC2:TRAP_HANDLER: 0
; COMPUTE_PGM_RSRC2:TGID_X_EN: 1
; COMPUTE_PGM_RSRC2:TGID_Y_EN: 0
; COMPUTE_PGM_RSRC2:TGID_Z_EN: 0
; COMPUTE_PGM_RSRC2:TIDIG_COMP_CNT: 0
	.section	.text._Z33warp_inclusive_scan_reduce_kernelIiLj128ELj32EENSt9enable_ifIXsr10test_utilsE35device_test_enabled_for_warp_size_vIXT1_EEEvE4typeEPT_S4_S4_,"axG",@progbits,_Z33warp_inclusive_scan_reduce_kernelIiLj128ELj32EENSt9enable_ifIXsr10test_utilsE35device_test_enabled_for_warp_size_vIXT1_EEEvE4typeEPT_S4_S4_,comdat
	.protected	_Z33warp_inclusive_scan_reduce_kernelIiLj128ELj32EENSt9enable_ifIXsr10test_utilsE35device_test_enabled_for_warp_size_vIXT1_EEEvE4typeEPT_S4_S4_ ; -- Begin function _Z33warp_inclusive_scan_reduce_kernelIiLj128ELj32EENSt9enable_ifIXsr10test_utilsE35device_test_enabled_for_warp_size_vIXT1_EEEvE4typeEPT_S4_S4_
	.globl	_Z33warp_inclusive_scan_reduce_kernelIiLj128ELj32EENSt9enable_ifIXsr10test_utilsE35device_test_enabled_for_warp_size_vIXT1_EEEvE4typeEPT_S4_S4_
	.p2align	8
	.type	_Z33warp_inclusive_scan_reduce_kernelIiLj128ELj32EENSt9enable_ifIXsr10test_utilsE35device_test_enabled_for_warp_size_vIXT1_EEEvE4typeEPT_S4_S4_,@function
_Z33warp_inclusive_scan_reduce_kernelIiLj128ELj32EENSt9enable_ifIXsr10test_utilsE35device_test_enabled_for_warp_size_vIXT1_EEEvE4typeEPT_S4_S4_: ; @_Z33warp_inclusive_scan_reduce_kernelIiLj128ELj32EENSt9enable_ifIXsr10test_utilsE35device_test_enabled_for_warp_size_vIXT1_EEEvE4typeEPT_S4_S4_
; %bb.0:
	s_clause 0x1
	s_load_b128 s[4:7], s[0:1], 0x0
	s_load_b64 s[8:9], s[0:1], 0x10
	v_mov_b32_e32 v2, 0
	v_lshl_or_b32 v1, s15, 7, v0
	s_bitcmp1_b32 s15, 0
	s_delay_alu instid0(VALU_DEP_1) | instskip(SKIP_1) | instid1(VALU_DEP_1)
	v_lshlrev_b64 v[2:3], 2, v[1:2]
	s_waitcnt lgkmcnt(0)
	v_add_co_u32 v4, vcc_lo, s4, v2
	s_delay_alu instid0(VALU_DEP_2) | instskip(SKIP_1) | instid1(SALU_CYCLE_1)
	v_add_co_ci_u32_e32 v5, vcc_lo, s5, v3, vcc_lo
	s_cselect_b32 s5, -1, 0
	s_and_b32 vcc_lo, exec_lo, s5
	global_load_b32 v4, v[4:5], off
	v_mbcnt_lo_u32_b32 v5, -1, 0
	s_mov_b32 s5, -1
	s_delay_alu instid0(VALU_DEP_1) | instskip(SKIP_1) | instid1(VALU_DEP_1)
	v_and_b32_e32 v6, 15, v5
	v_and_b32_e32 v5, 16, v5
	v_cmp_eq_u32_e64 s0, 0, v5
	v_mov_b32_e32 v5, 0x7c
	s_delay_alu instid0(VALU_DEP_4)
	v_cmp_eq_u32_e64 s4, 0, v6
	v_cmp_lt_u32_e64 s3, 1, v6
	v_cmp_lt_u32_e64 s2, 3, v6
	v_cmp_lt_u32_e64 s1, 7, v6
	s_cbranch_vccz .LBB104_2
; %bb.1:
	s_waitcnt vmcnt(0)
	v_mov_b32_dpp v6, v4 row_shr:1 row_mask:0xf bank_mask:0xf
	s_delay_alu instid0(VALU_DEP_1) | instskip(NEXT) | instid1(VALU_DEP_1)
	v_cndmask_b32_e64 v6, v6, 0, s4
	v_add_nc_u32_e32 v6, v6, v4
	s_delay_alu instid0(VALU_DEP_1) | instskip(NEXT) | instid1(VALU_DEP_1)
	v_mov_b32_dpp v7, v6 row_shr:2 row_mask:0xf bank_mask:0xf
	v_cndmask_b32_e64 v7, 0, v7, s3
	s_delay_alu instid0(VALU_DEP_1) | instskip(NEXT) | instid1(VALU_DEP_1)
	v_add_nc_u32_e32 v6, v6, v7
	v_mov_b32_dpp v7, v6 row_shr:4 row_mask:0xf bank_mask:0xf
	s_delay_alu instid0(VALU_DEP_1) | instskip(NEXT) | instid1(VALU_DEP_1)
	v_cndmask_b32_e64 v7, 0, v7, s2
	v_add_nc_u32_e32 v6, v6, v7
	s_delay_alu instid0(VALU_DEP_1) | instskip(NEXT) | instid1(VALU_DEP_1)
	v_mov_b32_dpp v7, v6 row_shr:8 row_mask:0xf bank_mask:0xf
	v_cndmask_b32_e64 v7, 0, v7, s1
	s_delay_alu instid0(VALU_DEP_1) | instskip(SKIP_3) | instid1(VALU_DEP_1)
	v_add_nc_u32_e32 v6, v6, v7
	ds_swizzle_b32 v7, v6 offset:swizzle(BROADCAST,32,15)
	s_waitcnt lgkmcnt(0)
	v_cndmask_b32_e64 v7, v7, 0, s0
	v_add_nc_u32_e32 v7, v6, v7
	ds_bpermute_b32 v6, v5, v7
	s_cbranch_execz .LBB104_3
	s_branch .LBB104_4
.LBB104_2:
                                        ; implicit-def: $vgpr7
                                        ; implicit-def: $vgpr6
	s_and_not1_b32 vcc_lo, exec_lo, s5
	s_cbranch_vccnz .LBB104_4
.LBB104_3:
	s_waitcnt vmcnt(0) lgkmcnt(0)
	v_mov_b32_dpp v6, v4 row_shr:1 row_mask:0xf bank_mask:0xf
	s_delay_alu instid0(VALU_DEP_1) | instskip(NEXT) | instid1(VALU_DEP_1)
	v_cndmask_b32_e64 v6, v6, 0, s4
	v_add_nc_u32_e32 v4, v6, v4
	s_delay_alu instid0(VALU_DEP_1) | instskip(NEXT) | instid1(VALU_DEP_1)
	v_mov_b32_dpp v6, v4 row_shr:2 row_mask:0xf bank_mask:0xf
	v_cndmask_b32_e64 v6, 0, v6, s3
	s_delay_alu instid0(VALU_DEP_1) | instskip(NEXT) | instid1(VALU_DEP_1)
	v_add_nc_u32_e32 v4, v4, v6
	v_mov_b32_dpp v6, v4 row_shr:4 row_mask:0xf bank_mask:0xf
	s_delay_alu instid0(VALU_DEP_1) | instskip(NEXT) | instid1(VALU_DEP_1)
	v_cndmask_b32_e64 v6, 0, v6, s2
	v_add_nc_u32_e32 v4, v4, v6
	s_delay_alu instid0(VALU_DEP_1) | instskip(NEXT) | instid1(VALU_DEP_1)
	v_mov_b32_dpp v6, v4 row_shr:8 row_mask:0xf bank_mask:0xf
	v_cndmask_b32_e64 v6, 0, v6, s1
	s_delay_alu instid0(VALU_DEP_1) | instskip(SKIP_3) | instid1(VALU_DEP_1)
	v_add_nc_u32_e32 v4, v4, v6
	ds_swizzle_b32 v6, v4 offset:swizzle(BROADCAST,32,15)
	s_waitcnt lgkmcnt(0)
	v_cndmask_b32_e64 v6, v6, 0, s0
	v_add_nc_u32_e32 v7, v4, v6
	ds_bpermute_b32 v6, v5, v7
.LBB104_4:
	v_add_co_u32 v2, vcc_lo, s6, v2
	v_and_b32_e32 v0, 31, v0
	v_add_co_ci_u32_e32 v3, vcc_lo, s7, v3, vcc_lo
	s_mov_b32 s0, exec_lo
	global_store_b32 v[2:3], v7, off
	v_cmpx_eq_u32_e32 0, v0
	s_cbranch_execz .LBB104_6
; %bb.5:
	v_lshrrev_b32_e32 v0, 3, v1
	s_waitcnt lgkmcnt(0)
	global_store_b32 v0, v6, s[8:9]
.LBB104_6:
	s_nop 0
	s_sendmsg sendmsg(MSG_DEALLOC_VGPRS)
	s_endpgm
	.section	.rodata,"a",@progbits
	.p2align	6, 0x0
	.amdhsa_kernel _Z33warp_inclusive_scan_reduce_kernelIiLj128ELj32EENSt9enable_ifIXsr10test_utilsE35device_test_enabled_for_warp_size_vIXT1_EEEvE4typeEPT_S4_S4_
		.amdhsa_group_segment_fixed_size 0
		.amdhsa_private_segment_fixed_size 0
		.amdhsa_kernarg_size 24
		.amdhsa_user_sgpr_count 15
		.amdhsa_user_sgpr_dispatch_ptr 0
		.amdhsa_user_sgpr_queue_ptr 0
		.amdhsa_user_sgpr_kernarg_segment_ptr 1
		.amdhsa_user_sgpr_dispatch_id 0
		.amdhsa_user_sgpr_private_segment_size 0
		.amdhsa_wavefront_size32 1
		.amdhsa_uses_dynamic_stack 0
		.amdhsa_enable_private_segment 0
		.amdhsa_system_sgpr_workgroup_id_x 1
		.amdhsa_system_sgpr_workgroup_id_y 0
		.amdhsa_system_sgpr_workgroup_id_z 0
		.amdhsa_system_sgpr_workgroup_info 0
		.amdhsa_system_vgpr_workitem_id 0
		.amdhsa_next_free_vgpr 8
		.amdhsa_next_free_sgpr 16
		.amdhsa_reserve_vcc 1
		.amdhsa_float_round_mode_32 0
		.amdhsa_float_round_mode_16_64 0
		.amdhsa_float_denorm_mode_32 3
		.amdhsa_float_denorm_mode_16_64 3
		.amdhsa_dx10_clamp 1
		.amdhsa_ieee_mode 1
		.amdhsa_fp16_overflow 0
		.amdhsa_workgroup_processor_mode 1
		.amdhsa_memory_ordered 1
		.amdhsa_forward_progress 0
		.amdhsa_shared_vgpr_count 0
		.amdhsa_exception_fp_ieee_invalid_op 0
		.amdhsa_exception_fp_denorm_src 0
		.amdhsa_exception_fp_ieee_div_zero 0
		.amdhsa_exception_fp_ieee_overflow 0
		.amdhsa_exception_fp_ieee_underflow 0
		.amdhsa_exception_fp_ieee_inexact 0
		.amdhsa_exception_int_div_zero 0
	.end_amdhsa_kernel
	.section	.text._Z33warp_inclusive_scan_reduce_kernelIiLj128ELj32EENSt9enable_ifIXsr10test_utilsE35device_test_enabled_for_warp_size_vIXT1_EEEvE4typeEPT_S4_S4_,"axG",@progbits,_Z33warp_inclusive_scan_reduce_kernelIiLj128ELj32EENSt9enable_ifIXsr10test_utilsE35device_test_enabled_for_warp_size_vIXT1_EEEvE4typeEPT_S4_S4_,comdat
.Lfunc_end104:
	.size	_Z33warp_inclusive_scan_reduce_kernelIiLj128ELj32EENSt9enable_ifIXsr10test_utilsE35device_test_enabled_for_warp_size_vIXT1_EEEvE4typeEPT_S4_S4_, .Lfunc_end104-_Z33warp_inclusive_scan_reduce_kernelIiLj128ELj32EENSt9enable_ifIXsr10test_utilsE35device_test_enabled_for_warp_size_vIXT1_EEEvE4typeEPT_S4_S4_
                                        ; -- End function
	.section	.AMDGPU.csdata,"",@progbits
; Kernel info:
; codeLenInByte = 524
; NumSgprs: 18
; NumVgprs: 8
; ScratchSize: 0
; MemoryBound: 0
; FloatMode: 240
; IeeeMode: 1
; LDSByteSize: 0 bytes/workgroup (compile time only)
; SGPRBlocks: 2
; VGPRBlocks: 0
; NumSGPRsForWavesPerEU: 18
; NumVGPRsForWavesPerEU: 8
; Occupancy: 16
; WaveLimiterHint : 0
; COMPUTE_PGM_RSRC2:SCRATCH_EN: 0
; COMPUTE_PGM_RSRC2:USER_SGPR: 15
; COMPUTE_PGM_RSRC2:TRAP_HANDLER: 0
; COMPUTE_PGM_RSRC2:TGID_X_EN: 1
; COMPUTE_PGM_RSRC2:TGID_Y_EN: 0
; COMPUTE_PGM_RSRC2:TGID_Z_EN: 0
; COMPUTE_PGM_RSRC2:TIDIG_COMP_CNT: 0
	.section	.text._Z33warp_inclusive_scan_reduce_kernelIiLj64ELj16EENSt9enable_ifIXsr10test_utilsE35device_test_enabled_for_warp_size_vIXT1_EEEvE4typeEPT_S4_S4_,"axG",@progbits,_Z33warp_inclusive_scan_reduce_kernelIiLj64ELj16EENSt9enable_ifIXsr10test_utilsE35device_test_enabled_for_warp_size_vIXT1_EEEvE4typeEPT_S4_S4_,comdat
	.protected	_Z33warp_inclusive_scan_reduce_kernelIiLj64ELj16EENSt9enable_ifIXsr10test_utilsE35device_test_enabled_for_warp_size_vIXT1_EEEvE4typeEPT_S4_S4_ ; -- Begin function _Z33warp_inclusive_scan_reduce_kernelIiLj64ELj16EENSt9enable_ifIXsr10test_utilsE35device_test_enabled_for_warp_size_vIXT1_EEEvE4typeEPT_S4_S4_
	.globl	_Z33warp_inclusive_scan_reduce_kernelIiLj64ELj16EENSt9enable_ifIXsr10test_utilsE35device_test_enabled_for_warp_size_vIXT1_EEEvE4typeEPT_S4_S4_
	.p2align	8
	.type	_Z33warp_inclusive_scan_reduce_kernelIiLj64ELj16EENSt9enable_ifIXsr10test_utilsE35device_test_enabled_for_warp_size_vIXT1_EEEvE4typeEPT_S4_S4_,@function
_Z33warp_inclusive_scan_reduce_kernelIiLj64ELj16EENSt9enable_ifIXsr10test_utilsE35device_test_enabled_for_warp_size_vIXT1_EEEvE4typeEPT_S4_S4_: ; @_Z33warp_inclusive_scan_reduce_kernelIiLj64ELj16EENSt9enable_ifIXsr10test_utilsE35device_test_enabled_for_warp_size_vIXT1_EEEvE4typeEPT_S4_S4_
; %bb.0:
	s_clause 0x1
	s_load_b128 s[4:7], s[0:1], 0x0
	s_load_b64 s[8:9], s[0:1], 0x10
	v_mov_b32_e32 v2, 0
	v_lshl_or_b32 v1, s15, 6, v0
	s_bitcmp1_b32 s15, 0
	s_delay_alu instid0(VALU_DEP_1) | instskip(SKIP_1) | instid1(VALU_DEP_1)
	v_lshlrev_b64 v[2:3], 2, v[1:2]
	s_waitcnt lgkmcnt(0)
	v_add_co_u32 v4, vcc_lo, s4, v2
	s_delay_alu instid0(VALU_DEP_2) | instskip(SKIP_1) | instid1(SALU_CYCLE_1)
	v_add_co_ci_u32_e32 v5, vcc_lo, s5, v3, vcc_lo
	s_cselect_b32 s4, -1, 0
	s_and_b32 vcc_lo, exec_lo, s4
	global_load_b32 v4, v[4:5], off
	v_mbcnt_lo_u32_b32 v5, -1, 0
	s_mov_b32 s4, -1
	s_delay_alu instid0(VALU_DEP_1) | instskip(SKIP_1) | instid1(VALU_DEP_2)
	v_and_b32_e32 v6, 15, v5
	v_lshl_or_b32 v5, v5, 2, 60
	v_cmp_eq_u32_e64 s3, 0, v6
	v_cmp_lt_u32_e64 s2, 1, v6
	v_cmp_lt_u32_e64 s1, 3, v6
	;; [unrolled: 1-line block ×3, first 2 shown]
	s_cbranch_vccz .LBB105_2
; %bb.1:
	s_waitcnt vmcnt(0)
	v_mov_b32_dpp v6, v4 row_shr:1 row_mask:0xf bank_mask:0xf
	s_delay_alu instid0(VALU_DEP_1) | instskip(NEXT) | instid1(VALU_DEP_1)
	v_cndmask_b32_e64 v6, v6, 0, s3
	v_add_nc_u32_e32 v6, v6, v4
	s_delay_alu instid0(VALU_DEP_1) | instskip(NEXT) | instid1(VALU_DEP_1)
	v_mov_b32_dpp v7, v6 row_shr:2 row_mask:0xf bank_mask:0xf
	v_cndmask_b32_e64 v7, 0, v7, s2
	s_delay_alu instid0(VALU_DEP_1) | instskip(NEXT) | instid1(VALU_DEP_1)
	v_add_nc_u32_e32 v6, v6, v7
	v_mov_b32_dpp v7, v6 row_shr:4 row_mask:0xf bank_mask:0xf
	s_delay_alu instid0(VALU_DEP_1) | instskip(NEXT) | instid1(VALU_DEP_1)
	v_cndmask_b32_e64 v7, 0, v7, s1
	v_add_nc_u32_e32 v6, v6, v7
	s_delay_alu instid0(VALU_DEP_1) | instskip(NEXT) | instid1(VALU_DEP_1)
	v_mov_b32_dpp v7, v6 row_shr:8 row_mask:0xf bank_mask:0xf
	v_cndmask_b32_e64 v7, 0, v7, s0
	s_delay_alu instid0(VALU_DEP_1)
	v_add_nc_u32_e32 v7, v6, v7
	ds_bpermute_b32 v6, v5, v7
	s_cbranch_execz .LBB105_3
	s_branch .LBB105_4
.LBB105_2:
                                        ; implicit-def: $vgpr7
                                        ; implicit-def: $vgpr6
	s_and_not1_b32 vcc_lo, exec_lo, s4
	s_cbranch_vccnz .LBB105_4
.LBB105_3:
	s_waitcnt vmcnt(0) lgkmcnt(0)
	v_mov_b32_dpp v6, v4 row_shr:1 row_mask:0xf bank_mask:0xf
	s_delay_alu instid0(VALU_DEP_1) | instskip(NEXT) | instid1(VALU_DEP_1)
	v_cndmask_b32_e64 v6, v6, 0, s3
	v_add_nc_u32_e32 v4, v6, v4
	s_delay_alu instid0(VALU_DEP_1) | instskip(NEXT) | instid1(VALU_DEP_1)
	v_mov_b32_dpp v6, v4 row_shr:2 row_mask:0xf bank_mask:0xf
	v_cndmask_b32_e64 v6, 0, v6, s2
	s_delay_alu instid0(VALU_DEP_1) | instskip(NEXT) | instid1(VALU_DEP_1)
	v_add_nc_u32_e32 v4, v4, v6
	v_mov_b32_dpp v6, v4 row_shr:4 row_mask:0xf bank_mask:0xf
	s_delay_alu instid0(VALU_DEP_1) | instskip(NEXT) | instid1(VALU_DEP_1)
	v_cndmask_b32_e64 v6, 0, v6, s1
	v_add_nc_u32_e32 v4, v4, v6
	s_delay_alu instid0(VALU_DEP_1) | instskip(NEXT) | instid1(VALU_DEP_1)
	v_mov_b32_dpp v6, v4 row_shr:8 row_mask:0xf bank_mask:0xf
	v_cndmask_b32_e64 v6, 0, v6, s0
	s_delay_alu instid0(VALU_DEP_1)
	v_add_nc_u32_e32 v7, v4, v6
	ds_bpermute_b32 v6, v5, v7
.LBB105_4:
	v_add_co_u32 v2, vcc_lo, s6, v2
	v_and_b32_e32 v0, 15, v0
	v_add_co_ci_u32_e32 v3, vcc_lo, s7, v3, vcc_lo
	s_mov_b32 s0, exec_lo
	global_store_b32 v[2:3], v7, off
	v_cmpx_eq_u32_e32 0, v0
	s_cbranch_execz .LBB105_6
; %bb.5:
	v_lshrrev_b32_e32 v0, 2, v1
	s_waitcnt lgkmcnt(0)
	global_store_b32 v0, v6, s[8:9]
.LBB105_6:
	s_nop 0
	s_sendmsg sendmsg(MSG_DEALLOC_VGPRS)
	s_endpgm
	.section	.rodata,"a",@progbits
	.p2align	6, 0x0
	.amdhsa_kernel _Z33warp_inclusive_scan_reduce_kernelIiLj64ELj16EENSt9enable_ifIXsr10test_utilsE35device_test_enabled_for_warp_size_vIXT1_EEEvE4typeEPT_S4_S4_
		.amdhsa_group_segment_fixed_size 0
		.amdhsa_private_segment_fixed_size 0
		.amdhsa_kernarg_size 24
		.amdhsa_user_sgpr_count 15
		.amdhsa_user_sgpr_dispatch_ptr 0
		.amdhsa_user_sgpr_queue_ptr 0
		.amdhsa_user_sgpr_kernarg_segment_ptr 1
		.amdhsa_user_sgpr_dispatch_id 0
		.amdhsa_user_sgpr_private_segment_size 0
		.amdhsa_wavefront_size32 1
		.amdhsa_uses_dynamic_stack 0
		.amdhsa_enable_private_segment 0
		.amdhsa_system_sgpr_workgroup_id_x 1
		.amdhsa_system_sgpr_workgroup_id_y 0
		.amdhsa_system_sgpr_workgroup_id_z 0
		.amdhsa_system_sgpr_workgroup_info 0
		.amdhsa_system_vgpr_workitem_id 0
		.amdhsa_next_free_vgpr 8
		.amdhsa_next_free_sgpr 16
		.amdhsa_reserve_vcc 1
		.amdhsa_float_round_mode_32 0
		.amdhsa_float_round_mode_16_64 0
		.amdhsa_float_denorm_mode_32 3
		.amdhsa_float_denorm_mode_16_64 3
		.amdhsa_dx10_clamp 1
		.amdhsa_ieee_mode 1
		.amdhsa_fp16_overflow 0
		.amdhsa_workgroup_processor_mode 1
		.amdhsa_memory_ordered 1
		.amdhsa_forward_progress 0
		.amdhsa_shared_vgpr_count 0
		.amdhsa_exception_fp_ieee_invalid_op 0
		.amdhsa_exception_fp_denorm_src 0
		.amdhsa_exception_fp_ieee_div_zero 0
		.amdhsa_exception_fp_ieee_overflow 0
		.amdhsa_exception_fp_ieee_underflow 0
		.amdhsa_exception_fp_ieee_inexact 0
		.amdhsa_exception_int_div_zero 0
	.end_amdhsa_kernel
	.section	.text._Z33warp_inclusive_scan_reduce_kernelIiLj64ELj16EENSt9enable_ifIXsr10test_utilsE35device_test_enabled_for_warp_size_vIXT1_EEEvE4typeEPT_S4_S4_,"axG",@progbits,_Z33warp_inclusive_scan_reduce_kernelIiLj64ELj16EENSt9enable_ifIXsr10test_utilsE35device_test_enabled_for_warp_size_vIXT1_EEEvE4typeEPT_S4_S4_,comdat
.Lfunc_end105:
	.size	_Z33warp_inclusive_scan_reduce_kernelIiLj64ELj16EENSt9enable_ifIXsr10test_utilsE35device_test_enabled_for_warp_size_vIXT1_EEEvE4typeEPT_S4_S4_, .Lfunc_end105-_Z33warp_inclusive_scan_reduce_kernelIiLj64ELj16EENSt9enable_ifIXsr10test_utilsE35device_test_enabled_for_warp_size_vIXT1_EEEvE4typeEPT_S4_S4_
                                        ; -- End function
	.section	.AMDGPU.csdata,"",@progbits
; Kernel info:
; codeLenInByte = 460
; NumSgprs: 18
; NumVgprs: 8
; ScratchSize: 0
; MemoryBound: 0
; FloatMode: 240
; IeeeMode: 1
; LDSByteSize: 0 bytes/workgroup (compile time only)
; SGPRBlocks: 2
; VGPRBlocks: 0
; NumSGPRsForWavesPerEU: 18
; NumVGPRsForWavesPerEU: 8
; Occupancy: 16
; WaveLimiterHint : 0
; COMPUTE_PGM_RSRC2:SCRATCH_EN: 0
; COMPUTE_PGM_RSRC2:USER_SGPR: 15
; COMPUTE_PGM_RSRC2:TRAP_HANDLER: 0
; COMPUTE_PGM_RSRC2:TGID_X_EN: 1
; COMPUTE_PGM_RSRC2:TGID_Y_EN: 0
; COMPUTE_PGM_RSRC2:TGID_Z_EN: 0
; COMPUTE_PGM_RSRC2:TIDIG_COMP_CNT: 0
	.section	.text._Z33warp_inclusive_scan_reduce_kernelIiLj32ELj8EENSt9enable_ifIXsr10test_utilsE35device_test_enabled_for_warp_size_vIXT1_EEEvE4typeEPT_S4_S4_,"axG",@progbits,_Z33warp_inclusive_scan_reduce_kernelIiLj32ELj8EENSt9enable_ifIXsr10test_utilsE35device_test_enabled_for_warp_size_vIXT1_EEEvE4typeEPT_S4_S4_,comdat
	.protected	_Z33warp_inclusive_scan_reduce_kernelIiLj32ELj8EENSt9enable_ifIXsr10test_utilsE35device_test_enabled_for_warp_size_vIXT1_EEEvE4typeEPT_S4_S4_ ; -- Begin function _Z33warp_inclusive_scan_reduce_kernelIiLj32ELj8EENSt9enable_ifIXsr10test_utilsE35device_test_enabled_for_warp_size_vIXT1_EEEvE4typeEPT_S4_S4_
	.globl	_Z33warp_inclusive_scan_reduce_kernelIiLj32ELj8EENSt9enable_ifIXsr10test_utilsE35device_test_enabled_for_warp_size_vIXT1_EEEvE4typeEPT_S4_S4_
	.p2align	8
	.type	_Z33warp_inclusive_scan_reduce_kernelIiLj32ELj8EENSt9enable_ifIXsr10test_utilsE35device_test_enabled_for_warp_size_vIXT1_EEEvE4typeEPT_S4_S4_,@function
_Z33warp_inclusive_scan_reduce_kernelIiLj32ELj8EENSt9enable_ifIXsr10test_utilsE35device_test_enabled_for_warp_size_vIXT1_EEEvE4typeEPT_S4_S4_: ; @_Z33warp_inclusive_scan_reduce_kernelIiLj32ELj8EENSt9enable_ifIXsr10test_utilsE35device_test_enabled_for_warp_size_vIXT1_EEEvE4typeEPT_S4_S4_
; %bb.0:
	s_clause 0x1
	s_load_b128 s[4:7], s[0:1], 0x0
	s_load_b64 s[8:9], s[0:1], 0x10
	v_mov_b32_e32 v2, 0
	v_lshl_or_b32 v1, s15, 5, v0
	s_bitcmp1_b32 s15, 0
	s_cselect_b32 s3, -1, 0
	s_delay_alu instid0(VALU_DEP_1) | instskip(SKIP_1) | instid1(VALU_DEP_1)
	v_lshlrev_b64 v[2:3], 2, v[1:2]
	s_waitcnt lgkmcnt(0)
	v_add_co_u32 v4, vcc_lo, s4, v2
	s_delay_alu instid0(VALU_DEP_2) | instskip(SKIP_4) | instid1(VALU_DEP_1)
	v_add_co_ci_u32_e32 v5, vcc_lo, s5, v3, vcc_lo
	s_and_b32 vcc_lo, exec_lo, s3
	s_mov_b32 s3, -1
	global_load_b32 v4, v[4:5], off
	v_mbcnt_lo_u32_b32 v5, -1, 0
	v_and_b32_e32 v6, 7, v5
	v_lshl_or_b32 v5, v5, 2, 28
	s_delay_alu instid0(VALU_DEP_2)
	v_cmp_eq_u32_e64 s2, 0, v6
	v_cmp_lt_u32_e64 s1, 1, v6
	v_cmp_lt_u32_e64 s0, 3, v6
	s_cbranch_vccz .LBB106_2
; %bb.1:
	s_waitcnt vmcnt(0)
	v_mov_b32_dpp v6, v4 row_shr:1 row_mask:0xf bank_mask:0xf
	s_delay_alu instid0(VALU_DEP_1) | instskip(NEXT) | instid1(VALU_DEP_1)
	v_cndmask_b32_e64 v6, v6, 0, s2
	v_add_nc_u32_e32 v6, v6, v4
	s_delay_alu instid0(VALU_DEP_1) | instskip(NEXT) | instid1(VALU_DEP_1)
	v_mov_b32_dpp v7, v6 row_shr:2 row_mask:0xf bank_mask:0xf
	v_cndmask_b32_e64 v7, 0, v7, s1
	s_delay_alu instid0(VALU_DEP_1) | instskip(NEXT) | instid1(VALU_DEP_1)
	v_add_nc_u32_e32 v6, v6, v7
	v_mov_b32_dpp v7, v6 row_shr:4 row_mask:0xf bank_mask:0xf
	s_delay_alu instid0(VALU_DEP_1) | instskip(NEXT) | instid1(VALU_DEP_1)
	v_cndmask_b32_e64 v7, 0, v7, s0
	v_add_nc_u32_e32 v7, v6, v7
	ds_bpermute_b32 v6, v5, v7
	s_cbranch_execz .LBB106_3
	s_branch .LBB106_4
.LBB106_2:
                                        ; implicit-def: $vgpr7
                                        ; implicit-def: $vgpr6
	s_and_not1_b32 vcc_lo, exec_lo, s3
	s_cbranch_vccnz .LBB106_4
.LBB106_3:
	s_waitcnt vmcnt(0) lgkmcnt(0)
	v_mov_b32_dpp v6, v4 row_shr:1 row_mask:0xf bank_mask:0xf
	s_delay_alu instid0(VALU_DEP_1) | instskip(NEXT) | instid1(VALU_DEP_1)
	v_cndmask_b32_e64 v6, v6, 0, s2
	v_add_nc_u32_e32 v4, v6, v4
	s_delay_alu instid0(VALU_DEP_1) | instskip(NEXT) | instid1(VALU_DEP_1)
	v_mov_b32_dpp v6, v4 row_shr:2 row_mask:0xf bank_mask:0xf
	v_cndmask_b32_e64 v6, 0, v6, s1
	s_delay_alu instid0(VALU_DEP_1) | instskip(NEXT) | instid1(VALU_DEP_1)
	v_add_nc_u32_e32 v4, v4, v6
	v_mov_b32_dpp v6, v4 row_shr:4 row_mask:0xf bank_mask:0xf
	s_delay_alu instid0(VALU_DEP_1) | instskip(NEXT) | instid1(VALU_DEP_1)
	v_cndmask_b32_e64 v6, 0, v6, s0
	v_add_nc_u32_e32 v7, v4, v6
	ds_bpermute_b32 v6, v5, v7
.LBB106_4:
	v_add_co_u32 v2, vcc_lo, s6, v2
	v_and_b32_e32 v0, 7, v0
	v_add_co_ci_u32_e32 v3, vcc_lo, s7, v3, vcc_lo
	s_mov_b32 s0, exec_lo
	global_store_b32 v[2:3], v7, off
	v_cmpx_eq_u32_e32 0, v0
	s_cbranch_execz .LBB106_6
; %bb.5:
	v_lshrrev_b32_e32 v0, 1, v1
	s_waitcnt lgkmcnt(0)
	global_store_b32 v0, v6, s[8:9]
.LBB106_6:
	s_nop 0
	s_sendmsg sendmsg(MSG_DEALLOC_VGPRS)
	s_endpgm
	.section	.rodata,"a",@progbits
	.p2align	6, 0x0
	.amdhsa_kernel _Z33warp_inclusive_scan_reduce_kernelIiLj32ELj8EENSt9enable_ifIXsr10test_utilsE35device_test_enabled_for_warp_size_vIXT1_EEEvE4typeEPT_S4_S4_
		.amdhsa_group_segment_fixed_size 0
		.amdhsa_private_segment_fixed_size 0
		.amdhsa_kernarg_size 24
		.amdhsa_user_sgpr_count 15
		.amdhsa_user_sgpr_dispatch_ptr 0
		.amdhsa_user_sgpr_queue_ptr 0
		.amdhsa_user_sgpr_kernarg_segment_ptr 1
		.amdhsa_user_sgpr_dispatch_id 0
		.amdhsa_user_sgpr_private_segment_size 0
		.amdhsa_wavefront_size32 1
		.amdhsa_uses_dynamic_stack 0
		.amdhsa_enable_private_segment 0
		.amdhsa_system_sgpr_workgroup_id_x 1
		.amdhsa_system_sgpr_workgroup_id_y 0
		.amdhsa_system_sgpr_workgroup_id_z 0
		.amdhsa_system_sgpr_workgroup_info 0
		.amdhsa_system_vgpr_workitem_id 0
		.amdhsa_next_free_vgpr 8
		.amdhsa_next_free_sgpr 16
		.amdhsa_reserve_vcc 1
		.amdhsa_float_round_mode_32 0
		.amdhsa_float_round_mode_16_64 0
		.amdhsa_float_denorm_mode_32 3
		.amdhsa_float_denorm_mode_16_64 3
		.amdhsa_dx10_clamp 1
		.amdhsa_ieee_mode 1
		.amdhsa_fp16_overflow 0
		.amdhsa_workgroup_processor_mode 1
		.amdhsa_memory_ordered 1
		.amdhsa_forward_progress 0
		.amdhsa_shared_vgpr_count 0
		.amdhsa_exception_fp_ieee_invalid_op 0
		.amdhsa_exception_fp_denorm_src 0
		.amdhsa_exception_fp_ieee_div_zero 0
		.amdhsa_exception_fp_ieee_overflow 0
		.amdhsa_exception_fp_ieee_underflow 0
		.amdhsa_exception_fp_ieee_inexact 0
		.amdhsa_exception_int_div_zero 0
	.end_amdhsa_kernel
	.section	.text._Z33warp_inclusive_scan_reduce_kernelIiLj32ELj8EENSt9enable_ifIXsr10test_utilsE35device_test_enabled_for_warp_size_vIXT1_EEEvE4typeEPT_S4_S4_,"axG",@progbits,_Z33warp_inclusive_scan_reduce_kernelIiLj32ELj8EENSt9enable_ifIXsr10test_utilsE35device_test_enabled_for_warp_size_vIXT1_EEEvE4typeEPT_S4_S4_,comdat
.Lfunc_end106:
	.size	_Z33warp_inclusive_scan_reduce_kernelIiLj32ELj8EENSt9enable_ifIXsr10test_utilsE35device_test_enabled_for_warp_size_vIXT1_EEEvE4typeEPT_S4_S4_, .Lfunc_end106-_Z33warp_inclusive_scan_reduce_kernelIiLj32ELj8EENSt9enable_ifIXsr10test_utilsE35device_test_enabled_for_warp_size_vIXT1_EEEvE4typeEPT_S4_S4_
                                        ; -- End function
	.section	.AMDGPU.csdata,"",@progbits
; Kernel info:
; codeLenInByte = 396
; NumSgprs: 18
; NumVgprs: 8
; ScratchSize: 0
; MemoryBound: 0
; FloatMode: 240
; IeeeMode: 1
; LDSByteSize: 0 bytes/workgroup (compile time only)
; SGPRBlocks: 2
; VGPRBlocks: 0
; NumSGPRsForWavesPerEU: 18
; NumVGPRsForWavesPerEU: 8
; Occupancy: 16
; WaveLimiterHint : 0
; COMPUTE_PGM_RSRC2:SCRATCH_EN: 0
; COMPUTE_PGM_RSRC2:USER_SGPR: 15
; COMPUTE_PGM_RSRC2:TRAP_HANDLER: 0
; COMPUTE_PGM_RSRC2:TGID_X_EN: 1
; COMPUTE_PGM_RSRC2:TGID_Y_EN: 0
; COMPUTE_PGM_RSRC2:TGID_Z_EN: 0
; COMPUTE_PGM_RSRC2:TIDIG_COMP_CNT: 0
	.section	.text._Z33warp_inclusive_scan_reduce_kernelIiLj64ELj8EENSt9enable_ifIXsr10test_utilsE35device_test_enabled_for_warp_size_vIXT1_EEEvE4typeEPT_S4_S4_,"axG",@progbits,_Z33warp_inclusive_scan_reduce_kernelIiLj64ELj8EENSt9enable_ifIXsr10test_utilsE35device_test_enabled_for_warp_size_vIXT1_EEEvE4typeEPT_S4_S4_,comdat
	.protected	_Z33warp_inclusive_scan_reduce_kernelIiLj64ELj8EENSt9enable_ifIXsr10test_utilsE35device_test_enabled_for_warp_size_vIXT1_EEEvE4typeEPT_S4_S4_ ; -- Begin function _Z33warp_inclusive_scan_reduce_kernelIiLj64ELj8EENSt9enable_ifIXsr10test_utilsE35device_test_enabled_for_warp_size_vIXT1_EEEvE4typeEPT_S4_S4_
	.globl	_Z33warp_inclusive_scan_reduce_kernelIiLj64ELj8EENSt9enable_ifIXsr10test_utilsE35device_test_enabled_for_warp_size_vIXT1_EEEvE4typeEPT_S4_S4_
	.p2align	8
	.type	_Z33warp_inclusive_scan_reduce_kernelIiLj64ELj8EENSt9enable_ifIXsr10test_utilsE35device_test_enabled_for_warp_size_vIXT1_EEEvE4typeEPT_S4_S4_,@function
_Z33warp_inclusive_scan_reduce_kernelIiLj64ELj8EENSt9enable_ifIXsr10test_utilsE35device_test_enabled_for_warp_size_vIXT1_EEEvE4typeEPT_S4_S4_: ; @_Z33warp_inclusive_scan_reduce_kernelIiLj64ELj8EENSt9enable_ifIXsr10test_utilsE35device_test_enabled_for_warp_size_vIXT1_EEEvE4typeEPT_S4_S4_
; %bb.0:
	s_clause 0x1
	s_load_b128 s[4:7], s[0:1], 0x0
	s_load_b64 s[8:9], s[0:1], 0x10
	v_mov_b32_e32 v2, 0
	v_lshl_or_b32 v1, s15, 6, v0
	s_bitcmp1_b32 s15, 0
	s_cselect_b32 s3, -1, 0
	s_delay_alu instid0(VALU_DEP_1) | instskip(SKIP_1) | instid1(VALU_DEP_1)
	v_lshlrev_b64 v[2:3], 2, v[1:2]
	s_waitcnt lgkmcnt(0)
	v_add_co_u32 v4, vcc_lo, s4, v2
	s_delay_alu instid0(VALU_DEP_2) | instskip(SKIP_4) | instid1(VALU_DEP_1)
	v_add_co_ci_u32_e32 v5, vcc_lo, s5, v3, vcc_lo
	s_and_b32 vcc_lo, exec_lo, s3
	s_mov_b32 s3, -1
	global_load_b32 v4, v[4:5], off
	v_mbcnt_lo_u32_b32 v5, -1, 0
	v_and_b32_e32 v6, 7, v5
	v_lshl_or_b32 v5, v5, 2, 28
	s_delay_alu instid0(VALU_DEP_2)
	v_cmp_eq_u32_e64 s2, 0, v6
	v_cmp_lt_u32_e64 s1, 1, v6
	v_cmp_lt_u32_e64 s0, 3, v6
	s_cbranch_vccz .LBB107_2
; %bb.1:
	s_waitcnt vmcnt(0)
	v_mov_b32_dpp v6, v4 row_shr:1 row_mask:0xf bank_mask:0xf
	s_delay_alu instid0(VALU_DEP_1) | instskip(NEXT) | instid1(VALU_DEP_1)
	v_cndmask_b32_e64 v6, v6, 0, s2
	v_add_nc_u32_e32 v6, v6, v4
	s_delay_alu instid0(VALU_DEP_1) | instskip(NEXT) | instid1(VALU_DEP_1)
	v_mov_b32_dpp v7, v6 row_shr:2 row_mask:0xf bank_mask:0xf
	v_cndmask_b32_e64 v7, 0, v7, s1
	s_delay_alu instid0(VALU_DEP_1) | instskip(NEXT) | instid1(VALU_DEP_1)
	v_add_nc_u32_e32 v6, v6, v7
	v_mov_b32_dpp v7, v6 row_shr:4 row_mask:0xf bank_mask:0xf
	s_delay_alu instid0(VALU_DEP_1) | instskip(NEXT) | instid1(VALU_DEP_1)
	v_cndmask_b32_e64 v7, 0, v7, s0
	v_add_nc_u32_e32 v7, v6, v7
	ds_bpermute_b32 v6, v5, v7
	s_cbranch_execz .LBB107_3
	s_branch .LBB107_4
.LBB107_2:
                                        ; implicit-def: $vgpr7
                                        ; implicit-def: $vgpr6
	s_and_not1_b32 vcc_lo, exec_lo, s3
	s_cbranch_vccnz .LBB107_4
.LBB107_3:
	s_waitcnt vmcnt(0) lgkmcnt(0)
	v_mov_b32_dpp v6, v4 row_shr:1 row_mask:0xf bank_mask:0xf
	s_delay_alu instid0(VALU_DEP_1) | instskip(NEXT) | instid1(VALU_DEP_1)
	v_cndmask_b32_e64 v6, v6, 0, s2
	v_add_nc_u32_e32 v4, v6, v4
	s_delay_alu instid0(VALU_DEP_1) | instskip(NEXT) | instid1(VALU_DEP_1)
	v_mov_b32_dpp v6, v4 row_shr:2 row_mask:0xf bank_mask:0xf
	v_cndmask_b32_e64 v6, 0, v6, s1
	s_delay_alu instid0(VALU_DEP_1) | instskip(NEXT) | instid1(VALU_DEP_1)
	v_add_nc_u32_e32 v4, v4, v6
	v_mov_b32_dpp v6, v4 row_shr:4 row_mask:0xf bank_mask:0xf
	s_delay_alu instid0(VALU_DEP_1) | instskip(NEXT) | instid1(VALU_DEP_1)
	v_cndmask_b32_e64 v6, 0, v6, s0
	v_add_nc_u32_e32 v7, v4, v6
	ds_bpermute_b32 v6, v5, v7
.LBB107_4:
	v_add_co_u32 v2, vcc_lo, s6, v2
	v_and_b32_e32 v0, 7, v0
	v_add_co_ci_u32_e32 v3, vcc_lo, s7, v3, vcc_lo
	s_mov_b32 s0, exec_lo
	global_store_b32 v[2:3], v7, off
	v_cmpx_eq_u32_e32 0, v0
	s_cbranch_execz .LBB107_6
; %bb.5:
	v_lshrrev_b32_e32 v0, 1, v1
	s_waitcnt lgkmcnt(0)
	global_store_b32 v0, v6, s[8:9]
.LBB107_6:
	s_nop 0
	s_sendmsg sendmsg(MSG_DEALLOC_VGPRS)
	s_endpgm
	.section	.rodata,"a",@progbits
	.p2align	6, 0x0
	.amdhsa_kernel _Z33warp_inclusive_scan_reduce_kernelIiLj64ELj8EENSt9enable_ifIXsr10test_utilsE35device_test_enabled_for_warp_size_vIXT1_EEEvE4typeEPT_S4_S4_
		.amdhsa_group_segment_fixed_size 0
		.amdhsa_private_segment_fixed_size 0
		.amdhsa_kernarg_size 24
		.amdhsa_user_sgpr_count 15
		.amdhsa_user_sgpr_dispatch_ptr 0
		.amdhsa_user_sgpr_queue_ptr 0
		.amdhsa_user_sgpr_kernarg_segment_ptr 1
		.amdhsa_user_sgpr_dispatch_id 0
		.amdhsa_user_sgpr_private_segment_size 0
		.amdhsa_wavefront_size32 1
		.amdhsa_uses_dynamic_stack 0
		.amdhsa_enable_private_segment 0
		.amdhsa_system_sgpr_workgroup_id_x 1
		.amdhsa_system_sgpr_workgroup_id_y 0
		.amdhsa_system_sgpr_workgroup_id_z 0
		.amdhsa_system_sgpr_workgroup_info 0
		.amdhsa_system_vgpr_workitem_id 0
		.amdhsa_next_free_vgpr 8
		.amdhsa_next_free_sgpr 16
		.amdhsa_reserve_vcc 1
		.amdhsa_float_round_mode_32 0
		.amdhsa_float_round_mode_16_64 0
		.amdhsa_float_denorm_mode_32 3
		.amdhsa_float_denorm_mode_16_64 3
		.amdhsa_dx10_clamp 1
		.amdhsa_ieee_mode 1
		.amdhsa_fp16_overflow 0
		.amdhsa_workgroup_processor_mode 1
		.amdhsa_memory_ordered 1
		.amdhsa_forward_progress 0
		.amdhsa_shared_vgpr_count 0
		.amdhsa_exception_fp_ieee_invalid_op 0
		.amdhsa_exception_fp_denorm_src 0
		.amdhsa_exception_fp_ieee_div_zero 0
		.amdhsa_exception_fp_ieee_overflow 0
		.amdhsa_exception_fp_ieee_underflow 0
		.amdhsa_exception_fp_ieee_inexact 0
		.amdhsa_exception_int_div_zero 0
	.end_amdhsa_kernel
	.section	.text._Z33warp_inclusive_scan_reduce_kernelIiLj64ELj8EENSt9enable_ifIXsr10test_utilsE35device_test_enabled_for_warp_size_vIXT1_EEEvE4typeEPT_S4_S4_,"axG",@progbits,_Z33warp_inclusive_scan_reduce_kernelIiLj64ELj8EENSt9enable_ifIXsr10test_utilsE35device_test_enabled_for_warp_size_vIXT1_EEEvE4typeEPT_S4_S4_,comdat
.Lfunc_end107:
	.size	_Z33warp_inclusive_scan_reduce_kernelIiLj64ELj8EENSt9enable_ifIXsr10test_utilsE35device_test_enabled_for_warp_size_vIXT1_EEEvE4typeEPT_S4_S4_, .Lfunc_end107-_Z33warp_inclusive_scan_reduce_kernelIiLj64ELj8EENSt9enable_ifIXsr10test_utilsE35device_test_enabled_for_warp_size_vIXT1_EEEvE4typeEPT_S4_S4_
                                        ; -- End function
	.section	.AMDGPU.csdata,"",@progbits
; Kernel info:
; codeLenInByte = 396
; NumSgprs: 18
; NumVgprs: 8
; ScratchSize: 0
; MemoryBound: 0
; FloatMode: 240
; IeeeMode: 1
; LDSByteSize: 0 bytes/workgroup (compile time only)
; SGPRBlocks: 2
; VGPRBlocks: 0
; NumSGPRsForWavesPerEU: 18
; NumVGPRsForWavesPerEU: 8
; Occupancy: 16
; WaveLimiterHint : 0
; COMPUTE_PGM_RSRC2:SCRATCH_EN: 0
; COMPUTE_PGM_RSRC2:USER_SGPR: 15
; COMPUTE_PGM_RSRC2:TRAP_HANDLER: 0
; COMPUTE_PGM_RSRC2:TGID_X_EN: 1
; COMPUTE_PGM_RSRC2:TGID_Y_EN: 0
; COMPUTE_PGM_RSRC2:TGID_Z_EN: 0
; COMPUTE_PGM_RSRC2:TIDIG_COMP_CNT: 0
	.section	.text._Z33warp_inclusive_scan_reduce_kernelIiLj32ELj4EENSt9enable_ifIXsr10test_utilsE35device_test_enabled_for_warp_size_vIXT1_EEEvE4typeEPT_S4_S4_,"axG",@progbits,_Z33warp_inclusive_scan_reduce_kernelIiLj32ELj4EENSt9enable_ifIXsr10test_utilsE35device_test_enabled_for_warp_size_vIXT1_EEEvE4typeEPT_S4_S4_,comdat
	.protected	_Z33warp_inclusive_scan_reduce_kernelIiLj32ELj4EENSt9enable_ifIXsr10test_utilsE35device_test_enabled_for_warp_size_vIXT1_EEEvE4typeEPT_S4_S4_ ; -- Begin function _Z33warp_inclusive_scan_reduce_kernelIiLj32ELj4EENSt9enable_ifIXsr10test_utilsE35device_test_enabled_for_warp_size_vIXT1_EEEvE4typeEPT_S4_S4_
	.globl	_Z33warp_inclusive_scan_reduce_kernelIiLj32ELj4EENSt9enable_ifIXsr10test_utilsE35device_test_enabled_for_warp_size_vIXT1_EEEvE4typeEPT_S4_S4_
	.p2align	8
	.type	_Z33warp_inclusive_scan_reduce_kernelIiLj32ELj4EENSt9enable_ifIXsr10test_utilsE35device_test_enabled_for_warp_size_vIXT1_EEEvE4typeEPT_S4_S4_,@function
_Z33warp_inclusive_scan_reduce_kernelIiLj32ELj4EENSt9enable_ifIXsr10test_utilsE35device_test_enabled_for_warp_size_vIXT1_EEEvE4typeEPT_S4_S4_: ; @_Z33warp_inclusive_scan_reduce_kernelIiLj32ELj4EENSt9enable_ifIXsr10test_utilsE35device_test_enabled_for_warp_size_vIXT1_EEEvE4typeEPT_S4_S4_
; %bb.0:
	s_clause 0x1
	s_load_b128 s[4:7], s[0:1], 0x0
	s_load_b64 s[2:3], s[0:1], 0x10
	v_mov_b32_e32 v2, 0
	v_lshl_or_b32 v1, s15, 5, v0
	s_bitcmp1_b32 s15, 0
	s_delay_alu instid0(VALU_DEP_1) | instskip(SKIP_1) | instid1(VALU_DEP_1)
	v_lshlrev_b64 v[2:3], 2, v[1:2]
	s_waitcnt lgkmcnt(0)
	v_add_co_u32 v4, vcc_lo, s4, v2
	s_delay_alu instid0(VALU_DEP_2) | instskip(SKIP_1) | instid1(SALU_CYCLE_1)
	v_add_co_ci_u32_e32 v5, vcc_lo, s5, v3, vcc_lo
	s_cselect_b32 s4, -1, 0
	s_and_b32 vcc_lo, exec_lo, s4
	global_load_b32 v5, v[4:5], off
	v_mbcnt_lo_u32_b32 v4, -1, 0
	s_mov_b32 s4, -1
	s_delay_alu instid0(VALU_DEP_1) | instskip(NEXT) | instid1(VALU_DEP_1)
	v_and_b32_e32 v6, 3, v4
	v_cmp_eq_u32_e64 s1, 0, v6
	v_cmp_lt_u32_e64 s0, 1, v6
	v_lshl_or_b32 v6, v4, 2, 12
	s_cbranch_vccz .LBB108_2
; %bb.1:
	s_waitcnt vmcnt(0)
	v_mov_b32_dpp v4, v5 row_shr:1 row_mask:0xf bank_mask:0xf
	s_delay_alu instid0(VALU_DEP_1) | instskip(NEXT) | instid1(VALU_DEP_1)
	v_cndmask_b32_e64 v4, v4, 0, s1
	v_add_nc_u32_e32 v4, v4, v5
	s_delay_alu instid0(VALU_DEP_1) | instskip(NEXT) | instid1(VALU_DEP_1)
	v_mov_b32_dpp v7, v4 row_shr:2 row_mask:0xf bank_mask:0xf
	v_cndmask_b32_e64 v7, 0, v7, s0
	s_delay_alu instid0(VALU_DEP_1)
	v_add_nc_u32_e32 v7, v4, v7
	ds_bpermute_b32 v4, v6, v7
	s_cbranch_execz .LBB108_3
	s_branch .LBB108_4
.LBB108_2:
                                        ; implicit-def: $vgpr7
                                        ; implicit-def: $vgpr4
	s_and_not1_b32 vcc_lo, exec_lo, s4
	s_cbranch_vccnz .LBB108_4
.LBB108_3:
	s_waitcnt vmcnt(0) lgkmcnt(0)
	v_mov_b32_dpp v4, v5 row_shr:1 row_mask:0xf bank_mask:0xf
	s_delay_alu instid0(VALU_DEP_1) | instskip(NEXT) | instid1(VALU_DEP_1)
	v_cndmask_b32_e64 v4, v4, 0, s1
	v_add_nc_u32_e32 v4, v4, v5
	s_delay_alu instid0(VALU_DEP_1) | instskip(NEXT) | instid1(VALU_DEP_1)
	v_mov_b32_dpp v5, v4 row_shr:2 row_mask:0xf bank_mask:0xf
	v_cndmask_b32_e64 v5, 0, v5, s0
	s_delay_alu instid0(VALU_DEP_1)
	v_add_nc_u32_e32 v7, v4, v5
	ds_bpermute_b32 v4, v6, v7
.LBB108_4:
	v_add_co_u32 v2, vcc_lo, s6, v2
	v_and_b32_e32 v0, 3, v0
	v_add_co_ci_u32_e32 v3, vcc_lo, s7, v3, vcc_lo
	s_mov_b32 s0, exec_lo
	global_store_b32 v[2:3], v7, off
	v_cmpx_eq_u32_e32 0, v0
	s_cbranch_execz .LBB108_6
; %bb.5:
	v_add_co_u32 v0, s0, s2, v1
	s_delay_alu instid0(VALU_DEP_1)
	v_add_co_ci_u32_e64 v1, null, s3, 0, s0
	s_waitcnt lgkmcnt(0)
	global_store_b32 v[0:1], v4, off
.LBB108_6:
	s_nop 0
	s_sendmsg sendmsg(MSG_DEALLOC_VGPRS)
	s_endpgm
	.section	.rodata,"a",@progbits
	.p2align	6, 0x0
	.amdhsa_kernel _Z33warp_inclusive_scan_reduce_kernelIiLj32ELj4EENSt9enable_ifIXsr10test_utilsE35device_test_enabled_for_warp_size_vIXT1_EEEvE4typeEPT_S4_S4_
		.amdhsa_group_segment_fixed_size 0
		.amdhsa_private_segment_fixed_size 0
		.amdhsa_kernarg_size 24
		.amdhsa_user_sgpr_count 15
		.amdhsa_user_sgpr_dispatch_ptr 0
		.amdhsa_user_sgpr_queue_ptr 0
		.amdhsa_user_sgpr_kernarg_segment_ptr 1
		.amdhsa_user_sgpr_dispatch_id 0
		.amdhsa_user_sgpr_private_segment_size 0
		.amdhsa_wavefront_size32 1
		.amdhsa_uses_dynamic_stack 0
		.amdhsa_enable_private_segment 0
		.amdhsa_system_sgpr_workgroup_id_x 1
		.amdhsa_system_sgpr_workgroup_id_y 0
		.amdhsa_system_sgpr_workgroup_id_z 0
		.amdhsa_system_sgpr_workgroup_info 0
		.amdhsa_system_vgpr_workitem_id 0
		.amdhsa_next_free_vgpr 8
		.amdhsa_next_free_sgpr 16
		.amdhsa_reserve_vcc 1
		.amdhsa_float_round_mode_32 0
		.amdhsa_float_round_mode_16_64 0
		.amdhsa_float_denorm_mode_32 3
		.amdhsa_float_denorm_mode_16_64 3
		.amdhsa_dx10_clamp 1
		.amdhsa_ieee_mode 1
		.amdhsa_fp16_overflow 0
		.amdhsa_workgroup_processor_mode 1
		.amdhsa_memory_ordered 1
		.amdhsa_forward_progress 0
		.amdhsa_shared_vgpr_count 0
		.amdhsa_exception_fp_ieee_invalid_op 0
		.amdhsa_exception_fp_denorm_src 0
		.amdhsa_exception_fp_ieee_div_zero 0
		.amdhsa_exception_fp_ieee_overflow 0
		.amdhsa_exception_fp_ieee_underflow 0
		.amdhsa_exception_fp_ieee_inexact 0
		.amdhsa_exception_int_div_zero 0
	.end_amdhsa_kernel
	.section	.text._Z33warp_inclusive_scan_reduce_kernelIiLj32ELj4EENSt9enable_ifIXsr10test_utilsE35device_test_enabled_for_warp_size_vIXT1_EEEvE4typeEPT_S4_S4_,"axG",@progbits,_Z33warp_inclusive_scan_reduce_kernelIiLj32ELj4EENSt9enable_ifIXsr10test_utilsE35device_test_enabled_for_warp_size_vIXT1_EEEvE4typeEPT_S4_S4_,comdat
.Lfunc_end108:
	.size	_Z33warp_inclusive_scan_reduce_kernelIiLj32ELj4EENSt9enable_ifIXsr10test_utilsE35device_test_enabled_for_warp_size_vIXT1_EEEvE4typeEPT_S4_S4_, .Lfunc_end108-_Z33warp_inclusive_scan_reduce_kernelIiLj32ELj4EENSt9enable_ifIXsr10test_utilsE35device_test_enabled_for_warp_size_vIXT1_EEEvE4typeEPT_S4_S4_
                                        ; -- End function
	.section	.AMDGPU.csdata,"",@progbits
; Kernel info:
; codeLenInByte = 356
; NumSgprs: 18
; NumVgprs: 8
; ScratchSize: 0
; MemoryBound: 0
; FloatMode: 240
; IeeeMode: 1
; LDSByteSize: 0 bytes/workgroup (compile time only)
; SGPRBlocks: 2
; VGPRBlocks: 0
; NumSGPRsForWavesPerEU: 18
; NumVGPRsForWavesPerEU: 8
; Occupancy: 16
; WaveLimiterHint : 0
; COMPUTE_PGM_RSRC2:SCRATCH_EN: 0
; COMPUTE_PGM_RSRC2:USER_SGPR: 15
; COMPUTE_PGM_RSRC2:TRAP_HANDLER: 0
; COMPUTE_PGM_RSRC2:TGID_X_EN: 1
; COMPUTE_PGM_RSRC2:TGID_Y_EN: 0
; COMPUTE_PGM_RSRC2:TGID_Z_EN: 0
; COMPUTE_PGM_RSRC2:TIDIG_COMP_CNT: 0
	.section	.text._Z33warp_inclusive_scan_reduce_kernelIiLj64ELj4EENSt9enable_ifIXsr10test_utilsE35device_test_enabled_for_warp_size_vIXT1_EEEvE4typeEPT_S4_S4_,"axG",@progbits,_Z33warp_inclusive_scan_reduce_kernelIiLj64ELj4EENSt9enable_ifIXsr10test_utilsE35device_test_enabled_for_warp_size_vIXT1_EEEvE4typeEPT_S4_S4_,comdat
	.protected	_Z33warp_inclusive_scan_reduce_kernelIiLj64ELj4EENSt9enable_ifIXsr10test_utilsE35device_test_enabled_for_warp_size_vIXT1_EEEvE4typeEPT_S4_S4_ ; -- Begin function _Z33warp_inclusive_scan_reduce_kernelIiLj64ELj4EENSt9enable_ifIXsr10test_utilsE35device_test_enabled_for_warp_size_vIXT1_EEEvE4typeEPT_S4_S4_
	.globl	_Z33warp_inclusive_scan_reduce_kernelIiLj64ELj4EENSt9enable_ifIXsr10test_utilsE35device_test_enabled_for_warp_size_vIXT1_EEEvE4typeEPT_S4_S4_
	.p2align	8
	.type	_Z33warp_inclusive_scan_reduce_kernelIiLj64ELj4EENSt9enable_ifIXsr10test_utilsE35device_test_enabled_for_warp_size_vIXT1_EEEvE4typeEPT_S4_S4_,@function
_Z33warp_inclusive_scan_reduce_kernelIiLj64ELj4EENSt9enable_ifIXsr10test_utilsE35device_test_enabled_for_warp_size_vIXT1_EEEvE4typeEPT_S4_S4_: ; @_Z33warp_inclusive_scan_reduce_kernelIiLj64ELj4EENSt9enable_ifIXsr10test_utilsE35device_test_enabled_for_warp_size_vIXT1_EEEvE4typeEPT_S4_S4_
; %bb.0:
	s_clause 0x1
	s_load_b128 s[4:7], s[0:1], 0x0
	s_load_b64 s[2:3], s[0:1], 0x10
	v_mov_b32_e32 v2, 0
	v_lshl_or_b32 v1, s15, 6, v0
	s_bitcmp1_b32 s15, 0
	s_delay_alu instid0(VALU_DEP_1) | instskip(SKIP_1) | instid1(VALU_DEP_1)
	v_lshlrev_b64 v[2:3], 2, v[1:2]
	s_waitcnt lgkmcnt(0)
	v_add_co_u32 v4, vcc_lo, s4, v2
	s_delay_alu instid0(VALU_DEP_2) | instskip(SKIP_1) | instid1(SALU_CYCLE_1)
	v_add_co_ci_u32_e32 v5, vcc_lo, s5, v3, vcc_lo
	s_cselect_b32 s4, -1, 0
	s_and_b32 vcc_lo, exec_lo, s4
	global_load_b32 v5, v[4:5], off
	v_mbcnt_lo_u32_b32 v4, -1, 0
	s_mov_b32 s4, -1
	s_delay_alu instid0(VALU_DEP_1) | instskip(NEXT) | instid1(VALU_DEP_1)
	v_and_b32_e32 v6, 3, v4
	v_cmp_eq_u32_e64 s1, 0, v6
	v_cmp_lt_u32_e64 s0, 1, v6
	v_lshl_or_b32 v6, v4, 2, 12
	s_cbranch_vccz .LBB109_2
; %bb.1:
	s_waitcnt vmcnt(0)
	v_mov_b32_dpp v4, v5 row_shr:1 row_mask:0xf bank_mask:0xf
	s_delay_alu instid0(VALU_DEP_1) | instskip(NEXT) | instid1(VALU_DEP_1)
	v_cndmask_b32_e64 v4, v4, 0, s1
	v_add_nc_u32_e32 v4, v4, v5
	s_delay_alu instid0(VALU_DEP_1) | instskip(NEXT) | instid1(VALU_DEP_1)
	v_mov_b32_dpp v7, v4 row_shr:2 row_mask:0xf bank_mask:0xf
	v_cndmask_b32_e64 v7, 0, v7, s0
	s_delay_alu instid0(VALU_DEP_1)
	v_add_nc_u32_e32 v7, v4, v7
	ds_bpermute_b32 v4, v6, v7
	s_cbranch_execz .LBB109_3
	s_branch .LBB109_4
.LBB109_2:
                                        ; implicit-def: $vgpr7
                                        ; implicit-def: $vgpr4
	s_and_not1_b32 vcc_lo, exec_lo, s4
	s_cbranch_vccnz .LBB109_4
.LBB109_3:
	s_waitcnt vmcnt(0) lgkmcnt(0)
	v_mov_b32_dpp v4, v5 row_shr:1 row_mask:0xf bank_mask:0xf
	s_delay_alu instid0(VALU_DEP_1) | instskip(NEXT) | instid1(VALU_DEP_1)
	v_cndmask_b32_e64 v4, v4, 0, s1
	v_add_nc_u32_e32 v4, v4, v5
	s_delay_alu instid0(VALU_DEP_1) | instskip(NEXT) | instid1(VALU_DEP_1)
	v_mov_b32_dpp v5, v4 row_shr:2 row_mask:0xf bank_mask:0xf
	v_cndmask_b32_e64 v5, 0, v5, s0
	s_delay_alu instid0(VALU_DEP_1)
	v_add_nc_u32_e32 v7, v4, v5
	ds_bpermute_b32 v4, v6, v7
.LBB109_4:
	v_add_co_u32 v2, vcc_lo, s6, v2
	v_and_b32_e32 v0, 3, v0
	v_add_co_ci_u32_e32 v3, vcc_lo, s7, v3, vcc_lo
	s_mov_b32 s0, exec_lo
	global_store_b32 v[2:3], v7, off
	v_cmpx_eq_u32_e32 0, v0
	s_cbranch_execz .LBB109_6
; %bb.5:
	v_add_co_u32 v0, s0, s2, v1
	s_delay_alu instid0(VALU_DEP_1)
	v_add_co_ci_u32_e64 v1, null, s3, 0, s0
	s_waitcnt lgkmcnt(0)
	global_store_b32 v[0:1], v4, off
.LBB109_6:
	s_nop 0
	s_sendmsg sendmsg(MSG_DEALLOC_VGPRS)
	s_endpgm
	.section	.rodata,"a",@progbits
	.p2align	6, 0x0
	.amdhsa_kernel _Z33warp_inclusive_scan_reduce_kernelIiLj64ELj4EENSt9enable_ifIXsr10test_utilsE35device_test_enabled_for_warp_size_vIXT1_EEEvE4typeEPT_S4_S4_
		.amdhsa_group_segment_fixed_size 0
		.amdhsa_private_segment_fixed_size 0
		.amdhsa_kernarg_size 24
		.amdhsa_user_sgpr_count 15
		.amdhsa_user_sgpr_dispatch_ptr 0
		.amdhsa_user_sgpr_queue_ptr 0
		.amdhsa_user_sgpr_kernarg_segment_ptr 1
		.amdhsa_user_sgpr_dispatch_id 0
		.amdhsa_user_sgpr_private_segment_size 0
		.amdhsa_wavefront_size32 1
		.amdhsa_uses_dynamic_stack 0
		.amdhsa_enable_private_segment 0
		.amdhsa_system_sgpr_workgroup_id_x 1
		.amdhsa_system_sgpr_workgroup_id_y 0
		.amdhsa_system_sgpr_workgroup_id_z 0
		.amdhsa_system_sgpr_workgroup_info 0
		.amdhsa_system_vgpr_workitem_id 0
		.amdhsa_next_free_vgpr 8
		.amdhsa_next_free_sgpr 16
		.amdhsa_reserve_vcc 1
		.amdhsa_float_round_mode_32 0
		.amdhsa_float_round_mode_16_64 0
		.amdhsa_float_denorm_mode_32 3
		.amdhsa_float_denorm_mode_16_64 3
		.amdhsa_dx10_clamp 1
		.amdhsa_ieee_mode 1
		.amdhsa_fp16_overflow 0
		.amdhsa_workgroup_processor_mode 1
		.amdhsa_memory_ordered 1
		.amdhsa_forward_progress 0
		.amdhsa_shared_vgpr_count 0
		.amdhsa_exception_fp_ieee_invalid_op 0
		.amdhsa_exception_fp_denorm_src 0
		.amdhsa_exception_fp_ieee_div_zero 0
		.amdhsa_exception_fp_ieee_overflow 0
		.amdhsa_exception_fp_ieee_underflow 0
		.amdhsa_exception_fp_ieee_inexact 0
		.amdhsa_exception_int_div_zero 0
	.end_amdhsa_kernel
	.section	.text._Z33warp_inclusive_scan_reduce_kernelIiLj64ELj4EENSt9enable_ifIXsr10test_utilsE35device_test_enabled_for_warp_size_vIXT1_EEEvE4typeEPT_S4_S4_,"axG",@progbits,_Z33warp_inclusive_scan_reduce_kernelIiLj64ELj4EENSt9enable_ifIXsr10test_utilsE35device_test_enabled_for_warp_size_vIXT1_EEEvE4typeEPT_S4_S4_,comdat
.Lfunc_end109:
	.size	_Z33warp_inclusive_scan_reduce_kernelIiLj64ELj4EENSt9enable_ifIXsr10test_utilsE35device_test_enabled_for_warp_size_vIXT1_EEEvE4typeEPT_S4_S4_, .Lfunc_end109-_Z33warp_inclusive_scan_reduce_kernelIiLj64ELj4EENSt9enable_ifIXsr10test_utilsE35device_test_enabled_for_warp_size_vIXT1_EEEvE4typeEPT_S4_S4_
                                        ; -- End function
	.section	.AMDGPU.csdata,"",@progbits
; Kernel info:
; codeLenInByte = 356
; NumSgprs: 18
; NumVgprs: 8
; ScratchSize: 0
; MemoryBound: 0
; FloatMode: 240
; IeeeMode: 1
; LDSByteSize: 0 bytes/workgroup (compile time only)
; SGPRBlocks: 2
; VGPRBlocks: 0
; NumSGPRsForWavesPerEU: 18
; NumVGPRsForWavesPerEU: 8
; Occupancy: 16
; WaveLimiterHint : 0
; COMPUTE_PGM_RSRC2:SCRATCH_EN: 0
; COMPUTE_PGM_RSRC2:USER_SGPR: 15
; COMPUTE_PGM_RSRC2:TRAP_HANDLER: 0
; COMPUTE_PGM_RSRC2:TGID_X_EN: 1
; COMPUTE_PGM_RSRC2:TGID_Y_EN: 0
; COMPUTE_PGM_RSRC2:TGID_Z_EN: 0
; COMPUTE_PGM_RSRC2:TIDIG_COMP_CNT: 0
	.section	.text._Z33warp_inclusive_scan_reduce_kernelIiLj32ELj2EENSt9enable_ifIXsr10test_utilsE35device_test_enabled_for_warp_size_vIXT1_EEEvE4typeEPT_S4_S4_,"axG",@progbits,_Z33warp_inclusive_scan_reduce_kernelIiLj32ELj2EENSt9enable_ifIXsr10test_utilsE35device_test_enabled_for_warp_size_vIXT1_EEEvE4typeEPT_S4_S4_,comdat
	.protected	_Z33warp_inclusive_scan_reduce_kernelIiLj32ELj2EENSt9enable_ifIXsr10test_utilsE35device_test_enabled_for_warp_size_vIXT1_EEEvE4typeEPT_S4_S4_ ; -- Begin function _Z33warp_inclusive_scan_reduce_kernelIiLj32ELj2EENSt9enable_ifIXsr10test_utilsE35device_test_enabled_for_warp_size_vIXT1_EEEvE4typeEPT_S4_S4_
	.globl	_Z33warp_inclusive_scan_reduce_kernelIiLj32ELj2EENSt9enable_ifIXsr10test_utilsE35device_test_enabled_for_warp_size_vIXT1_EEEvE4typeEPT_S4_S4_
	.p2align	8
	.type	_Z33warp_inclusive_scan_reduce_kernelIiLj32ELj2EENSt9enable_ifIXsr10test_utilsE35device_test_enabled_for_warp_size_vIXT1_EEEvE4typeEPT_S4_S4_,@function
_Z33warp_inclusive_scan_reduce_kernelIiLj32ELj2EENSt9enable_ifIXsr10test_utilsE35device_test_enabled_for_warp_size_vIXT1_EEEvE4typeEPT_S4_S4_: ; @_Z33warp_inclusive_scan_reduce_kernelIiLj32ELj2EENSt9enable_ifIXsr10test_utilsE35device_test_enabled_for_warp_size_vIXT1_EEEvE4typeEPT_S4_S4_
; %bb.0:
	s_clause 0x1
	s_load_b128 s[4:7], s[0:1], 0x0
	s_load_b64 s[2:3], s[0:1], 0x10
	v_mov_b32_e32 v2, 0
	v_lshl_or_b32 v1, s15, 5, v0
	s_bitcmp1_b32 s15, 0
	s_cselect_b32 s1, -1, 0
	s_delay_alu instid0(VALU_DEP_1) | instskip(SKIP_1) | instid1(VALU_DEP_1)
	v_lshlrev_b64 v[2:3], 2, v[1:2]
	s_waitcnt lgkmcnt(0)
	v_add_co_u32 v4, vcc_lo, s4, v2
	s_delay_alu instid0(VALU_DEP_2) | instskip(SKIP_4) | instid1(VALU_DEP_1)
	v_add_co_ci_u32_e32 v5, vcc_lo, s5, v3, vcc_lo
	s_and_b32 vcc_lo, exec_lo, s1
	s_mov_b32 s1, -1
	global_load_b32 v5, v[4:5], off
	v_mbcnt_lo_u32_b32 v4, -1, 0
	v_and_b32_e32 v6, 1, v4
	v_lshl_or_b32 v7, v4, 2, 4
	s_delay_alu instid0(VALU_DEP_2)
	v_cmp_eq_u32_e64 s0, 0, v6
	s_cbranch_vccz .LBB110_2
; %bb.1:
	s_waitcnt vmcnt(0)
	v_mov_b32_dpp v4, v5 row_shr:1 row_mask:0xf bank_mask:0xf
	s_delay_alu instid0(VALU_DEP_1) | instskip(NEXT) | instid1(VALU_DEP_1)
	v_cndmask_b32_e64 v4, v4, 0, s0
	v_add_nc_u32_e32 v6, v4, v5
	ds_bpermute_b32 v4, v7, v6
	s_cbranch_execz .LBB110_3
	s_branch .LBB110_4
.LBB110_2:
                                        ; implicit-def: $vgpr6
                                        ; implicit-def: $vgpr4
	s_and_not1_b32 vcc_lo, exec_lo, s1
	s_cbranch_vccnz .LBB110_4
.LBB110_3:
	s_waitcnt vmcnt(0) lgkmcnt(0)
	v_mov_b32_dpp v4, v5 row_shr:1 row_mask:0xf bank_mask:0xf
	s_delay_alu instid0(VALU_DEP_1) | instskip(NEXT) | instid1(VALU_DEP_1)
	v_cndmask_b32_e64 v4, v4, 0, s0
	v_add_nc_u32_e32 v6, v4, v5
	ds_bpermute_b32 v4, v7, v6
.LBB110_4:
	v_add_co_u32 v2, vcc_lo, s6, v2
	v_and_b32_e32 v0, 1, v0
	v_add_co_ci_u32_e32 v3, vcc_lo, s7, v3, vcc_lo
	s_mov_b32 s0, exec_lo
	global_store_b32 v[2:3], v6, off
	v_cmpx_eq_u32_e32 0, v0
	s_cbranch_execz .LBB110_6
; %bb.5:
	v_lshrrev_b32_e32 v0, 1, v1
	v_mov_b32_e32 v1, 0
	s_delay_alu instid0(VALU_DEP_1) | instskip(NEXT) | instid1(VALU_DEP_1)
	v_lshlrev_b64 v[0:1], 2, v[0:1]
	v_add_co_u32 v0, vcc_lo, s2, v0
	s_delay_alu instid0(VALU_DEP_2)
	v_add_co_ci_u32_e32 v1, vcc_lo, s3, v1, vcc_lo
	s_waitcnt lgkmcnt(0)
	global_store_b32 v[0:1], v4, off
.LBB110_6:
	s_nop 0
	s_sendmsg sendmsg(MSG_DEALLOC_VGPRS)
	s_endpgm
	.section	.rodata,"a",@progbits
	.p2align	6, 0x0
	.amdhsa_kernel _Z33warp_inclusive_scan_reduce_kernelIiLj32ELj2EENSt9enable_ifIXsr10test_utilsE35device_test_enabled_for_warp_size_vIXT1_EEEvE4typeEPT_S4_S4_
		.amdhsa_group_segment_fixed_size 0
		.amdhsa_private_segment_fixed_size 0
		.amdhsa_kernarg_size 24
		.amdhsa_user_sgpr_count 15
		.amdhsa_user_sgpr_dispatch_ptr 0
		.amdhsa_user_sgpr_queue_ptr 0
		.amdhsa_user_sgpr_kernarg_segment_ptr 1
		.amdhsa_user_sgpr_dispatch_id 0
		.amdhsa_user_sgpr_private_segment_size 0
		.amdhsa_wavefront_size32 1
		.amdhsa_uses_dynamic_stack 0
		.amdhsa_enable_private_segment 0
		.amdhsa_system_sgpr_workgroup_id_x 1
		.amdhsa_system_sgpr_workgroup_id_y 0
		.amdhsa_system_sgpr_workgroup_id_z 0
		.amdhsa_system_sgpr_workgroup_info 0
		.amdhsa_system_vgpr_workitem_id 0
		.amdhsa_next_free_vgpr 8
		.amdhsa_next_free_sgpr 16
		.amdhsa_reserve_vcc 1
		.amdhsa_float_round_mode_32 0
		.amdhsa_float_round_mode_16_64 0
		.amdhsa_float_denorm_mode_32 3
		.amdhsa_float_denorm_mode_16_64 3
		.amdhsa_dx10_clamp 1
		.amdhsa_ieee_mode 1
		.amdhsa_fp16_overflow 0
		.amdhsa_workgroup_processor_mode 1
		.amdhsa_memory_ordered 1
		.amdhsa_forward_progress 0
		.amdhsa_shared_vgpr_count 0
		.amdhsa_exception_fp_ieee_invalid_op 0
		.amdhsa_exception_fp_denorm_src 0
		.amdhsa_exception_fp_ieee_div_zero 0
		.amdhsa_exception_fp_ieee_overflow 0
		.amdhsa_exception_fp_ieee_underflow 0
		.amdhsa_exception_fp_ieee_inexact 0
		.amdhsa_exception_int_div_zero 0
	.end_amdhsa_kernel
	.section	.text._Z33warp_inclusive_scan_reduce_kernelIiLj32ELj2EENSt9enable_ifIXsr10test_utilsE35device_test_enabled_for_warp_size_vIXT1_EEEvE4typeEPT_S4_S4_,"axG",@progbits,_Z33warp_inclusive_scan_reduce_kernelIiLj32ELj2EENSt9enable_ifIXsr10test_utilsE35device_test_enabled_for_warp_size_vIXT1_EEEvE4typeEPT_S4_S4_,comdat
.Lfunc_end110:
	.size	_Z33warp_inclusive_scan_reduce_kernelIiLj32ELj2EENSt9enable_ifIXsr10test_utilsE35device_test_enabled_for_warp_size_vIXT1_EEEvE4typeEPT_S4_S4_, .Lfunc_end110-_Z33warp_inclusive_scan_reduce_kernelIiLj32ELj2EENSt9enable_ifIXsr10test_utilsE35device_test_enabled_for_warp_size_vIXT1_EEEvE4typeEPT_S4_S4_
                                        ; -- End function
	.section	.AMDGPU.csdata,"",@progbits
; Kernel info:
; codeLenInByte = 308
; NumSgprs: 18
; NumVgprs: 8
; ScratchSize: 0
; MemoryBound: 0
; FloatMode: 240
; IeeeMode: 1
; LDSByteSize: 0 bytes/workgroup (compile time only)
; SGPRBlocks: 2
; VGPRBlocks: 0
; NumSGPRsForWavesPerEU: 18
; NumVGPRsForWavesPerEU: 8
; Occupancy: 16
; WaveLimiterHint : 0
; COMPUTE_PGM_RSRC2:SCRATCH_EN: 0
; COMPUTE_PGM_RSRC2:USER_SGPR: 15
; COMPUTE_PGM_RSRC2:TRAP_HANDLER: 0
; COMPUTE_PGM_RSRC2:TGID_X_EN: 1
; COMPUTE_PGM_RSRC2:TGID_Y_EN: 0
; COMPUTE_PGM_RSRC2:TGID_Z_EN: 0
; COMPUTE_PGM_RSRC2:TIDIG_COMP_CNT: 0
	.section	.text._Z33warp_inclusive_scan_reduce_kernelIiLj64ELj2EENSt9enable_ifIXsr10test_utilsE35device_test_enabled_for_warp_size_vIXT1_EEEvE4typeEPT_S4_S4_,"axG",@progbits,_Z33warp_inclusive_scan_reduce_kernelIiLj64ELj2EENSt9enable_ifIXsr10test_utilsE35device_test_enabled_for_warp_size_vIXT1_EEEvE4typeEPT_S4_S4_,comdat
	.protected	_Z33warp_inclusive_scan_reduce_kernelIiLj64ELj2EENSt9enable_ifIXsr10test_utilsE35device_test_enabled_for_warp_size_vIXT1_EEEvE4typeEPT_S4_S4_ ; -- Begin function _Z33warp_inclusive_scan_reduce_kernelIiLj64ELj2EENSt9enable_ifIXsr10test_utilsE35device_test_enabled_for_warp_size_vIXT1_EEEvE4typeEPT_S4_S4_
	.globl	_Z33warp_inclusive_scan_reduce_kernelIiLj64ELj2EENSt9enable_ifIXsr10test_utilsE35device_test_enabled_for_warp_size_vIXT1_EEEvE4typeEPT_S4_S4_
	.p2align	8
	.type	_Z33warp_inclusive_scan_reduce_kernelIiLj64ELj2EENSt9enable_ifIXsr10test_utilsE35device_test_enabled_for_warp_size_vIXT1_EEEvE4typeEPT_S4_S4_,@function
_Z33warp_inclusive_scan_reduce_kernelIiLj64ELj2EENSt9enable_ifIXsr10test_utilsE35device_test_enabled_for_warp_size_vIXT1_EEEvE4typeEPT_S4_S4_: ; @_Z33warp_inclusive_scan_reduce_kernelIiLj64ELj2EENSt9enable_ifIXsr10test_utilsE35device_test_enabled_for_warp_size_vIXT1_EEEvE4typeEPT_S4_S4_
; %bb.0:
	s_clause 0x1
	s_load_b128 s[4:7], s[0:1], 0x0
	s_load_b64 s[2:3], s[0:1], 0x10
	v_mov_b32_e32 v2, 0
	v_lshl_or_b32 v1, s15, 6, v0
	s_bitcmp1_b32 s15, 0
	s_cselect_b32 s1, -1, 0
	s_delay_alu instid0(VALU_DEP_1) | instskip(SKIP_1) | instid1(VALU_DEP_1)
	v_lshlrev_b64 v[2:3], 2, v[1:2]
	s_waitcnt lgkmcnt(0)
	v_add_co_u32 v4, vcc_lo, s4, v2
	s_delay_alu instid0(VALU_DEP_2) | instskip(SKIP_4) | instid1(VALU_DEP_1)
	v_add_co_ci_u32_e32 v5, vcc_lo, s5, v3, vcc_lo
	s_and_b32 vcc_lo, exec_lo, s1
	s_mov_b32 s1, -1
	global_load_b32 v5, v[4:5], off
	v_mbcnt_lo_u32_b32 v4, -1, 0
	v_and_b32_e32 v6, 1, v4
	v_lshl_or_b32 v7, v4, 2, 4
	s_delay_alu instid0(VALU_DEP_2)
	v_cmp_eq_u32_e64 s0, 0, v6
	s_cbranch_vccz .LBB111_2
; %bb.1:
	s_waitcnt vmcnt(0)
	v_mov_b32_dpp v4, v5 row_shr:1 row_mask:0xf bank_mask:0xf
	s_delay_alu instid0(VALU_DEP_1) | instskip(NEXT) | instid1(VALU_DEP_1)
	v_cndmask_b32_e64 v4, v4, 0, s0
	v_add_nc_u32_e32 v6, v4, v5
	ds_bpermute_b32 v4, v7, v6
	s_cbranch_execz .LBB111_3
	s_branch .LBB111_4
.LBB111_2:
                                        ; implicit-def: $vgpr6
                                        ; implicit-def: $vgpr4
	s_and_not1_b32 vcc_lo, exec_lo, s1
	s_cbranch_vccnz .LBB111_4
.LBB111_3:
	s_waitcnt vmcnt(0) lgkmcnt(0)
	v_mov_b32_dpp v4, v5 row_shr:1 row_mask:0xf bank_mask:0xf
	s_delay_alu instid0(VALU_DEP_1) | instskip(NEXT) | instid1(VALU_DEP_1)
	v_cndmask_b32_e64 v4, v4, 0, s0
	v_add_nc_u32_e32 v6, v4, v5
	ds_bpermute_b32 v4, v7, v6
.LBB111_4:
	v_add_co_u32 v2, vcc_lo, s6, v2
	v_and_b32_e32 v0, 1, v0
	v_add_co_ci_u32_e32 v3, vcc_lo, s7, v3, vcc_lo
	s_mov_b32 s0, exec_lo
	global_store_b32 v[2:3], v6, off
	v_cmpx_eq_u32_e32 0, v0
	s_cbranch_execz .LBB111_6
; %bb.5:
	v_lshrrev_b32_e32 v0, 1, v1
	v_mov_b32_e32 v1, 0
	s_delay_alu instid0(VALU_DEP_1) | instskip(NEXT) | instid1(VALU_DEP_1)
	v_lshlrev_b64 v[0:1], 2, v[0:1]
	v_add_co_u32 v0, vcc_lo, s2, v0
	s_delay_alu instid0(VALU_DEP_2)
	v_add_co_ci_u32_e32 v1, vcc_lo, s3, v1, vcc_lo
	s_waitcnt lgkmcnt(0)
	global_store_b32 v[0:1], v4, off
.LBB111_6:
	s_nop 0
	s_sendmsg sendmsg(MSG_DEALLOC_VGPRS)
	s_endpgm
	.section	.rodata,"a",@progbits
	.p2align	6, 0x0
	.amdhsa_kernel _Z33warp_inclusive_scan_reduce_kernelIiLj64ELj2EENSt9enable_ifIXsr10test_utilsE35device_test_enabled_for_warp_size_vIXT1_EEEvE4typeEPT_S4_S4_
		.amdhsa_group_segment_fixed_size 0
		.amdhsa_private_segment_fixed_size 0
		.amdhsa_kernarg_size 24
		.amdhsa_user_sgpr_count 15
		.amdhsa_user_sgpr_dispatch_ptr 0
		.amdhsa_user_sgpr_queue_ptr 0
		.amdhsa_user_sgpr_kernarg_segment_ptr 1
		.amdhsa_user_sgpr_dispatch_id 0
		.amdhsa_user_sgpr_private_segment_size 0
		.amdhsa_wavefront_size32 1
		.amdhsa_uses_dynamic_stack 0
		.amdhsa_enable_private_segment 0
		.amdhsa_system_sgpr_workgroup_id_x 1
		.amdhsa_system_sgpr_workgroup_id_y 0
		.amdhsa_system_sgpr_workgroup_id_z 0
		.amdhsa_system_sgpr_workgroup_info 0
		.amdhsa_system_vgpr_workitem_id 0
		.amdhsa_next_free_vgpr 8
		.amdhsa_next_free_sgpr 16
		.amdhsa_reserve_vcc 1
		.amdhsa_float_round_mode_32 0
		.amdhsa_float_round_mode_16_64 0
		.amdhsa_float_denorm_mode_32 3
		.amdhsa_float_denorm_mode_16_64 3
		.amdhsa_dx10_clamp 1
		.amdhsa_ieee_mode 1
		.amdhsa_fp16_overflow 0
		.amdhsa_workgroup_processor_mode 1
		.amdhsa_memory_ordered 1
		.amdhsa_forward_progress 0
		.amdhsa_shared_vgpr_count 0
		.amdhsa_exception_fp_ieee_invalid_op 0
		.amdhsa_exception_fp_denorm_src 0
		.amdhsa_exception_fp_ieee_div_zero 0
		.amdhsa_exception_fp_ieee_overflow 0
		.amdhsa_exception_fp_ieee_underflow 0
		.amdhsa_exception_fp_ieee_inexact 0
		.amdhsa_exception_int_div_zero 0
	.end_amdhsa_kernel
	.section	.text._Z33warp_inclusive_scan_reduce_kernelIiLj64ELj2EENSt9enable_ifIXsr10test_utilsE35device_test_enabled_for_warp_size_vIXT1_EEEvE4typeEPT_S4_S4_,"axG",@progbits,_Z33warp_inclusive_scan_reduce_kernelIiLj64ELj2EENSt9enable_ifIXsr10test_utilsE35device_test_enabled_for_warp_size_vIXT1_EEEvE4typeEPT_S4_S4_,comdat
.Lfunc_end111:
	.size	_Z33warp_inclusive_scan_reduce_kernelIiLj64ELj2EENSt9enable_ifIXsr10test_utilsE35device_test_enabled_for_warp_size_vIXT1_EEEvE4typeEPT_S4_S4_, .Lfunc_end111-_Z33warp_inclusive_scan_reduce_kernelIiLj64ELj2EENSt9enable_ifIXsr10test_utilsE35device_test_enabled_for_warp_size_vIXT1_EEEvE4typeEPT_S4_S4_
                                        ; -- End function
	.section	.AMDGPU.csdata,"",@progbits
; Kernel info:
; codeLenInByte = 308
; NumSgprs: 18
; NumVgprs: 8
; ScratchSize: 0
; MemoryBound: 0
; FloatMode: 240
; IeeeMode: 1
; LDSByteSize: 0 bytes/workgroup (compile time only)
; SGPRBlocks: 2
; VGPRBlocks: 0
; NumSGPRsForWavesPerEU: 18
; NumVGPRsForWavesPerEU: 8
; Occupancy: 16
; WaveLimiterHint : 0
; COMPUTE_PGM_RSRC2:SCRATCH_EN: 0
; COMPUTE_PGM_RSRC2:USER_SGPR: 15
; COMPUTE_PGM_RSRC2:TRAP_HANDLER: 0
; COMPUTE_PGM_RSRC2:TGID_X_EN: 1
; COMPUTE_PGM_RSRC2:TGID_Y_EN: 0
; COMPUTE_PGM_RSRC2:TGID_Z_EN: 0
; COMPUTE_PGM_RSRC2:TIDIG_COMP_CNT: 0
	.section	.text._Z26warp_exclusive_scan_kernelIfLj1ELj61EENSt9enable_ifIXntsr10test_utilsE35device_test_enabled_for_warp_size_vIXT1_EEEvE4typeEPT_S4_S3_,"axG",@progbits,_Z26warp_exclusive_scan_kernelIfLj1ELj61EENSt9enable_ifIXntsr10test_utilsE35device_test_enabled_for_warp_size_vIXT1_EEEvE4typeEPT_S4_S3_,comdat
	.protected	_Z26warp_exclusive_scan_kernelIfLj1ELj61EENSt9enable_ifIXntsr10test_utilsE35device_test_enabled_for_warp_size_vIXT1_EEEvE4typeEPT_S4_S3_ ; -- Begin function _Z26warp_exclusive_scan_kernelIfLj1ELj61EENSt9enable_ifIXntsr10test_utilsE35device_test_enabled_for_warp_size_vIXT1_EEEvE4typeEPT_S4_S3_
	.globl	_Z26warp_exclusive_scan_kernelIfLj1ELj61EENSt9enable_ifIXntsr10test_utilsE35device_test_enabled_for_warp_size_vIXT1_EEEvE4typeEPT_S4_S3_
	.p2align	8
	.type	_Z26warp_exclusive_scan_kernelIfLj1ELj61EENSt9enable_ifIXntsr10test_utilsE35device_test_enabled_for_warp_size_vIXT1_EEEvE4typeEPT_S4_S3_,@function
_Z26warp_exclusive_scan_kernelIfLj1ELj61EENSt9enable_ifIXntsr10test_utilsE35device_test_enabled_for_warp_size_vIXT1_EEEvE4typeEPT_S4_S3_: ; @_Z26warp_exclusive_scan_kernelIfLj1ELj61EENSt9enable_ifIXntsr10test_utilsE35device_test_enabled_for_warp_size_vIXT1_EEEvE4typeEPT_S4_S3_
; %bb.0:
	s_endpgm
	.section	.rodata,"a",@progbits
	.p2align	6, 0x0
	.amdhsa_kernel _Z26warp_exclusive_scan_kernelIfLj1ELj61EENSt9enable_ifIXntsr10test_utilsE35device_test_enabled_for_warp_size_vIXT1_EEEvE4typeEPT_S4_S3_
		.amdhsa_group_segment_fixed_size 0
		.amdhsa_private_segment_fixed_size 0
		.amdhsa_kernarg_size 20
		.amdhsa_user_sgpr_count 15
		.amdhsa_user_sgpr_dispatch_ptr 0
		.amdhsa_user_sgpr_queue_ptr 0
		.amdhsa_user_sgpr_kernarg_segment_ptr 1
		.amdhsa_user_sgpr_dispatch_id 0
		.amdhsa_user_sgpr_private_segment_size 0
		.amdhsa_wavefront_size32 1
		.amdhsa_uses_dynamic_stack 0
		.amdhsa_enable_private_segment 0
		.amdhsa_system_sgpr_workgroup_id_x 1
		.amdhsa_system_sgpr_workgroup_id_y 0
		.amdhsa_system_sgpr_workgroup_id_z 0
		.amdhsa_system_sgpr_workgroup_info 0
		.amdhsa_system_vgpr_workitem_id 0
		.amdhsa_next_free_vgpr 1
		.amdhsa_next_free_sgpr 1
		.amdhsa_reserve_vcc 0
		.amdhsa_float_round_mode_32 0
		.amdhsa_float_round_mode_16_64 0
		.amdhsa_float_denorm_mode_32 3
		.amdhsa_float_denorm_mode_16_64 3
		.amdhsa_dx10_clamp 1
		.amdhsa_ieee_mode 1
		.amdhsa_fp16_overflow 0
		.amdhsa_workgroup_processor_mode 1
		.amdhsa_memory_ordered 1
		.amdhsa_forward_progress 0
		.amdhsa_shared_vgpr_count 0
		.amdhsa_exception_fp_ieee_invalid_op 0
		.amdhsa_exception_fp_denorm_src 0
		.amdhsa_exception_fp_ieee_div_zero 0
		.amdhsa_exception_fp_ieee_overflow 0
		.amdhsa_exception_fp_ieee_underflow 0
		.amdhsa_exception_fp_ieee_inexact 0
		.amdhsa_exception_int_div_zero 0
	.end_amdhsa_kernel
	.section	.text._Z26warp_exclusive_scan_kernelIfLj1ELj61EENSt9enable_ifIXntsr10test_utilsE35device_test_enabled_for_warp_size_vIXT1_EEEvE4typeEPT_S4_S3_,"axG",@progbits,_Z26warp_exclusive_scan_kernelIfLj1ELj61EENSt9enable_ifIXntsr10test_utilsE35device_test_enabled_for_warp_size_vIXT1_EEEvE4typeEPT_S4_S3_,comdat
.Lfunc_end112:
	.size	_Z26warp_exclusive_scan_kernelIfLj1ELj61EENSt9enable_ifIXntsr10test_utilsE35device_test_enabled_for_warp_size_vIXT1_EEEvE4typeEPT_S4_S3_, .Lfunc_end112-_Z26warp_exclusive_scan_kernelIfLj1ELj61EENSt9enable_ifIXntsr10test_utilsE35device_test_enabled_for_warp_size_vIXT1_EEEvE4typeEPT_S4_S3_
                                        ; -- End function
	.section	.AMDGPU.csdata,"",@progbits
; Kernel info:
; codeLenInByte = 4
; NumSgprs: 0
; NumVgprs: 0
; ScratchSize: 0
; MemoryBound: 0
; FloatMode: 240
; IeeeMode: 1
; LDSByteSize: 0 bytes/workgroup (compile time only)
; SGPRBlocks: 0
; VGPRBlocks: 0
; NumSGPRsForWavesPerEU: 1
; NumVGPRsForWavesPerEU: 1
; Occupancy: 16
; WaveLimiterHint : 0
; COMPUTE_PGM_RSRC2:SCRATCH_EN: 0
; COMPUTE_PGM_RSRC2:USER_SGPR: 15
; COMPUTE_PGM_RSRC2:TRAP_HANDLER: 0
; COMPUTE_PGM_RSRC2:TGID_X_EN: 1
; COMPUTE_PGM_RSRC2:TGID_Y_EN: 0
; COMPUTE_PGM_RSRC2:TGID_Z_EN: 0
; COMPUTE_PGM_RSRC2:TIDIG_COMP_CNT: 0
	.section	.text._Z26warp_exclusive_scan_kernelIfLj61ELj61EENSt9enable_ifIXntsr10test_utilsE35device_test_enabled_for_warp_size_vIXT1_EEEvE4typeEPT_S4_S3_,"axG",@progbits,_Z26warp_exclusive_scan_kernelIfLj61ELj61EENSt9enable_ifIXntsr10test_utilsE35device_test_enabled_for_warp_size_vIXT1_EEEvE4typeEPT_S4_S3_,comdat
	.protected	_Z26warp_exclusive_scan_kernelIfLj61ELj61EENSt9enable_ifIXntsr10test_utilsE35device_test_enabled_for_warp_size_vIXT1_EEEvE4typeEPT_S4_S3_ ; -- Begin function _Z26warp_exclusive_scan_kernelIfLj61ELj61EENSt9enable_ifIXntsr10test_utilsE35device_test_enabled_for_warp_size_vIXT1_EEEvE4typeEPT_S4_S3_
	.globl	_Z26warp_exclusive_scan_kernelIfLj61ELj61EENSt9enable_ifIXntsr10test_utilsE35device_test_enabled_for_warp_size_vIXT1_EEEvE4typeEPT_S4_S3_
	.p2align	8
	.type	_Z26warp_exclusive_scan_kernelIfLj61ELj61EENSt9enable_ifIXntsr10test_utilsE35device_test_enabled_for_warp_size_vIXT1_EEEvE4typeEPT_S4_S3_,@function
_Z26warp_exclusive_scan_kernelIfLj61ELj61EENSt9enable_ifIXntsr10test_utilsE35device_test_enabled_for_warp_size_vIXT1_EEEvE4typeEPT_S4_S3_: ; @_Z26warp_exclusive_scan_kernelIfLj61ELj61EENSt9enable_ifIXntsr10test_utilsE35device_test_enabled_for_warp_size_vIXT1_EEEvE4typeEPT_S4_S3_
; %bb.0:
	s_endpgm
	.section	.rodata,"a",@progbits
	.p2align	6, 0x0
	.amdhsa_kernel _Z26warp_exclusive_scan_kernelIfLj61ELj61EENSt9enable_ifIXntsr10test_utilsE35device_test_enabled_for_warp_size_vIXT1_EEEvE4typeEPT_S4_S3_
		.amdhsa_group_segment_fixed_size 0
		.amdhsa_private_segment_fixed_size 0
		.amdhsa_kernarg_size 20
		.amdhsa_user_sgpr_count 15
		.amdhsa_user_sgpr_dispatch_ptr 0
		.amdhsa_user_sgpr_queue_ptr 0
		.amdhsa_user_sgpr_kernarg_segment_ptr 1
		.amdhsa_user_sgpr_dispatch_id 0
		.amdhsa_user_sgpr_private_segment_size 0
		.amdhsa_wavefront_size32 1
		.amdhsa_uses_dynamic_stack 0
		.amdhsa_enable_private_segment 0
		.amdhsa_system_sgpr_workgroup_id_x 1
		.amdhsa_system_sgpr_workgroup_id_y 0
		.amdhsa_system_sgpr_workgroup_id_z 0
		.amdhsa_system_sgpr_workgroup_info 0
		.amdhsa_system_vgpr_workitem_id 0
		.amdhsa_next_free_vgpr 1
		.amdhsa_next_free_sgpr 1
		.amdhsa_reserve_vcc 0
		.amdhsa_float_round_mode_32 0
		.amdhsa_float_round_mode_16_64 0
		.amdhsa_float_denorm_mode_32 3
		.amdhsa_float_denorm_mode_16_64 3
		.amdhsa_dx10_clamp 1
		.amdhsa_ieee_mode 1
		.amdhsa_fp16_overflow 0
		.amdhsa_workgroup_processor_mode 1
		.amdhsa_memory_ordered 1
		.amdhsa_forward_progress 0
		.amdhsa_shared_vgpr_count 0
		.amdhsa_exception_fp_ieee_invalid_op 0
		.amdhsa_exception_fp_denorm_src 0
		.amdhsa_exception_fp_ieee_div_zero 0
		.amdhsa_exception_fp_ieee_overflow 0
		.amdhsa_exception_fp_ieee_underflow 0
		.amdhsa_exception_fp_ieee_inexact 0
		.amdhsa_exception_int_div_zero 0
	.end_amdhsa_kernel
	.section	.text._Z26warp_exclusive_scan_kernelIfLj61ELj61EENSt9enable_ifIXntsr10test_utilsE35device_test_enabled_for_warp_size_vIXT1_EEEvE4typeEPT_S4_S3_,"axG",@progbits,_Z26warp_exclusive_scan_kernelIfLj61ELj61EENSt9enable_ifIXntsr10test_utilsE35device_test_enabled_for_warp_size_vIXT1_EEEvE4typeEPT_S4_S3_,comdat
.Lfunc_end113:
	.size	_Z26warp_exclusive_scan_kernelIfLj61ELj61EENSt9enable_ifIXntsr10test_utilsE35device_test_enabled_for_warp_size_vIXT1_EEEvE4typeEPT_S4_S3_, .Lfunc_end113-_Z26warp_exclusive_scan_kernelIfLj61ELj61EENSt9enable_ifIXntsr10test_utilsE35device_test_enabled_for_warp_size_vIXT1_EEEvE4typeEPT_S4_S3_
                                        ; -- End function
	.section	.AMDGPU.csdata,"",@progbits
; Kernel info:
; codeLenInByte = 4
; NumSgprs: 0
; NumVgprs: 0
; ScratchSize: 0
; MemoryBound: 0
; FloatMode: 240
; IeeeMode: 1
; LDSByteSize: 0 bytes/workgroup (compile time only)
; SGPRBlocks: 0
; VGPRBlocks: 0
; NumSGPRsForWavesPerEU: 1
; NumVGPRsForWavesPerEU: 1
; Occupancy: 16
; WaveLimiterHint : 0
; COMPUTE_PGM_RSRC2:SCRATCH_EN: 0
; COMPUTE_PGM_RSRC2:USER_SGPR: 15
; COMPUTE_PGM_RSRC2:TRAP_HANDLER: 0
; COMPUTE_PGM_RSRC2:TGID_X_EN: 1
; COMPUTE_PGM_RSRC2:TGID_Y_EN: 0
; COMPUTE_PGM_RSRC2:TGID_Z_EN: 0
; COMPUTE_PGM_RSRC2:TIDIG_COMP_CNT: 0
	.section	.text._Z26warp_exclusive_scan_kernelIfLj1ELj37EENSt9enable_ifIXntsr10test_utilsE35device_test_enabled_for_warp_size_vIXT1_EEEvE4typeEPT_S4_S3_,"axG",@progbits,_Z26warp_exclusive_scan_kernelIfLj1ELj37EENSt9enable_ifIXntsr10test_utilsE35device_test_enabled_for_warp_size_vIXT1_EEEvE4typeEPT_S4_S3_,comdat
	.protected	_Z26warp_exclusive_scan_kernelIfLj1ELj37EENSt9enable_ifIXntsr10test_utilsE35device_test_enabled_for_warp_size_vIXT1_EEEvE4typeEPT_S4_S3_ ; -- Begin function _Z26warp_exclusive_scan_kernelIfLj1ELj37EENSt9enable_ifIXntsr10test_utilsE35device_test_enabled_for_warp_size_vIXT1_EEEvE4typeEPT_S4_S3_
	.globl	_Z26warp_exclusive_scan_kernelIfLj1ELj37EENSt9enable_ifIXntsr10test_utilsE35device_test_enabled_for_warp_size_vIXT1_EEEvE4typeEPT_S4_S3_
	.p2align	8
	.type	_Z26warp_exclusive_scan_kernelIfLj1ELj37EENSt9enable_ifIXntsr10test_utilsE35device_test_enabled_for_warp_size_vIXT1_EEEvE4typeEPT_S4_S3_,@function
_Z26warp_exclusive_scan_kernelIfLj1ELj37EENSt9enable_ifIXntsr10test_utilsE35device_test_enabled_for_warp_size_vIXT1_EEEvE4typeEPT_S4_S3_: ; @_Z26warp_exclusive_scan_kernelIfLj1ELj37EENSt9enable_ifIXntsr10test_utilsE35device_test_enabled_for_warp_size_vIXT1_EEEvE4typeEPT_S4_S3_
; %bb.0:
	s_endpgm
	.section	.rodata,"a",@progbits
	.p2align	6, 0x0
	.amdhsa_kernel _Z26warp_exclusive_scan_kernelIfLj1ELj37EENSt9enable_ifIXntsr10test_utilsE35device_test_enabled_for_warp_size_vIXT1_EEEvE4typeEPT_S4_S3_
		.amdhsa_group_segment_fixed_size 0
		.amdhsa_private_segment_fixed_size 0
		.amdhsa_kernarg_size 20
		.amdhsa_user_sgpr_count 15
		.amdhsa_user_sgpr_dispatch_ptr 0
		.amdhsa_user_sgpr_queue_ptr 0
		.amdhsa_user_sgpr_kernarg_segment_ptr 1
		.amdhsa_user_sgpr_dispatch_id 0
		.amdhsa_user_sgpr_private_segment_size 0
		.amdhsa_wavefront_size32 1
		.amdhsa_uses_dynamic_stack 0
		.amdhsa_enable_private_segment 0
		.amdhsa_system_sgpr_workgroup_id_x 1
		.amdhsa_system_sgpr_workgroup_id_y 0
		.amdhsa_system_sgpr_workgroup_id_z 0
		.amdhsa_system_sgpr_workgroup_info 0
		.amdhsa_system_vgpr_workitem_id 0
		.amdhsa_next_free_vgpr 1
		.amdhsa_next_free_sgpr 1
		.amdhsa_reserve_vcc 0
		.amdhsa_float_round_mode_32 0
		.amdhsa_float_round_mode_16_64 0
		.amdhsa_float_denorm_mode_32 3
		.amdhsa_float_denorm_mode_16_64 3
		.amdhsa_dx10_clamp 1
		.amdhsa_ieee_mode 1
		.amdhsa_fp16_overflow 0
		.amdhsa_workgroup_processor_mode 1
		.amdhsa_memory_ordered 1
		.amdhsa_forward_progress 0
		.amdhsa_shared_vgpr_count 0
		.amdhsa_exception_fp_ieee_invalid_op 0
		.amdhsa_exception_fp_denorm_src 0
		.amdhsa_exception_fp_ieee_div_zero 0
		.amdhsa_exception_fp_ieee_overflow 0
		.amdhsa_exception_fp_ieee_underflow 0
		.amdhsa_exception_fp_ieee_inexact 0
		.amdhsa_exception_int_div_zero 0
	.end_amdhsa_kernel
	.section	.text._Z26warp_exclusive_scan_kernelIfLj1ELj37EENSt9enable_ifIXntsr10test_utilsE35device_test_enabled_for_warp_size_vIXT1_EEEvE4typeEPT_S4_S3_,"axG",@progbits,_Z26warp_exclusive_scan_kernelIfLj1ELj37EENSt9enable_ifIXntsr10test_utilsE35device_test_enabled_for_warp_size_vIXT1_EEEvE4typeEPT_S4_S3_,comdat
.Lfunc_end114:
	.size	_Z26warp_exclusive_scan_kernelIfLj1ELj37EENSt9enable_ifIXntsr10test_utilsE35device_test_enabled_for_warp_size_vIXT1_EEEvE4typeEPT_S4_S3_, .Lfunc_end114-_Z26warp_exclusive_scan_kernelIfLj1ELj37EENSt9enable_ifIXntsr10test_utilsE35device_test_enabled_for_warp_size_vIXT1_EEEvE4typeEPT_S4_S3_
                                        ; -- End function
	.section	.AMDGPU.csdata,"",@progbits
; Kernel info:
; codeLenInByte = 4
; NumSgprs: 0
; NumVgprs: 0
; ScratchSize: 0
; MemoryBound: 0
; FloatMode: 240
; IeeeMode: 1
; LDSByteSize: 0 bytes/workgroup (compile time only)
; SGPRBlocks: 0
; VGPRBlocks: 0
; NumSGPRsForWavesPerEU: 1
; NumVGPRsForWavesPerEU: 1
; Occupancy: 16
; WaveLimiterHint : 0
; COMPUTE_PGM_RSRC2:SCRATCH_EN: 0
; COMPUTE_PGM_RSRC2:USER_SGPR: 15
; COMPUTE_PGM_RSRC2:TRAP_HANDLER: 0
; COMPUTE_PGM_RSRC2:TGID_X_EN: 1
; COMPUTE_PGM_RSRC2:TGID_Y_EN: 0
; COMPUTE_PGM_RSRC2:TGID_Z_EN: 0
; COMPUTE_PGM_RSRC2:TIDIG_COMP_CNT: 0
	.section	.text._Z26warp_exclusive_scan_kernelIfLj37ELj37EENSt9enable_ifIXntsr10test_utilsE35device_test_enabled_for_warp_size_vIXT1_EEEvE4typeEPT_S4_S3_,"axG",@progbits,_Z26warp_exclusive_scan_kernelIfLj37ELj37EENSt9enable_ifIXntsr10test_utilsE35device_test_enabled_for_warp_size_vIXT1_EEEvE4typeEPT_S4_S3_,comdat
	.protected	_Z26warp_exclusive_scan_kernelIfLj37ELj37EENSt9enable_ifIXntsr10test_utilsE35device_test_enabled_for_warp_size_vIXT1_EEEvE4typeEPT_S4_S3_ ; -- Begin function _Z26warp_exclusive_scan_kernelIfLj37ELj37EENSt9enable_ifIXntsr10test_utilsE35device_test_enabled_for_warp_size_vIXT1_EEEvE4typeEPT_S4_S3_
	.globl	_Z26warp_exclusive_scan_kernelIfLj37ELj37EENSt9enable_ifIXntsr10test_utilsE35device_test_enabled_for_warp_size_vIXT1_EEEvE4typeEPT_S4_S3_
	.p2align	8
	.type	_Z26warp_exclusive_scan_kernelIfLj37ELj37EENSt9enable_ifIXntsr10test_utilsE35device_test_enabled_for_warp_size_vIXT1_EEEvE4typeEPT_S4_S3_,@function
_Z26warp_exclusive_scan_kernelIfLj37ELj37EENSt9enable_ifIXntsr10test_utilsE35device_test_enabled_for_warp_size_vIXT1_EEEvE4typeEPT_S4_S3_: ; @_Z26warp_exclusive_scan_kernelIfLj37ELj37EENSt9enable_ifIXntsr10test_utilsE35device_test_enabled_for_warp_size_vIXT1_EEEvE4typeEPT_S4_S3_
; %bb.0:
	s_endpgm
	.section	.rodata,"a",@progbits
	.p2align	6, 0x0
	.amdhsa_kernel _Z26warp_exclusive_scan_kernelIfLj37ELj37EENSt9enable_ifIXntsr10test_utilsE35device_test_enabled_for_warp_size_vIXT1_EEEvE4typeEPT_S4_S3_
		.amdhsa_group_segment_fixed_size 0
		.amdhsa_private_segment_fixed_size 0
		.amdhsa_kernarg_size 20
		.amdhsa_user_sgpr_count 15
		.amdhsa_user_sgpr_dispatch_ptr 0
		.amdhsa_user_sgpr_queue_ptr 0
		.amdhsa_user_sgpr_kernarg_segment_ptr 1
		.amdhsa_user_sgpr_dispatch_id 0
		.amdhsa_user_sgpr_private_segment_size 0
		.amdhsa_wavefront_size32 1
		.amdhsa_uses_dynamic_stack 0
		.amdhsa_enable_private_segment 0
		.amdhsa_system_sgpr_workgroup_id_x 1
		.amdhsa_system_sgpr_workgroup_id_y 0
		.amdhsa_system_sgpr_workgroup_id_z 0
		.amdhsa_system_sgpr_workgroup_info 0
		.amdhsa_system_vgpr_workitem_id 0
		.amdhsa_next_free_vgpr 1
		.amdhsa_next_free_sgpr 1
		.amdhsa_reserve_vcc 0
		.amdhsa_float_round_mode_32 0
		.amdhsa_float_round_mode_16_64 0
		.amdhsa_float_denorm_mode_32 3
		.amdhsa_float_denorm_mode_16_64 3
		.amdhsa_dx10_clamp 1
		.amdhsa_ieee_mode 1
		.amdhsa_fp16_overflow 0
		.amdhsa_workgroup_processor_mode 1
		.amdhsa_memory_ordered 1
		.amdhsa_forward_progress 0
		.amdhsa_shared_vgpr_count 0
		.amdhsa_exception_fp_ieee_invalid_op 0
		.amdhsa_exception_fp_denorm_src 0
		.amdhsa_exception_fp_ieee_div_zero 0
		.amdhsa_exception_fp_ieee_overflow 0
		.amdhsa_exception_fp_ieee_underflow 0
		.amdhsa_exception_fp_ieee_inexact 0
		.amdhsa_exception_int_div_zero 0
	.end_amdhsa_kernel
	.section	.text._Z26warp_exclusive_scan_kernelIfLj37ELj37EENSt9enable_ifIXntsr10test_utilsE35device_test_enabled_for_warp_size_vIXT1_EEEvE4typeEPT_S4_S3_,"axG",@progbits,_Z26warp_exclusive_scan_kernelIfLj37ELj37EENSt9enable_ifIXntsr10test_utilsE35device_test_enabled_for_warp_size_vIXT1_EEEvE4typeEPT_S4_S3_,comdat
.Lfunc_end115:
	.size	_Z26warp_exclusive_scan_kernelIfLj37ELj37EENSt9enable_ifIXntsr10test_utilsE35device_test_enabled_for_warp_size_vIXT1_EEEvE4typeEPT_S4_S3_, .Lfunc_end115-_Z26warp_exclusive_scan_kernelIfLj37ELj37EENSt9enable_ifIXntsr10test_utilsE35device_test_enabled_for_warp_size_vIXT1_EEEvE4typeEPT_S4_S3_
                                        ; -- End function
	.section	.AMDGPU.csdata,"",@progbits
; Kernel info:
; codeLenInByte = 4
; NumSgprs: 0
; NumVgprs: 0
; ScratchSize: 0
; MemoryBound: 0
; FloatMode: 240
; IeeeMode: 1
; LDSByteSize: 0 bytes/workgroup (compile time only)
; SGPRBlocks: 0
; VGPRBlocks: 0
; NumSGPRsForWavesPerEU: 1
; NumVGPRsForWavesPerEU: 1
; Occupancy: 16
; WaveLimiterHint : 0
; COMPUTE_PGM_RSRC2:SCRATCH_EN: 0
; COMPUTE_PGM_RSRC2:USER_SGPR: 15
; COMPUTE_PGM_RSRC2:TRAP_HANDLER: 0
; COMPUTE_PGM_RSRC2:TGID_X_EN: 1
; COMPUTE_PGM_RSRC2:TGID_Y_EN: 0
; COMPUTE_PGM_RSRC2:TGID_Z_EN: 0
; COMPUTE_PGM_RSRC2:TIDIG_COMP_CNT: 0
	.section	.text._Z26warp_exclusive_scan_kernelIfLj30ELj15EENSt9enable_ifIXsr10test_utilsE35device_test_enabled_for_warp_size_vIXT1_EEEvE4typeEPT_S4_S3_,"axG",@progbits,_Z26warp_exclusive_scan_kernelIfLj30ELj15EENSt9enable_ifIXsr10test_utilsE35device_test_enabled_for_warp_size_vIXT1_EEEvE4typeEPT_S4_S3_,comdat
	.protected	_Z26warp_exclusive_scan_kernelIfLj30ELj15EENSt9enable_ifIXsr10test_utilsE35device_test_enabled_for_warp_size_vIXT1_EEEvE4typeEPT_S4_S3_ ; -- Begin function _Z26warp_exclusive_scan_kernelIfLj30ELj15EENSt9enable_ifIXsr10test_utilsE35device_test_enabled_for_warp_size_vIXT1_EEEvE4typeEPT_S4_S3_
	.globl	_Z26warp_exclusive_scan_kernelIfLj30ELj15EENSt9enable_ifIXsr10test_utilsE35device_test_enabled_for_warp_size_vIXT1_EEEvE4typeEPT_S4_S3_
	.p2align	8
	.type	_Z26warp_exclusive_scan_kernelIfLj30ELj15EENSt9enable_ifIXsr10test_utilsE35device_test_enabled_for_warp_size_vIXT1_EEEvE4typeEPT_S4_S3_,@function
_Z26warp_exclusive_scan_kernelIfLj30ELj15EENSt9enable_ifIXsr10test_utilsE35device_test_enabled_for_warp_size_vIXT1_EEEvE4typeEPT_S4_S3_: ; @_Z26warp_exclusive_scan_kernelIfLj30ELj15EENSt9enable_ifIXsr10test_utilsE35device_test_enabled_for_warp_size_vIXT1_EEEvE4typeEPT_S4_S3_
; %bb.0:
	s_clause 0x1
	s_load_b32 s2, s[0:1], 0x24
	s_load_b128 s[4:7], s[0:1], 0x0
	s_waitcnt lgkmcnt(0)
	s_and_b32 s2, s2, 0xffff
	s_delay_alu instid0(SALU_CYCLE_1) | instskip(SKIP_2) | instid1(VALU_DEP_1)
	v_mad_u64_u32 v[1:2], null, s15, s2, v[0:1]
	v_mov_b32_e32 v2, 0
	v_mul_u32_u24_e32 v0, 0x1112, v0
	v_lshrrev_b32_e32 v0, 16, v0
	s_delay_alu instid0(VALU_DEP_3) | instskip(NEXT) | instid1(VALU_DEP_1)
	v_lshlrev_b64 v[1:2], 2, v[1:2]
	v_add_co_u32 v3, vcc_lo, s4, v1
	s_delay_alu instid0(VALU_DEP_2) | instskip(SKIP_2) | instid1(VALU_DEP_1)
	v_add_co_ci_u32_e32 v4, vcc_lo, s5, v2, vcc_lo
	global_load_b32 v3, v[3:4], off
	v_mbcnt_lo_u32_b32 v4, -1, 0
	v_mul_hi_u32 v5, 0x11111112, v4
	s_delay_alu instid0(VALU_DEP_1) | instskip(NEXT) | instid1(VALU_DEP_1)
	v_mul_u32_u24_e32 v5, 15, v5
	v_sub_nc_u32_e32 v5, v4, v5
	s_delay_alu instid0(VALU_DEP_1) | instskip(SKIP_1) | instid1(VALU_DEP_2)
	v_lshlrev_b32_e32 v4, 2, v5
	v_cmp_ne_u32_e32 vcc_lo, 0, v5
	v_mad_u32_u24 v4, v0, 60, v4
	s_delay_alu instid0(VALU_DEP_1)
	v_add_nc_u32_e32 v0, -4, v4
	s_waitcnt vmcnt(0)
	ds_store_b32 v4, v3
	; wave barrier
	s_and_saveexec_b32 s2, vcc_lo
	s_cbranch_execz .LBB116_2
; %bb.1:
	ds_load_b32 v6, v0
	s_waitcnt lgkmcnt(0)
	v_add_f32_e32 v3, v3, v6
.LBB116_2:
	s_or_b32 exec_lo, exec_lo, s2
	; wave barrier
	s_and_saveexec_b32 s2, vcc_lo
	s_cbranch_execz .LBB116_4
; %bb.3:
	ds_store_b32 v4, v3
.LBB116_4:
	s_or_b32 exec_lo, exec_lo, s2
	v_cmp_lt_u32_e64 s2, 1, v5
	; wave barrier
	s_delay_alu instid0(VALU_DEP_1)
	s_and_saveexec_b32 s3, s2
	s_cbranch_execz .LBB116_6
; %bb.5:
	v_add_nc_u32_e32 v6, -8, v4
	ds_load_b32 v6, v6
	s_waitcnt lgkmcnt(0)
	v_add_f32_e32 v3, v3, v6
.LBB116_6:
	s_or_b32 exec_lo, exec_lo, s3
	; wave barrier
	s_and_saveexec_b32 s3, s2
	s_cbranch_execz .LBB116_8
; %bb.7:
	ds_store_b32 v4, v3
.LBB116_8:
	s_or_b32 exec_lo, exec_lo, s3
	v_cmp_lt_u32_e64 s2, 3, v5
	; wave barrier
	s_delay_alu instid0(VALU_DEP_1)
	s_and_saveexec_b32 s3, s2
	s_cbranch_execz .LBB116_10
; %bb.9:
	v_add_nc_u32_e32 v6, -16, v4
	ds_load_b32 v6, v6
	s_waitcnt lgkmcnt(0)
	v_add_f32_e32 v3, v3, v6
.LBB116_10:
	s_or_b32 exec_lo, exec_lo, s3
	; wave barrier
	s_and_saveexec_b32 s3, s2
	s_cbranch_execz .LBB116_12
; %bb.11:
	ds_store_b32 v4, v3
.LBB116_12:
	s_or_b32 exec_lo, exec_lo, s3
	v_cmp_lt_u32_e64 s2, 7, v5
	; wave barrier
	s_delay_alu instid0(VALU_DEP_1)
	s_and_saveexec_b32 s3, s2
	s_cbranch_execz .LBB116_14
; %bb.13:
	v_subrev_nc_u32_e32 v5, 32, v4
	ds_load_b32 v5, v5
	s_waitcnt lgkmcnt(0)
	v_add_f32_e32 v3, v3, v5
.LBB116_14:
	s_or_b32 exec_lo, exec_lo, s3
	; wave barrier
	s_and_saveexec_b32 s3, s2
	s_cbranch_execz .LBB116_16
; %bb.15:
	ds_store_b32 v4, v3
.LBB116_16:
	s_or_b32 exec_lo, exec_lo, s3
	s_load_b32 s0, s[0:1], 0x10
	; wave barrier
	s_waitcnt lgkmcnt(0)
	v_mov_b32_e32 v3, s0
	s_and_saveexec_b32 s1, vcc_lo
	s_cbranch_execz .LBB116_18
; %bb.17:
	ds_load_b32 v0, v0
	s_waitcnt lgkmcnt(0)
	v_add_f32_e32 v3, s0, v0
.LBB116_18:
	s_or_b32 exec_lo, exec_lo, s1
	v_add_co_u32 v0, vcc_lo, s6, v1
	v_add_co_ci_u32_e32 v1, vcc_lo, s7, v2, vcc_lo
	global_store_b32 v[0:1], v3, off
	s_nop 0
	s_sendmsg sendmsg(MSG_DEALLOC_VGPRS)
	s_endpgm
	.section	.rodata,"a",@progbits
	.p2align	6, 0x0
	.amdhsa_kernel _Z26warp_exclusive_scan_kernelIfLj30ELj15EENSt9enable_ifIXsr10test_utilsE35device_test_enabled_for_warp_size_vIXT1_EEEvE4typeEPT_S4_S3_
		.amdhsa_group_segment_fixed_size 120
		.amdhsa_private_segment_fixed_size 0
		.amdhsa_kernarg_size 280
		.amdhsa_user_sgpr_count 15
		.amdhsa_user_sgpr_dispatch_ptr 0
		.amdhsa_user_sgpr_queue_ptr 0
		.amdhsa_user_sgpr_kernarg_segment_ptr 1
		.amdhsa_user_sgpr_dispatch_id 0
		.amdhsa_user_sgpr_private_segment_size 0
		.amdhsa_wavefront_size32 1
		.amdhsa_uses_dynamic_stack 0
		.amdhsa_enable_private_segment 0
		.amdhsa_system_sgpr_workgroup_id_x 1
		.amdhsa_system_sgpr_workgroup_id_y 0
		.amdhsa_system_sgpr_workgroup_id_z 0
		.amdhsa_system_sgpr_workgroup_info 0
		.amdhsa_system_vgpr_workitem_id 0
		.amdhsa_next_free_vgpr 7
		.amdhsa_next_free_sgpr 16
		.amdhsa_reserve_vcc 1
		.amdhsa_float_round_mode_32 0
		.amdhsa_float_round_mode_16_64 0
		.amdhsa_float_denorm_mode_32 3
		.amdhsa_float_denorm_mode_16_64 3
		.amdhsa_dx10_clamp 1
		.amdhsa_ieee_mode 1
		.amdhsa_fp16_overflow 0
		.amdhsa_workgroup_processor_mode 1
		.amdhsa_memory_ordered 1
		.amdhsa_forward_progress 0
		.amdhsa_shared_vgpr_count 0
		.amdhsa_exception_fp_ieee_invalid_op 0
		.amdhsa_exception_fp_denorm_src 0
		.amdhsa_exception_fp_ieee_div_zero 0
		.amdhsa_exception_fp_ieee_overflow 0
		.amdhsa_exception_fp_ieee_underflow 0
		.amdhsa_exception_fp_ieee_inexact 0
		.amdhsa_exception_int_div_zero 0
	.end_amdhsa_kernel
	.section	.text._Z26warp_exclusive_scan_kernelIfLj30ELj15EENSt9enable_ifIXsr10test_utilsE35device_test_enabled_for_warp_size_vIXT1_EEEvE4typeEPT_S4_S3_,"axG",@progbits,_Z26warp_exclusive_scan_kernelIfLj30ELj15EENSt9enable_ifIXsr10test_utilsE35device_test_enabled_for_warp_size_vIXT1_EEEvE4typeEPT_S4_S3_,comdat
.Lfunc_end116:
	.size	_Z26warp_exclusive_scan_kernelIfLj30ELj15EENSt9enable_ifIXsr10test_utilsE35device_test_enabled_for_warp_size_vIXT1_EEEvE4typeEPT_S4_S3_, .Lfunc_end116-_Z26warp_exclusive_scan_kernelIfLj30ELj15EENSt9enable_ifIXsr10test_utilsE35device_test_enabled_for_warp_size_vIXT1_EEEvE4typeEPT_S4_S3_
                                        ; -- End function
	.section	.AMDGPU.csdata,"",@progbits
; Kernel info:
; codeLenInByte = 484
; NumSgprs: 18
; NumVgprs: 7
; ScratchSize: 0
; MemoryBound: 0
; FloatMode: 240
; IeeeMode: 1
; LDSByteSize: 120 bytes/workgroup (compile time only)
; SGPRBlocks: 2
; VGPRBlocks: 0
; NumSGPRsForWavesPerEU: 18
; NumVGPRsForWavesPerEU: 7
; Occupancy: 16
; WaveLimiterHint : 0
; COMPUTE_PGM_RSRC2:SCRATCH_EN: 0
; COMPUTE_PGM_RSRC2:USER_SGPR: 15
; COMPUTE_PGM_RSRC2:TRAP_HANDLER: 0
; COMPUTE_PGM_RSRC2:TGID_X_EN: 1
; COMPUTE_PGM_RSRC2:TGID_Y_EN: 0
; COMPUTE_PGM_RSRC2:TGID_Z_EN: 0
; COMPUTE_PGM_RSRC2:TIDIG_COMP_CNT: 0
	.section	.text._Z26warp_exclusive_scan_kernelIfLj60ELj15EENSt9enable_ifIXsr10test_utilsE35device_test_enabled_for_warp_size_vIXT1_EEEvE4typeEPT_S4_S3_,"axG",@progbits,_Z26warp_exclusive_scan_kernelIfLj60ELj15EENSt9enable_ifIXsr10test_utilsE35device_test_enabled_for_warp_size_vIXT1_EEEvE4typeEPT_S4_S3_,comdat
	.protected	_Z26warp_exclusive_scan_kernelIfLj60ELj15EENSt9enable_ifIXsr10test_utilsE35device_test_enabled_for_warp_size_vIXT1_EEEvE4typeEPT_S4_S3_ ; -- Begin function _Z26warp_exclusive_scan_kernelIfLj60ELj15EENSt9enable_ifIXsr10test_utilsE35device_test_enabled_for_warp_size_vIXT1_EEEvE4typeEPT_S4_S3_
	.globl	_Z26warp_exclusive_scan_kernelIfLj60ELj15EENSt9enable_ifIXsr10test_utilsE35device_test_enabled_for_warp_size_vIXT1_EEEvE4typeEPT_S4_S3_
	.p2align	8
	.type	_Z26warp_exclusive_scan_kernelIfLj60ELj15EENSt9enable_ifIXsr10test_utilsE35device_test_enabled_for_warp_size_vIXT1_EEEvE4typeEPT_S4_S3_,@function
_Z26warp_exclusive_scan_kernelIfLj60ELj15EENSt9enable_ifIXsr10test_utilsE35device_test_enabled_for_warp_size_vIXT1_EEEvE4typeEPT_S4_S3_: ; @_Z26warp_exclusive_scan_kernelIfLj60ELj15EENSt9enable_ifIXsr10test_utilsE35device_test_enabled_for_warp_size_vIXT1_EEEvE4typeEPT_S4_S3_
; %bb.0:
	s_clause 0x1
	s_load_b32 s2, s[0:1], 0x24
	s_load_b128 s[4:7], s[0:1], 0x0
	s_waitcnt lgkmcnt(0)
	s_and_b32 s2, s2, 0xffff
	s_delay_alu instid0(SALU_CYCLE_1) | instskip(SKIP_2) | instid1(VALU_DEP_1)
	v_mad_u64_u32 v[1:2], null, s15, s2, v[0:1]
	v_mov_b32_e32 v2, 0
	v_mul_u32_u24_e32 v0, 0x1112, v0
	v_lshrrev_b32_e32 v0, 16, v0
	s_delay_alu instid0(VALU_DEP_3) | instskip(NEXT) | instid1(VALU_DEP_1)
	v_lshlrev_b64 v[1:2], 2, v[1:2]
	v_add_co_u32 v3, vcc_lo, s4, v1
	s_delay_alu instid0(VALU_DEP_2) | instskip(SKIP_2) | instid1(VALU_DEP_1)
	v_add_co_ci_u32_e32 v4, vcc_lo, s5, v2, vcc_lo
	global_load_b32 v3, v[3:4], off
	v_mbcnt_lo_u32_b32 v4, -1, 0
	v_mul_hi_u32 v5, 0x11111112, v4
	s_delay_alu instid0(VALU_DEP_1) | instskip(NEXT) | instid1(VALU_DEP_1)
	v_mul_u32_u24_e32 v5, 15, v5
	v_sub_nc_u32_e32 v5, v4, v5
	s_delay_alu instid0(VALU_DEP_1) | instskip(SKIP_1) | instid1(VALU_DEP_2)
	v_lshlrev_b32_e32 v4, 2, v5
	v_cmp_ne_u32_e32 vcc_lo, 0, v5
	v_mad_u32_u24 v4, v0, 60, v4
	s_delay_alu instid0(VALU_DEP_1)
	v_add_nc_u32_e32 v0, -4, v4
	s_waitcnt vmcnt(0)
	ds_store_b32 v4, v3
	; wave barrier
	s_and_saveexec_b32 s2, vcc_lo
	s_cbranch_execz .LBB117_2
; %bb.1:
	ds_load_b32 v6, v0
	s_waitcnt lgkmcnt(0)
	v_add_f32_e32 v3, v3, v6
.LBB117_2:
	s_or_b32 exec_lo, exec_lo, s2
	; wave barrier
	s_and_saveexec_b32 s2, vcc_lo
	s_cbranch_execz .LBB117_4
; %bb.3:
	ds_store_b32 v4, v3
.LBB117_4:
	s_or_b32 exec_lo, exec_lo, s2
	v_cmp_lt_u32_e64 s2, 1, v5
	; wave barrier
	s_delay_alu instid0(VALU_DEP_1)
	s_and_saveexec_b32 s3, s2
	s_cbranch_execz .LBB117_6
; %bb.5:
	v_add_nc_u32_e32 v6, -8, v4
	ds_load_b32 v6, v6
	s_waitcnt lgkmcnt(0)
	v_add_f32_e32 v3, v3, v6
.LBB117_6:
	s_or_b32 exec_lo, exec_lo, s3
	; wave barrier
	s_and_saveexec_b32 s3, s2
	s_cbranch_execz .LBB117_8
; %bb.7:
	ds_store_b32 v4, v3
.LBB117_8:
	s_or_b32 exec_lo, exec_lo, s3
	v_cmp_lt_u32_e64 s2, 3, v5
	; wave barrier
	s_delay_alu instid0(VALU_DEP_1)
	s_and_saveexec_b32 s3, s2
	s_cbranch_execz .LBB117_10
; %bb.9:
	v_add_nc_u32_e32 v6, -16, v4
	ds_load_b32 v6, v6
	s_waitcnt lgkmcnt(0)
	v_add_f32_e32 v3, v3, v6
.LBB117_10:
	s_or_b32 exec_lo, exec_lo, s3
	; wave barrier
	s_and_saveexec_b32 s3, s2
	s_cbranch_execz .LBB117_12
; %bb.11:
	ds_store_b32 v4, v3
.LBB117_12:
	s_or_b32 exec_lo, exec_lo, s3
	v_cmp_lt_u32_e64 s2, 7, v5
	; wave barrier
	s_delay_alu instid0(VALU_DEP_1)
	s_and_saveexec_b32 s3, s2
	s_cbranch_execz .LBB117_14
; %bb.13:
	v_subrev_nc_u32_e32 v5, 32, v4
	ds_load_b32 v5, v5
	s_waitcnt lgkmcnt(0)
	v_add_f32_e32 v3, v3, v5
.LBB117_14:
	s_or_b32 exec_lo, exec_lo, s3
	; wave barrier
	s_and_saveexec_b32 s3, s2
	s_cbranch_execz .LBB117_16
; %bb.15:
	ds_store_b32 v4, v3
.LBB117_16:
	s_or_b32 exec_lo, exec_lo, s3
	s_load_b32 s0, s[0:1], 0x10
	; wave barrier
	s_waitcnt lgkmcnt(0)
	v_mov_b32_e32 v3, s0
	s_and_saveexec_b32 s1, vcc_lo
	s_cbranch_execz .LBB117_18
; %bb.17:
	ds_load_b32 v0, v0
	s_waitcnt lgkmcnt(0)
	v_add_f32_e32 v3, s0, v0
.LBB117_18:
	s_or_b32 exec_lo, exec_lo, s1
	v_add_co_u32 v0, vcc_lo, s6, v1
	v_add_co_ci_u32_e32 v1, vcc_lo, s7, v2, vcc_lo
	global_store_b32 v[0:1], v3, off
	s_nop 0
	s_sendmsg sendmsg(MSG_DEALLOC_VGPRS)
	s_endpgm
	.section	.rodata,"a",@progbits
	.p2align	6, 0x0
	.amdhsa_kernel _Z26warp_exclusive_scan_kernelIfLj60ELj15EENSt9enable_ifIXsr10test_utilsE35device_test_enabled_for_warp_size_vIXT1_EEEvE4typeEPT_S4_S3_
		.amdhsa_group_segment_fixed_size 240
		.amdhsa_private_segment_fixed_size 0
		.amdhsa_kernarg_size 280
		.amdhsa_user_sgpr_count 15
		.amdhsa_user_sgpr_dispatch_ptr 0
		.amdhsa_user_sgpr_queue_ptr 0
		.amdhsa_user_sgpr_kernarg_segment_ptr 1
		.amdhsa_user_sgpr_dispatch_id 0
		.amdhsa_user_sgpr_private_segment_size 0
		.amdhsa_wavefront_size32 1
		.amdhsa_uses_dynamic_stack 0
		.amdhsa_enable_private_segment 0
		.amdhsa_system_sgpr_workgroup_id_x 1
		.amdhsa_system_sgpr_workgroup_id_y 0
		.amdhsa_system_sgpr_workgroup_id_z 0
		.amdhsa_system_sgpr_workgroup_info 0
		.amdhsa_system_vgpr_workitem_id 0
		.amdhsa_next_free_vgpr 7
		.amdhsa_next_free_sgpr 16
		.amdhsa_reserve_vcc 1
		.amdhsa_float_round_mode_32 0
		.amdhsa_float_round_mode_16_64 0
		.amdhsa_float_denorm_mode_32 3
		.amdhsa_float_denorm_mode_16_64 3
		.amdhsa_dx10_clamp 1
		.amdhsa_ieee_mode 1
		.amdhsa_fp16_overflow 0
		.amdhsa_workgroup_processor_mode 1
		.amdhsa_memory_ordered 1
		.amdhsa_forward_progress 0
		.amdhsa_shared_vgpr_count 0
		.amdhsa_exception_fp_ieee_invalid_op 0
		.amdhsa_exception_fp_denorm_src 0
		.amdhsa_exception_fp_ieee_div_zero 0
		.amdhsa_exception_fp_ieee_overflow 0
		.amdhsa_exception_fp_ieee_underflow 0
		.amdhsa_exception_fp_ieee_inexact 0
		.amdhsa_exception_int_div_zero 0
	.end_amdhsa_kernel
	.section	.text._Z26warp_exclusive_scan_kernelIfLj60ELj15EENSt9enable_ifIXsr10test_utilsE35device_test_enabled_for_warp_size_vIXT1_EEEvE4typeEPT_S4_S3_,"axG",@progbits,_Z26warp_exclusive_scan_kernelIfLj60ELj15EENSt9enable_ifIXsr10test_utilsE35device_test_enabled_for_warp_size_vIXT1_EEEvE4typeEPT_S4_S3_,comdat
.Lfunc_end117:
	.size	_Z26warp_exclusive_scan_kernelIfLj60ELj15EENSt9enable_ifIXsr10test_utilsE35device_test_enabled_for_warp_size_vIXT1_EEEvE4typeEPT_S4_S3_, .Lfunc_end117-_Z26warp_exclusive_scan_kernelIfLj60ELj15EENSt9enable_ifIXsr10test_utilsE35device_test_enabled_for_warp_size_vIXT1_EEEvE4typeEPT_S4_S3_
                                        ; -- End function
	.section	.AMDGPU.csdata,"",@progbits
; Kernel info:
; codeLenInByte = 484
; NumSgprs: 18
; NumVgprs: 7
; ScratchSize: 0
; MemoryBound: 0
; FloatMode: 240
; IeeeMode: 1
; LDSByteSize: 240 bytes/workgroup (compile time only)
; SGPRBlocks: 2
; VGPRBlocks: 0
; NumSGPRsForWavesPerEU: 18
; NumVGPRsForWavesPerEU: 7
; Occupancy: 16
; WaveLimiterHint : 0
; COMPUTE_PGM_RSRC2:SCRATCH_EN: 0
; COMPUTE_PGM_RSRC2:USER_SGPR: 15
; COMPUTE_PGM_RSRC2:TRAP_HANDLER: 0
; COMPUTE_PGM_RSRC2:TGID_X_EN: 1
; COMPUTE_PGM_RSRC2:TGID_Y_EN: 0
; COMPUTE_PGM_RSRC2:TGID_Z_EN: 0
; COMPUTE_PGM_RSRC2:TIDIG_COMP_CNT: 0
	.section	.text._Z26warp_exclusive_scan_kernelIfLj28ELj7EENSt9enable_ifIXsr10test_utilsE35device_test_enabled_for_warp_size_vIXT1_EEEvE4typeEPT_S4_S3_,"axG",@progbits,_Z26warp_exclusive_scan_kernelIfLj28ELj7EENSt9enable_ifIXsr10test_utilsE35device_test_enabled_for_warp_size_vIXT1_EEEvE4typeEPT_S4_S3_,comdat
	.protected	_Z26warp_exclusive_scan_kernelIfLj28ELj7EENSt9enable_ifIXsr10test_utilsE35device_test_enabled_for_warp_size_vIXT1_EEEvE4typeEPT_S4_S3_ ; -- Begin function _Z26warp_exclusive_scan_kernelIfLj28ELj7EENSt9enable_ifIXsr10test_utilsE35device_test_enabled_for_warp_size_vIXT1_EEEvE4typeEPT_S4_S3_
	.globl	_Z26warp_exclusive_scan_kernelIfLj28ELj7EENSt9enable_ifIXsr10test_utilsE35device_test_enabled_for_warp_size_vIXT1_EEEvE4typeEPT_S4_S3_
	.p2align	8
	.type	_Z26warp_exclusive_scan_kernelIfLj28ELj7EENSt9enable_ifIXsr10test_utilsE35device_test_enabled_for_warp_size_vIXT1_EEEvE4typeEPT_S4_S3_,@function
_Z26warp_exclusive_scan_kernelIfLj28ELj7EENSt9enable_ifIXsr10test_utilsE35device_test_enabled_for_warp_size_vIXT1_EEEvE4typeEPT_S4_S3_: ; @_Z26warp_exclusive_scan_kernelIfLj28ELj7EENSt9enable_ifIXsr10test_utilsE35device_test_enabled_for_warp_size_vIXT1_EEEvE4typeEPT_S4_S3_
; %bb.0:
	s_clause 0x1
	s_load_b32 s2, s[0:1], 0x24
	s_load_b128 s[4:7], s[0:1], 0x0
	s_waitcnt lgkmcnt(0)
	s_and_b32 s2, s2, 0xffff
	s_delay_alu instid0(SALU_CYCLE_1) | instskip(SKIP_2) | instid1(VALU_DEP_1)
	v_mad_u64_u32 v[1:2], null, s15, s2, v[0:1]
	v_mov_b32_e32 v2, 0
	v_mul_u32_u24_e32 v0, 0x2493, v0
	v_lshrrev_b32_e32 v0, 16, v0
	s_delay_alu instid0(VALU_DEP_3) | instskip(NEXT) | instid1(VALU_DEP_1)
	v_lshlrev_b64 v[1:2], 2, v[1:2]
	v_add_co_u32 v3, vcc_lo, s4, v1
	s_delay_alu instid0(VALU_DEP_2) | instskip(SKIP_2) | instid1(VALU_DEP_1)
	v_add_co_ci_u32_e32 v4, vcc_lo, s5, v2, vcc_lo
	global_load_b32 v3, v[3:4], off
	v_mbcnt_lo_u32_b32 v4, -1, 0
	v_mul_hi_u32 v5, 0x24924925, v4
	s_delay_alu instid0(VALU_DEP_1) | instskip(NEXT) | instid1(VALU_DEP_1)
	v_mul_u32_u24_e32 v5, 7, v5
	v_sub_nc_u32_e32 v5, v4, v5
	s_delay_alu instid0(VALU_DEP_1) | instskip(SKIP_1) | instid1(VALU_DEP_2)
	v_lshlrev_b32_e32 v4, 2, v5
	v_cmp_ne_u32_e32 vcc_lo, 0, v5
	v_mad_u32_u24 v4, v0, 28, v4
	s_delay_alu instid0(VALU_DEP_1)
	v_add_nc_u32_e32 v0, -4, v4
	s_waitcnt vmcnt(0)
	ds_store_b32 v4, v3
	; wave barrier
	s_and_saveexec_b32 s2, vcc_lo
	s_cbranch_execz .LBB118_2
; %bb.1:
	ds_load_b32 v6, v0
	s_waitcnt lgkmcnt(0)
	v_add_f32_e32 v3, v3, v6
.LBB118_2:
	s_or_b32 exec_lo, exec_lo, s2
	; wave barrier
	s_and_saveexec_b32 s2, vcc_lo
	s_cbranch_execz .LBB118_4
; %bb.3:
	ds_store_b32 v4, v3
.LBB118_4:
	s_or_b32 exec_lo, exec_lo, s2
	v_cmp_lt_u32_e64 s2, 1, v5
	; wave barrier
	s_delay_alu instid0(VALU_DEP_1)
	s_and_saveexec_b32 s3, s2
	s_cbranch_execz .LBB118_6
; %bb.5:
	v_add_nc_u32_e32 v6, -8, v4
	ds_load_b32 v6, v6
	s_waitcnt lgkmcnt(0)
	v_add_f32_e32 v3, v3, v6
.LBB118_6:
	s_or_b32 exec_lo, exec_lo, s3
	; wave barrier
	s_and_saveexec_b32 s3, s2
	s_cbranch_execz .LBB118_8
; %bb.7:
	ds_store_b32 v4, v3
.LBB118_8:
	s_or_b32 exec_lo, exec_lo, s3
	v_cmp_lt_u32_e64 s2, 3, v5
	; wave barrier
	s_delay_alu instid0(VALU_DEP_1)
	s_and_saveexec_b32 s3, s2
	s_cbranch_execz .LBB118_10
; %bb.9:
	v_add_nc_u32_e32 v5, -16, v4
	ds_load_b32 v5, v5
	s_waitcnt lgkmcnt(0)
	v_add_f32_e32 v3, v3, v5
.LBB118_10:
	s_or_b32 exec_lo, exec_lo, s3
	; wave barrier
	s_and_saveexec_b32 s3, s2
	s_cbranch_execz .LBB118_12
; %bb.11:
	ds_store_b32 v4, v3
.LBB118_12:
	s_or_b32 exec_lo, exec_lo, s3
	s_load_b32 s0, s[0:1], 0x10
	; wave barrier
	s_waitcnt lgkmcnt(0)
	v_mov_b32_e32 v3, s0
	s_and_saveexec_b32 s1, vcc_lo
	s_cbranch_execz .LBB118_14
; %bb.13:
	ds_load_b32 v0, v0
	s_waitcnt lgkmcnt(0)
	v_add_f32_e32 v3, s0, v0
.LBB118_14:
	s_or_b32 exec_lo, exec_lo, s1
	v_add_co_u32 v0, vcc_lo, s6, v1
	v_add_co_ci_u32_e32 v1, vcc_lo, s7, v2, vcc_lo
	global_store_b32 v[0:1], v3, off
	s_nop 0
	s_sendmsg sendmsg(MSG_DEALLOC_VGPRS)
	s_endpgm
	.section	.rodata,"a",@progbits
	.p2align	6, 0x0
	.amdhsa_kernel _Z26warp_exclusive_scan_kernelIfLj28ELj7EENSt9enable_ifIXsr10test_utilsE35device_test_enabled_for_warp_size_vIXT1_EEEvE4typeEPT_S4_S3_
		.amdhsa_group_segment_fixed_size 112
		.amdhsa_private_segment_fixed_size 0
		.amdhsa_kernarg_size 280
		.amdhsa_user_sgpr_count 15
		.amdhsa_user_sgpr_dispatch_ptr 0
		.amdhsa_user_sgpr_queue_ptr 0
		.amdhsa_user_sgpr_kernarg_segment_ptr 1
		.amdhsa_user_sgpr_dispatch_id 0
		.amdhsa_user_sgpr_private_segment_size 0
		.amdhsa_wavefront_size32 1
		.amdhsa_uses_dynamic_stack 0
		.amdhsa_enable_private_segment 0
		.amdhsa_system_sgpr_workgroup_id_x 1
		.amdhsa_system_sgpr_workgroup_id_y 0
		.amdhsa_system_sgpr_workgroup_id_z 0
		.amdhsa_system_sgpr_workgroup_info 0
		.amdhsa_system_vgpr_workitem_id 0
		.amdhsa_next_free_vgpr 7
		.amdhsa_next_free_sgpr 16
		.amdhsa_reserve_vcc 1
		.amdhsa_float_round_mode_32 0
		.amdhsa_float_round_mode_16_64 0
		.amdhsa_float_denorm_mode_32 3
		.amdhsa_float_denorm_mode_16_64 3
		.amdhsa_dx10_clamp 1
		.amdhsa_ieee_mode 1
		.amdhsa_fp16_overflow 0
		.amdhsa_workgroup_processor_mode 1
		.amdhsa_memory_ordered 1
		.amdhsa_forward_progress 0
		.amdhsa_shared_vgpr_count 0
		.amdhsa_exception_fp_ieee_invalid_op 0
		.amdhsa_exception_fp_denorm_src 0
		.amdhsa_exception_fp_ieee_div_zero 0
		.amdhsa_exception_fp_ieee_overflow 0
		.amdhsa_exception_fp_ieee_underflow 0
		.amdhsa_exception_fp_ieee_inexact 0
		.amdhsa_exception_int_div_zero 0
	.end_amdhsa_kernel
	.section	.text._Z26warp_exclusive_scan_kernelIfLj28ELj7EENSt9enable_ifIXsr10test_utilsE35device_test_enabled_for_warp_size_vIXT1_EEEvE4typeEPT_S4_S3_,"axG",@progbits,_Z26warp_exclusive_scan_kernelIfLj28ELj7EENSt9enable_ifIXsr10test_utilsE35device_test_enabled_for_warp_size_vIXT1_EEEvE4typeEPT_S4_S3_,comdat
.Lfunc_end118:
	.size	_Z26warp_exclusive_scan_kernelIfLj28ELj7EENSt9enable_ifIXsr10test_utilsE35device_test_enabled_for_warp_size_vIXT1_EEEvE4typeEPT_S4_S3_, .Lfunc_end118-_Z26warp_exclusive_scan_kernelIfLj28ELj7EENSt9enable_ifIXsr10test_utilsE35device_test_enabled_for_warp_size_vIXT1_EEEvE4typeEPT_S4_S3_
                                        ; -- End function
	.section	.AMDGPU.csdata,"",@progbits
; Kernel info:
; codeLenInByte = 420
; NumSgprs: 18
; NumVgprs: 7
; ScratchSize: 0
; MemoryBound: 0
; FloatMode: 240
; IeeeMode: 1
; LDSByteSize: 112 bytes/workgroup (compile time only)
; SGPRBlocks: 2
; VGPRBlocks: 0
; NumSGPRsForWavesPerEU: 18
; NumVGPRsForWavesPerEU: 7
; Occupancy: 16
; WaveLimiterHint : 0
; COMPUTE_PGM_RSRC2:SCRATCH_EN: 0
; COMPUTE_PGM_RSRC2:USER_SGPR: 15
; COMPUTE_PGM_RSRC2:TRAP_HANDLER: 0
; COMPUTE_PGM_RSRC2:TGID_X_EN: 1
; COMPUTE_PGM_RSRC2:TGID_Y_EN: 0
; COMPUTE_PGM_RSRC2:TGID_Z_EN: 0
; COMPUTE_PGM_RSRC2:TIDIG_COMP_CNT: 0
	.section	.text._Z26warp_exclusive_scan_kernelIfLj63ELj7EENSt9enable_ifIXsr10test_utilsE35device_test_enabled_for_warp_size_vIXT1_EEEvE4typeEPT_S4_S3_,"axG",@progbits,_Z26warp_exclusive_scan_kernelIfLj63ELj7EENSt9enable_ifIXsr10test_utilsE35device_test_enabled_for_warp_size_vIXT1_EEEvE4typeEPT_S4_S3_,comdat
	.protected	_Z26warp_exclusive_scan_kernelIfLj63ELj7EENSt9enable_ifIXsr10test_utilsE35device_test_enabled_for_warp_size_vIXT1_EEEvE4typeEPT_S4_S3_ ; -- Begin function _Z26warp_exclusive_scan_kernelIfLj63ELj7EENSt9enable_ifIXsr10test_utilsE35device_test_enabled_for_warp_size_vIXT1_EEEvE4typeEPT_S4_S3_
	.globl	_Z26warp_exclusive_scan_kernelIfLj63ELj7EENSt9enable_ifIXsr10test_utilsE35device_test_enabled_for_warp_size_vIXT1_EEEvE4typeEPT_S4_S3_
	.p2align	8
	.type	_Z26warp_exclusive_scan_kernelIfLj63ELj7EENSt9enable_ifIXsr10test_utilsE35device_test_enabled_for_warp_size_vIXT1_EEEvE4typeEPT_S4_S3_,@function
_Z26warp_exclusive_scan_kernelIfLj63ELj7EENSt9enable_ifIXsr10test_utilsE35device_test_enabled_for_warp_size_vIXT1_EEEvE4typeEPT_S4_S3_: ; @_Z26warp_exclusive_scan_kernelIfLj63ELj7EENSt9enable_ifIXsr10test_utilsE35device_test_enabled_for_warp_size_vIXT1_EEEvE4typeEPT_S4_S3_
; %bb.0:
	s_clause 0x1
	s_load_b32 s2, s[0:1], 0x24
	s_load_b128 s[4:7], s[0:1], 0x0
	s_waitcnt lgkmcnt(0)
	s_and_b32 s2, s2, 0xffff
	s_delay_alu instid0(SALU_CYCLE_1) | instskip(SKIP_2) | instid1(VALU_DEP_1)
	v_mad_u64_u32 v[1:2], null, s15, s2, v[0:1]
	v_mov_b32_e32 v2, 0
	v_mul_u32_u24_e32 v0, 0x2493, v0
	v_lshrrev_b32_e32 v0, 16, v0
	s_delay_alu instid0(VALU_DEP_3) | instskip(NEXT) | instid1(VALU_DEP_1)
	v_lshlrev_b64 v[1:2], 2, v[1:2]
	v_add_co_u32 v3, vcc_lo, s4, v1
	s_delay_alu instid0(VALU_DEP_2) | instskip(SKIP_2) | instid1(VALU_DEP_1)
	v_add_co_ci_u32_e32 v4, vcc_lo, s5, v2, vcc_lo
	global_load_b32 v3, v[3:4], off
	v_mbcnt_lo_u32_b32 v4, -1, 0
	v_mul_hi_u32 v5, 0x24924925, v4
	s_delay_alu instid0(VALU_DEP_1) | instskip(NEXT) | instid1(VALU_DEP_1)
	v_mul_u32_u24_e32 v5, 7, v5
	v_sub_nc_u32_e32 v5, v4, v5
	s_delay_alu instid0(VALU_DEP_1) | instskip(SKIP_1) | instid1(VALU_DEP_2)
	v_lshlrev_b32_e32 v4, 2, v5
	v_cmp_ne_u32_e32 vcc_lo, 0, v5
	v_mad_u32_u24 v4, v0, 28, v4
	s_delay_alu instid0(VALU_DEP_1)
	v_add_nc_u32_e32 v0, -4, v4
	s_waitcnt vmcnt(0)
	ds_store_b32 v4, v3
	; wave barrier
	s_and_saveexec_b32 s2, vcc_lo
	s_cbranch_execz .LBB119_2
; %bb.1:
	ds_load_b32 v6, v0
	s_waitcnt lgkmcnt(0)
	v_add_f32_e32 v3, v3, v6
.LBB119_2:
	s_or_b32 exec_lo, exec_lo, s2
	; wave barrier
	s_and_saveexec_b32 s2, vcc_lo
	s_cbranch_execz .LBB119_4
; %bb.3:
	ds_store_b32 v4, v3
.LBB119_4:
	s_or_b32 exec_lo, exec_lo, s2
	v_cmp_lt_u32_e64 s2, 1, v5
	; wave barrier
	s_delay_alu instid0(VALU_DEP_1)
	s_and_saveexec_b32 s3, s2
	s_cbranch_execz .LBB119_6
; %bb.5:
	v_add_nc_u32_e32 v6, -8, v4
	ds_load_b32 v6, v6
	s_waitcnt lgkmcnt(0)
	v_add_f32_e32 v3, v3, v6
.LBB119_6:
	s_or_b32 exec_lo, exec_lo, s3
	; wave barrier
	s_and_saveexec_b32 s3, s2
	s_cbranch_execz .LBB119_8
; %bb.7:
	ds_store_b32 v4, v3
.LBB119_8:
	s_or_b32 exec_lo, exec_lo, s3
	v_cmp_lt_u32_e64 s2, 3, v5
	; wave barrier
	s_delay_alu instid0(VALU_DEP_1)
	s_and_saveexec_b32 s3, s2
	s_cbranch_execz .LBB119_10
; %bb.9:
	v_add_nc_u32_e32 v5, -16, v4
	ds_load_b32 v5, v5
	s_waitcnt lgkmcnt(0)
	v_add_f32_e32 v3, v3, v5
.LBB119_10:
	s_or_b32 exec_lo, exec_lo, s3
	; wave barrier
	s_and_saveexec_b32 s3, s2
	s_cbranch_execz .LBB119_12
; %bb.11:
	ds_store_b32 v4, v3
.LBB119_12:
	s_or_b32 exec_lo, exec_lo, s3
	s_load_b32 s0, s[0:1], 0x10
	; wave barrier
	s_waitcnt lgkmcnt(0)
	v_mov_b32_e32 v3, s0
	s_and_saveexec_b32 s1, vcc_lo
	s_cbranch_execz .LBB119_14
; %bb.13:
	ds_load_b32 v0, v0
	s_waitcnt lgkmcnt(0)
	v_add_f32_e32 v3, s0, v0
.LBB119_14:
	s_or_b32 exec_lo, exec_lo, s1
	v_add_co_u32 v0, vcc_lo, s6, v1
	v_add_co_ci_u32_e32 v1, vcc_lo, s7, v2, vcc_lo
	global_store_b32 v[0:1], v3, off
	s_nop 0
	s_sendmsg sendmsg(MSG_DEALLOC_VGPRS)
	s_endpgm
	.section	.rodata,"a",@progbits
	.p2align	6, 0x0
	.amdhsa_kernel _Z26warp_exclusive_scan_kernelIfLj63ELj7EENSt9enable_ifIXsr10test_utilsE35device_test_enabled_for_warp_size_vIXT1_EEEvE4typeEPT_S4_S3_
		.amdhsa_group_segment_fixed_size 252
		.amdhsa_private_segment_fixed_size 0
		.amdhsa_kernarg_size 280
		.amdhsa_user_sgpr_count 15
		.amdhsa_user_sgpr_dispatch_ptr 0
		.amdhsa_user_sgpr_queue_ptr 0
		.amdhsa_user_sgpr_kernarg_segment_ptr 1
		.amdhsa_user_sgpr_dispatch_id 0
		.amdhsa_user_sgpr_private_segment_size 0
		.amdhsa_wavefront_size32 1
		.amdhsa_uses_dynamic_stack 0
		.amdhsa_enable_private_segment 0
		.amdhsa_system_sgpr_workgroup_id_x 1
		.amdhsa_system_sgpr_workgroup_id_y 0
		.amdhsa_system_sgpr_workgroup_id_z 0
		.amdhsa_system_sgpr_workgroup_info 0
		.amdhsa_system_vgpr_workitem_id 0
		.amdhsa_next_free_vgpr 7
		.amdhsa_next_free_sgpr 16
		.amdhsa_reserve_vcc 1
		.amdhsa_float_round_mode_32 0
		.amdhsa_float_round_mode_16_64 0
		.amdhsa_float_denorm_mode_32 3
		.amdhsa_float_denorm_mode_16_64 3
		.amdhsa_dx10_clamp 1
		.amdhsa_ieee_mode 1
		.amdhsa_fp16_overflow 0
		.amdhsa_workgroup_processor_mode 1
		.amdhsa_memory_ordered 1
		.amdhsa_forward_progress 0
		.amdhsa_shared_vgpr_count 0
		.amdhsa_exception_fp_ieee_invalid_op 0
		.amdhsa_exception_fp_denorm_src 0
		.amdhsa_exception_fp_ieee_div_zero 0
		.amdhsa_exception_fp_ieee_overflow 0
		.amdhsa_exception_fp_ieee_underflow 0
		.amdhsa_exception_fp_ieee_inexact 0
		.amdhsa_exception_int_div_zero 0
	.end_amdhsa_kernel
	.section	.text._Z26warp_exclusive_scan_kernelIfLj63ELj7EENSt9enable_ifIXsr10test_utilsE35device_test_enabled_for_warp_size_vIXT1_EEEvE4typeEPT_S4_S3_,"axG",@progbits,_Z26warp_exclusive_scan_kernelIfLj63ELj7EENSt9enable_ifIXsr10test_utilsE35device_test_enabled_for_warp_size_vIXT1_EEEvE4typeEPT_S4_S3_,comdat
.Lfunc_end119:
	.size	_Z26warp_exclusive_scan_kernelIfLj63ELj7EENSt9enable_ifIXsr10test_utilsE35device_test_enabled_for_warp_size_vIXT1_EEEvE4typeEPT_S4_S3_, .Lfunc_end119-_Z26warp_exclusive_scan_kernelIfLj63ELj7EENSt9enable_ifIXsr10test_utilsE35device_test_enabled_for_warp_size_vIXT1_EEEvE4typeEPT_S4_S3_
                                        ; -- End function
	.section	.AMDGPU.csdata,"",@progbits
; Kernel info:
; codeLenInByte = 420
; NumSgprs: 18
; NumVgprs: 7
; ScratchSize: 0
; MemoryBound: 0
; FloatMode: 240
; IeeeMode: 1
; LDSByteSize: 252 bytes/workgroup (compile time only)
; SGPRBlocks: 2
; VGPRBlocks: 0
; NumSGPRsForWavesPerEU: 18
; NumVGPRsForWavesPerEU: 7
; Occupancy: 16
; WaveLimiterHint : 0
; COMPUTE_PGM_RSRC2:SCRATCH_EN: 0
; COMPUTE_PGM_RSRC2:USER_SGPR: 15
; COMPUTE_PGM_RSRC2:TRAP_HANDLER: 0
; COMPUTE_PGM_RSRC2:TGID_X_EN: 1
; COMPUTE_PGM_RSRC2:TGID_Y_EN: 0
; COMPUTE_PGM_RSRC2:TGID_Z_EN: 0
; COMPUTE_PGM_RSRC2:TIDIG_COMP_CNT: 0
	.section	.text._Z26warp_exclusive_scan_kernelIfLj30ELj3EENSt9enable_ifIXsr10test_utilsE35device_test_enabled_for_warp_size_vIXT1_EEEvE4typeEPT_S4_S3_,"axG",@progbits,_Z26warp_exclusive_scan_kernelIfLj30ELj3EENSt9enable_ifIXsr10test_utilsE35device_test_enabled_for_warp_size_vIXT1_EEEvE4typeEPT_S4_S3_,comdat
	.protected	_Z26warp_exclusive_scan_kernelIfLj30ELj3EENSt9enable_ifIXsr10test_utilsE35device_test_enabled_for_warp_size_vIXT1_EEEvE4typeEPT_S4_S3_ ; -- Begin function _Z26warp_exclusive_scan_kernelIfLj30ELj3EENSt9enable_ifIXsr10test_utilsE35device_test_enabled_for_warp_size_vIXT1_EEEvE4typeEPT_S4_S3_
	.globl	_Z26warp_exclusive_scan_kernelIfLj30ELj3EENSt9enable_ifIXsr10test_utilsE35device_test_enabled_for_warp_size_vIXT1_EEEvE4typeEPT_S4_S3_
	.p2align	8
	.type	_Z26warp_exclusive_scan_kernelIfLj30ELj3EENSt9enable_ifIXsr10test_utilsE35device_test_enabled_for_warp_size_vIXT1_EEEvE4typeEPT_S4_S3_,@function
_Z26warp_exclusive_scan_kernelIfLj30ELj3EENSt9enable_ifIXsr10test_utilsE35device_test_enabled_for_warp_size_vIXT1_EEEvE4typeEPT_S4_S3_: ; @_Z26warp_exclusive_scan_kernelIfLj30ELj3EENSt9enable_ifIXsr10test_utilsE35device_test_enabled_for_warp_size_vIXT1_EEEvE4typeEPT_S4_S3_
; %bb.0:
	s_clause 0x1
	s_load_b32 s2, s[0:1], 0x24
	s_load_b128 s[4:7], s[0:1], 0x0
	s_waitcnt lgkmcnt(0)
	s_and_b32 s2, s2, 0xffff
	s_delay_alu instid0(SALU_CYCLE_1) | instskip(SKIP_2) | instid1(VALU_DEP_1)
	v_mad_u64_u32 v[1:2], null, s15, s2, v[0:1]
	v_mov_b32_e32 v2, 0
	v_mul_u32_u24_e32 v0, 0x5556, v0
	v_lshrrev_b32_e32 v0, 16, v0
	s_delay_alu instid0(VALU_DEP_3) | instskip(NEXT) | instid1(VALU_DEP_1)
	v_lshlrev_b64 v[1:2], 2, v[1:2]
	v_add_co_u32 v3, vcc_lo, s4, v1
	s_delay_alu instid0(VALU_DEP_2) | instskip(SKIP_2) | instid1(VALU_DEP_1)
	v_add_co_ci_u32_e32 v4, vcc_lo, s5, v2, vcc_lo
	global_load_b32 v3, v[3:4], off
	v_mbcnt_lo_u32_b32 v4, -1, 0
	v_mul_hi_u32 v5, 0x55555556, v4
	s_delay_alu instid0(VALU_DEP_1) | instskip(NEXT) | instid1(VALU_DEP_1)
	v_mul_u32_u24_e32 v5, 3, v5
	v_sub_nc_u32_e32 v5, v4, v5
	s_delay_alu instid0(VALU_DEP_1) | instskip(SKIP_1) | instid1(VALU_DEP_2)
	v_lshlrev_b32_e32 v4, 2, v5
	v_cmp_ne_u32_e32 vcc_lo, 0, v5
	v_mad_u32_u24 v4, v0, 12, v4
	s_delay_alu instid0(VALU_DEP_1)
	v_add_nc_u32_e32 v0, -4, v4
	s_waitcnt vmcnt(0)
	ds_store_b32 v4, v3
	; wave barrier
	s_and_saveexec_b32 s2, vcc_lo
	s_cbranch_execz .LBB120_2
; %bb.1:
	ds_load_b32 v6, v0
	s_waitcnt lgkmcnt(0)
	v_add_f32_e32 v3, v3, v6
.LBB120_2:
	s_or_b32 exec_lo, exec_lo, s2
	; wave barrier
	s_and_saveexec_b32 s2, vcc_lo
	s_cbranch_execz .LBB120_4
; %bb.3:
	ds_store_b32 v4, v3
.LBB120_4:
	s_or_b32 exec_lo, exec_lo, s2
	v_cmp_lt_u32_e64 s2, 1, v5
	; wave barrier
	s_delay_alu instid0(VALU_DEP_1)
	s_and_saveexec_b32 s3, s2
	s_cbranch_execz .LBB120_6
; %bb.5:
	v_add_nc_u32_e32 v5, -8, v4
	ds_load_b32 v5, v5
	s_waitcnt lgkmcnt(0)
	v_add_f32_e32 v3, v3, v5
.LBB120_6:
	s_or_b32 exec_lo, exec_lo, s3
	; wave barrier
	s_and_saveexec_b32 s3, s2
	s_cbranch_execz .LBB120_8
; %bb.7:
	ds_store_b32 v4, v3
.LBB120_8:
	s_or_b32 exec_lo, exec_lo, s3
	s_load_b32 s0, s[0:1], 0x10
	; wave barrier
	s_waitcnt lgkmcnt(0)
	v_mov_b32_e32 v3, s0
	s_and_saveexec_b32 s1, vcc_lo
	s_cbranch_execz .LBB120_10
; %bb.9:
	ds_load_b32 v0, v0
	s_waitcnt lgkmcnt(0)
	v_add_f32_e32 v3, s0, v0
.LBB120_10:
	s_or_b32 exec_lo, exec_lo, s1
	v_add_co_u32 v0, vcc_lo, s6, v1
	v_add_co_ci_u32_e32 v1, vcc_lo, s7, v2, vcc_lo
	global_store_b32 v[0:1], v3, off
	s_nop 0
	s_sendmsg sendmsg(MSG_DEALLOC_VGPRS)
	s_endpgm
	.section	.rodata,"a",@progbits
	.p2align	6, 0x0
	.amdhsa_kernel _Z26warp_exclusive_scan_kernelIfLj30ELj3EENSt9enable_ifIXsr10test_utilsE35device_test_enabled_for_warp_size_vIXT1_EEEvE4typeEPT_S4_S3_
		.amdhsa_group_segment_fixed_size 120
		.amdhsa_private_segment_fixed_size 0
		.amdhsa_kernarg_size 280
		.amdhsa_user_sgpr_count 15
		.amdhsa_user_sgpr_dispatch_ptr 0
		.amdhsa_user_sgpr_queue_ptr 0
		.amdhsa_user_sgpr_kernarg_segment_ptr 1
		.amdhsa_user_sgpr_dispatch_id 0
		.amdhsa_user_sgpr_private_segment_size 0
		.amdhsa_wavefront_size32 1
		.amdhsa_uses_dynamic_stack 0
		.amdhsa_enable_private_segment 0
		.amdhsa_system_sgpr_workgroup_id_x 1
		.amdhsa_system_sgpr_workgroup_id_y 0
		.amdhsa_system_sgpr_workgroup_id_z 0
		.amdhsa_system_sgpr_workgroup_info 0
		.amdhsa_system_vgpr_workitem_id 0
		.amdhsa_next_free_vgpr 7
		.amdhsa_next_free_sgpr 16
		.amdhsa_reserve_vcc 1
		.amdhsa_float_round_mode_32 0
		.amdhsa_float_round_mode_16_64 0
		.amdhsa_float_denorm_mode_32 3
		.amdhsa_float_denorm_mode_16_64 3
		.amdhsa_dx10_clamp 1
		.amdhsa_ieee_mode 1
		.amdhsa_fp16_overflow 0
		.amdhsa_workgroup_processor_mode 1
		.amdhsa_memory_ordered 1
		.amdhsa_forward_progress 0
		.amdhsa_shared_vgpr_count 0
		.amdhsa_exception_fp_ieee_invalid_op 0
		.amdhsa_exception_fp_denorm_src 0
		.amdhsa_exception_fp_ieee_div_zero 0
		.amdhsa_exception_fp_ieee_overflow 0
		.amdhsa_exception_fp_ieee_underflow 0
		.amdhsa_exception_fp_ieee_inexact 0
		.amdhsa_exception_int_div_zero 0
	.end_amdhsa_kernel
	.section	.text._Z26warp_exclusive_scan_kernelIfLj30ELj3EENSt9enable_ifIXsr10test_utilsE35device_test_enabled_for_warp_size_vIXT1_EEEvE4typeEPT_S4_S3_,"axG",@progbits,_Z26warp_exclusive_scan_kernelIfLj30ELj3EENSt9enable_ifIXsr10test_utilsE35device_test_enabled_for_warp_size_vIXT1_EEEvE4typeEPT_S4_S3_,comdat
.Lfunc_end120:
	.size	_Z26warp_exclusive_scan_kernelIfLj30ELj3EENSt9enable_ifIXsr10test_utilsE35device_test_enabled_for_warp_size_vIXT1_EEEvE4typeEPT_S4_S3_, .Lfunc_end120-_Z26warp_exclusive_scan_kernelIfLj30ELj3EENSt9enable_ifIXsr10test_utilsE35device_test_enabled_for_warp_size_vIXT1_EEEvE4typeEPT_S4_S3_
                                        ; -- End function
	.section	.AMDGPU.csdata,"",@progbits
; Kernel info:
; codeLenInByte = 356
; NumSgprs: 18
; NumVgprs: 7
; ScratchSize: 0
; MemoryBound: 0
; FloatMode: 240
; IeeeMode: 1
; LDSByteSize: 120 bytes/workgroup (compile time only)
; SGPRBlocks: 2
; VGPRBlocks: 0
; NumSGPRsForWavesPerEU: 18
; NumVGPRsForWavesPerEU: 7
; Occupancy: 16
; WaveLimiterHint : 0
; COMPUTE_PGM_RSRC2:SCRATCH_EN: 0
; COMPUTE_PGM_RSRC2:USER_SGPR: 15
; COMPUTE_PGM_RSRC2:TRAP_HANDLER: 0
; COMPUTE_PGM_RSRC2:TGID_X_EN: 1
; COMPUTE_PGM_RSRC2:TGID_Y_EN: 0
; COMPUTE_PGM_RSRC2:TGID_Z_EN: 0
; COMPUTE_PGM_RSRC2:TIDIG_COMP_CNT: 0
	.section	.text._Z26warp_exclusive_scan_kernelIfLj63ELj3EENSt9enable_ifIXsr10test_utilsE35device_test_enabled_for_warp_size_vIXT1_EEEvE4typeEPT_S4_S3_,"axG",@progbits,_Z26warp_exclusive_scan_kernelIfLj63ELj3EENSt9enable_ifIXsr10test_utilsE35device_test_enabled_for_warp_size_vIXT1_EEEvE4typeEPT_S4_S3_,comdat
	.protected	_Z26warp_exclusive_scan_kernelIfLj63ELj3EENSt9enable_ifIXsr10test_utilsE35device_test_enabled_for_warp_size_vIXT1_EEEvE4typeEPT_S4_S3_ ; -- Begin function _Z26warp_exclusive_scan_kernelIfLj63ELj3EENSt9enable_ifIXsr10test_utilsE35device_test_enabled_for_warp_size_vIXT1_EEEvE4typeEPT_S4_S3_
	.globl	_Z26warp_exclusive_scan_kernelIfLj63ELj3EENSt9enable_ifIXsr10test_utilsE35device_test_enabled_for_warp_size_vIXT1_EEEvE4typeEPT_S4_S3_
	.p2align	8
	.type	_Z26warp_exclusive_scan_kernelIfLj63ELj3EENSt9enable_ifIXsr10test_utilsE35device_test_enabled_for_warp_size_vIXT1_EEEvE4typeEPT_S4_S3_,@function
_Z26warp_exclusive_scan_kernelIfLj63ELj3EENSt9enable_ifIXsr10test_utilsE35device_test_enabled_for_warp_size_vIXT1_EEEvE4typeEPT_S4_S3_: ; @_Z26warp_exclusive_scan_kernelIfLj63ELj3EENSt9enable_ifIXsr10test_utilsE35device_test_enabled_for_warp_size_vIXT1_EEEvE4typeEPT_S4_S3_
; %bb.0:
	s_clause 0x1
	s_load_b32 s2, s[0:1], 0x24
	s_load_b128 s[4:7], s[0:1], 0x0
	s_waitcnt lgkmcnt(0)
	s_and_b32 s2, s2, 0xffff
	s_delay_alu instid0(SALU_CYCLE_1) | instskip(SKIP_2) | instid1(VALU_DEP_1)
	v_mad_u64_u32 v[1:2], null, s15, s2, v[0:1]
	v_mov_b32_e32 v2, 0
	v_mul_u32_u24_e32 v0, 0x5556, v0
	v_lshrrev_b32_e32 v0, 16, v0
	s_delay_alu instid0(VALU_DEP_3) | instskip(NEXT) | instid1(VALU_DEP_1)
	v_lshlrev_b64 v[1:2], 2, v[1:2]
	v_add_co_u32 v3, vcc_lo, s4, v1
	s_delay_alu instid0(VALU_DEP_2) | instskip(SKIP_2) | instid1(VALU_DEP_1)
	v_add_co_ci_u32_e32 v4, vcc_lo, s5, v2, vcc_lo
	global_load_b32 v3, v[3:4], off
	v_mbcnt_lo_u32_b32 v4, -1, 0
	v_mul_hi_u32 v5, 0x55555556, v4
	s_delay_alu instid0(VALU_DEP_1) | instskip(NEXT) | instid1(VALU_DEP_1)
	v_mul_u32_u24_e32 v5, 3, v5
	v_sub_nc_u32_e32 v5, v4, v5
	s_delay_alu instid0(VALU_DEP_1) | instskip(SKIP_1) | instid1(VALU_DEP_2)
	v_lshlrev_b32_e32 v4, 2, v5
	v_cmp_ne_u32_e32 vcc_lo, 0, v5
	v_mad_u32_u24 v4, v0, 12, v4
	s_delay_alu instid0(VALU_DEP_1)
	v_add_nc_u32_e32 v0, -4, v4
	s_waitcnt vmcnt(0)
	ds_store_b32 v4, v3
	; wave barrier
	s_and_saveexec_b32 s2, vcc_lo
	s_cbranch_execz .LBB121_2
; %bb.1:
	ds_load_b32 v6, v0
	s_waitcnt lgkmcnt(0)
	v_add_f32_e32 v3, v3, v6
.LBB121_2:
	s_or_b32 exec_lo, exec_lo, s2
	; wave barrier
	s_and_saveexec_b32 s2, vcc_lo
	s_cbranch_execz .LBB121_4
; %bb.3:
	ds_store_b32 v4, v3
.LBB121_4:
	s_or_b32 exec_lo, exec_lo, s2
	v_cmp_lt_u32_e64 s2, 1, v5
	; wave barrier
	s_delay_alu instid0(VALU_DEP_1)
	s_and_saveexec_b32 s3, s2
	s_cbranch_execz .LBB121_6
; %bb.5:
	v_add_nc_u32_e32 v5, -8, v4
	ds_load_b32 v5, v5
	s_waitcnt lgkmcnt(0)
	v_add_f32_e32 v3, v3, v5
.LBB121_6:
	s_or_b32 exec_lo, exec_lo, s3
	; wave barrier
	s_and_saveexec_b32 s3, s2
	s_cbranch_execz .LBB121_8
; %bb.7:
	ds_store_b32 v4, v3
.LBB121_8:
	s_or_b32 exec_lo, exec_lo, s3
	s_load_b32 s0, s[0:1], 0x10
	; wave barrier
	s_waitcnt lgkmcnt(0)
	v_mov_b32_e32 v3, s0
	s_and_saveexec_b32 s1, vcc_lo
	s_cbranch_execz .LBB121_10
; %bb.9:
	ds_load_b32 v0, v0
	s_waitcnt lgkmcnt(0)
	v_add_f32_e32 v3, s0, v0
.LBB121_10:
	s_or_b32 exec_lo, exec_lo, s1
	v_add_co_u32 v0, vcc_lo, s6, v1
	v_add_co_ci_u32_e32 v1, vcc_lo, s7, v2, vcc_lo
	global_store_b32 v[0:1], v3, off
	s_nop 0
	s_sendmsg sendmsg(MSG_DEALLOC_VGPRS)
	s_endpgm
	.section	.rodata,"a",@progbits
	.p2align	6, 0x0
	.amdhsa_kernel _Z26warp_exclusive_scan_kernelIfLj63ELj3EENSt9enable_ifIXsr10test_utilsE35device_test_enabled_for_warp_size_vIXT1_EEEvE4typeEPT_S4_S3_
		.amdhsa_group_segment_fixed_size 252
		.amdhsa_private_segment_fixed_size 0
		.amdhsa_kernarg_size 280
		.amdhsa_user_sgpr_count 15
		.amdhsa_user_sgpr_dispatch_ptr 0
		.amdhsa_user_sgpr_queue_ptr 0
		.amdhsa_user_sgpr_kernarg_segment_ptr 1
		.amdhsa_user_sgpr_dispatch_id 0
		.amdhsa_user_sgpr_private_segment_size 0
		.amdhsa_wavefront_size32 1
		.amdhsa_uses_dynamic_stack 0
		.amdhsa_enable_private_segment 0
		.amdhsa_system_sgpr_workgroup_id_x 1
		.amdhsa_system_sgpr_workgroup_id_y 0
		.amdhsa_system_sgpr_workgroup_id_z 0
		.amdhsa_system_sgpr_workgroup_info 0
		.amdhsa_system_vgpr_workitem_id 0
		.amdhsa_next_free_vgpr 7
		.amdhsa_next_free_sgpr 16
		.amdhsa_reserve_vcc 1
		.amdhsa_float_round_mode_32 0
		.amdhsa_float_round_mode_16_64 0
		.amdhsa_float_denorm_mode_32 3
		.amdhsa_float_denorm_mode_16_64 3
		.amdhsa_dx10_clamp 1
		.amdhsa_ieee_mode 1
		.amdhsa_fp16_overflow 0
		.amdhsa_workgroup_processor_mode 1
		.amdhsa_memory_ordered 1
		.amdhsa_forward_progress 0
		.amdhsa_shared_vgpr_count 0
		.amdhsa_exception_fp_ieee_invalid_op 0
		.amdhsa_exception_fp_denorm_src 0
		.amdhsa_exception_fp_ieee_div_zero 0
		.amdhsa_exception_fp_ieee_overflow 0
		.amdhsa_exception_fp_ieee_underflow 0
		.amdhsa_exception_fp_ieee_inexact 0
		.amdhsa_exception_int_div_zero 0
	.end_amdhsa_kernel
	.section	.text._Z26warp_exclusive_scan_kernelIfLj63ELj3EENSt9enable_ifIXsr10test_utilsE35device_test_enabled_for_warp_size_vIXT1_EEEvE4typeEPT_S4_S3_,"axG",@progbits,_Z26warp_exclusive_scan_kernelIfLj63ELj3EENSt9enable_ifIXsr10test_utilsE35device_test_enabled_for_warp_size_vIXT1_EEEvE4typeEPT_S4_S3_,comdat
.Lfunc_end121:
	.size	_Z26warp_exclusive_scan_kernelIfLj63ELj3EENSt9enable_ifIXsr10test_utilsE35device_test_enabled_for_warp_size_vIXT1_EEEvE4typeEPT_S4_S3_, .Lfunc_end121-_Z26warp_exclusive_scan_kernelIfLj63ELj3EENSt9enable_ifIXsr10test_utilsE35device_test_enabled_for_warp_size_vIXT1_EEEvE4typeEPT_S4_S3_
                                        ; -- End function
	.section	.AMDGPU.csdata,"",@progbits
; Kernel info:
; codeLenInByte = 356
; NumSgprs: 18
; NumVgprs: 7
; ScratchSize: 0
; MemoryBound: 0
; FloatMode: 240
; IeeeMode: 1
; LDSByteSize: 252 bytes/workgroup (compile time only)
; SGPRBlocks: 2
; VGPRBlocks: 0
; NumSGPRsForWavesPerEU: 18
; NumVGPRsForWavesPerEU: 7
; Occupancy: 16
; WaveLimiterHint : 0
; COMPUTE_PGM_RSRC2:SCRATCH_EN: 0
; COMPUTE_PGM_RSRC2:USER_SGPR: 15
; COMPUTE_PGM_RSRC2:TRAP_HANDLER: 0
; COMPUTE_PGM_RSRC2:TGID_X_EN: 1
; COMPUTE_PGM_RSRC2:TGID_Y_EN: 0
; COMPUTE_PGM_RSRC2:TGID_Z_EN: 0
; COMPUTE_PGM_RSRC2:TIDIG_COMP_CNT: 0
	.section	.text._Z26warp_exclusive_scan_kernelIiLj1ELj61EENSt9enable_ifIXntsr10test_utilsE35device_test_enabled_for_warp_size_vIXT1_EEEvE4typeEPT_S4_S3_,"axG",@progbits,_Z26warp_exclusive_scan_kernelIiLj1ELj61EENSt9enable_ifIXntsr10test_utilsE35device_test_enabled_for_warp_size_vIXT1_EEEvE4typeEPT_S4_S3_,comdat
	.protected	_Z26warp_exclusive_scan_kernelIiLj1ELj61EENSt9enable_ifIXntsr10test_utilsE35device_test_enabled_for_warp_size_vIXT1_EEEvE4typeEPT_S4_S3_ ; -- Begin function _Z26warp_exclusive_scan_kernelIiLj1ELj61EENSt9enable_ifIXntsr10test_utilsE35device_test_enabled_for_warp_size_vIXT1_EEEvE4typeEPT_S4_S3_
	.globl	_Z26warp_exclusive_scan_kernelIiLj1ELj61EENSt9enable_ifIXntsr10test_utilsE35device_test_enabled_for_warp_size_vIXT1_EEEvE4typeEPT_S4_S3_
	.p2align	8
	.type	_Z26warp_exclusive_scan_kernelIiLj1ELj61EENSt9enable_ifIXntsr10test_utilsE35device_test_enabled_for_warp_size_vIXT1_EEEvE4typeEPT_S4_S3_,@function
_Z26warp_exclusive_scan_kernelIiLj1ELj61EENSt9enable_ifIXntsr10test_utilsE35device_test_enabled_for_warp_size_vIXT1_EEEvE4typeEPT_S4_S3_: ; @_Z26warp_exclusive_scan_kernelIiLj1ELj61EENSt9enable_ifIXntsr10test_utilsE35device_test_enabled_for_warp_size_vIXT1_EEEvE4typeEPT_S4_S3_
; %bb.0:
	s_endpgm
	.section	.rodata,"a",@progbits
	.p2align	6, 0x0
	.amdhsa_kernel _Z26warp_exclusive_scan_kernelIiLj1ELj61EENSt9enable_ifIXntsr10test_utilsE35device_test_enabled_for_warp_size_vIXT1_EEEvE4typeEPT_S4_S3_
		.amdhsa_group_segment_fixed_size 0
		.amdhsa_private_segment_fixed_size 0
		.amdhsa_kernarg_size 20
		.amdhsa_user_sgpr_count 15
		.amdhsa_user_sgpr_dispatch_ptr 0
		.amdhsa_user_sgpr_queue_ptr 0
		.amdhsa_user_sgpr_kernarg_segment_ptr 1
		.amdhsa_user_sgpr_dispatch_id 0
		.amdhsa_user_sgpr_private_segment_size 0
		.amdhsa_wavefront_size32 1
		.amdhsa_uses_dynamic_stack 0
		.amdhsa_enable_private_segment 0
		.amdhsa_system_sgpr_workgroup_id_x 1
		.amdhsa_system_sgpr_workgroup_id_y 0
		.amdhsa_system_sgpr_workgroup_id_z 0
		.amdhsa_system_sgpr_workgroup_info 0
		.amdhsa_system_vgpr_workitem_id 0
		.amdhsa_next_free_vgpr 1
		.amdhsa_next_free_sgpr 1
		.amdhsa_reserve_vcc 0
		.amdhsa_float_round_mode_32 0
		.amdhsa_float_round_mode_16_64 0
		.amdhsa_float_denorm_mode_32 3
		.amdhsa_float_denorm_mode_16_64 3
		.amdhsa_dx10_clamp 1
		.amdhsa_ieee_mode 1
		.amdhsa_fp16_overflow 0
		.amdhsa_workgroup_processor_mode 1
		.amdhsa_memory_ordered 1
		.amdhsa_forward_progress 0
		.amdhsa_shared_vgpr_count 0
		.amdhsa_exception_fp_ieee_invalid_op 0
		.amdhsa_exception_fp_denorm_src 0
		.amdhsa_exception_fp_ieee_div_zero 0
		.amdhsa_exception_fp_ieee_overflow 0
		.amdhsa_exception_fp_ieee_underflow 0
		.amdhsa_exception_fp_ieee_inexact 0
		.amdhsa_exception_int_div_zero 0
	.end_amdhsa_kernel
	.section	.text._Z26warp_exclusive_scan_kernelIiLj1ELj61EENSt9enable_ifIXntsr10test_utilsE35device_test_enabled_for_warp_size_vIXT1_EEEvE4typeEPT_S4_S3_,"axG",@progbits,_Z26warp_exclusive_scan_kernelIiLj1ELj61EENSt9enable_ifIXntsr10test_utilsE35device_test_enabled_for_warp_size_vIXT1_EEEvE4typeEPT_S4_S3_,comdat
.Lfunc_end122:
	.size	_Z26warp_exclusive_scan_kernelIiLj1ELj61EENSt9enable_ifIXntsr10test_utilsE35device_test_enabled_for_warp_size_vIXT1_EEEvE4typeEPT_S4_S3_, .Lfunc_end122-_Z26warp_exclusive_scan_kernelIiLj1ELj61EENSt9enable_ifIXntsr10test_utilsE35device_test_enabled_for_warp_size_vIXT1_EEEvE4typeEPT_S4_S3_
                                        ; -- End function
	.section	.AMDGPU.csdata,"",@progbits
; Kernel info:
; codeLenInByte = 4
; NumSgprs: 0
; NumVgprs: 0
; ScratchSize: 0
; MemoryBound: 0
; FloatMode: 240
; IeeeMode: 1
; LDSByteSize: 0 bytes/workgroup (compile time only)
; SGPRBlocks: 0
; VGPRBlocks: 0
; NumSGPRsForWavesPerEU: 1
; NumVGPRsForWavesPerEU: 1
; Occupancy: 16
; WaveLimiterHint : 0
; COMPUTE_PGM_RSRC2:SCRATCH_EN: 0
; COMPUTE_PGM_RSRC2:USER_SGPR: 15
; COMPUTE_PGM_RSRC2:TRAP_HANDLER: 0
; COMPUTE_PGM_RSRC2:TGID_X_EN: 1
; COMPUTE_PGM_RSRC2:TGID_Y_EN: 0
; COMPUTE_PGM_RSRC2:TGID_Z_EN: 0
; COMPUTE_PGM_RSRC2:TIDIG_COMP_CNT: 0
	.section	.text._Z26warp_exclusive_scan_kernelIiLj61ELj61EENSt9enable_ifIXntsr10test_utilsE35device_test_enabled_for_warp_size_vIXT1_EEEvE4typeEPT_S4_S3_,"axG",@progbits,_Z26warp_exclusive_scan_kernelIiLj61ELj61EENSt9enable_ifIXntsr10test_utilsE35device_test_enabled_for_warp_size_vIXT1_EEEvE4typeEPT_S4_S3_,comdat
	.protected	_Z26warp_exclusive_scan_kernelIiLj61ELj61EENSt9enable_ifIXntsr10test_utilsE35device_test_enabled_for_warp_size_vIXT1_EEEvE4typeEPT_S4_S3_ ; -- Begin function _Z26warp_exclusive_scan_kernelIiLj61ELj61EENSt9enable_ifIXntsr10test_utilsE35device_test_enabled_for_warp_size_vIXT1_EEEvE4typeEPT_S4_S3_
	.globl	_Z26warp_exclusive_scan_kernelIiLj61ELj61EENSt9enable_ifIXntsr10test_utilsE35device_test_enabled_for_warp_size_vIXT1_EEEvE4typeEPT_S4_S3_
	.p2align	8
	.type	_Z26warp_exclusive_scan_kernelIiLj61ELj61EENSt9enable_ifIXntsr10test_utilsE35device_test_enabled_for_warp_size_vIXT1_EEEvE4typeEPT_S4_S3_,@function
_Z26warp_exclusive_scan_kernelIiLj61ELj61EENSt9enable_ifIXntsr10test_utilsE35device_test_enabled_for_warp_size_vIXT1_EEEvE4typeEPT_S4_S3_: ; @_Z26warp_exclusive_scan_kernelIiLj61ELj61EENSt9enable_ifIXntsr10test_utilsE35device_test_enabled_for_warp_size_vIXT1_EEEvE4typeEPT_S4_S3_
; %bb.0:
	s_endpgm
	.section	.rodata,"a",@progbits
	.p2align	6, 0x0
	.amdhsa_kernel _Z26warp_exclusive_scan_kernelIiLj61ELj61EENSt9enable_ifIXntsr10test_utilsE35device_test_enabled_for_warp_size_vIXT1_EEEvE4typeEPT_S4_S3_
		.amdhsa_group_segment_fixed_size 0
		.amdhsa_private_segment_fixed_size 0
		.amdhsa_kernarg_size 20
		.amdhsa_user_sgpr_count 15
		.amdhsa_user_sgpr_dispatch_ptr 0
		.amdhsa_user_sgpr_queue_ptr 0
		.amdhsa_user_sgpr_kernarg_segment_ptr 1
		.amdhsa_user_sgpr_dispatch_id 0
		.amdhsa_user_sgpr_private_segment_size 0
		.amdhsa_wavefront_size32 1
		.amdhsa_uses_dynamic_stack 0
		.amdhsa_enable_private_segment 0
		.amdhsa_system_sgpr_workgroup_id_x 1
		.amdhsa_system_sgpr_workgroup_id_y 0
		.amdhsa_system_sgpr_workgroup_id_z 0
		.amdhsa_system_sgpr_workgroup_info 0
		.amdhsa_system_vgpr_workitem_id 0
		.amdhsa_next_free_vgpr 1
		.amdhsa_next_free_sgpr 1
		.amdhsa_reserve_vcc 0
		.amdhsa_float_round_mode_32 0
		.amdhsa_float_round_mode_16_64 0
		.amdhsa_float_denorm_mode_32 3
		.amdhsa_float_denorm_mode_16_64 3
		.amdhsa_dx10_clamp 1
		.amdhsa_ieee_mode 1
		.amdhsa_fp16_overflow 0
		.amdhsa_workgroup_processor_mode 1
		.amdhsa_memory_ordered 1
		.amdhsa_forward_progress 0
		.amdhsa_shared_vgpr_count 0
		.amdhsa_exception_fp_ieee_invalid_op 0
		.amdhsa_exception_fp_denorm_src 0
		.amdhsa_exception_fp_ieee_div_zero 0
		.amdhsa_exception_fp_ieee_overflow 0
		.amdhsa_exception_fp_ieee_underflow 0
		.amdhsa_exception_fp_ieee_inexact 0
		.amdhsa_exception_int_div_zero 0
	.end_amdhsa_kernel
	.section	.text._Z26warp_exclusive_scan_kernelIiLj61ELj61EENSt9enable_ifIXntsr10test_utilsE35device_test_enabled_for_warp_size_vIXT1_EEEvE4typeEPT_S4_S3_,"axG",@progbits,_Z26warp_exclusive_scan_kernelIiLj61ELj61EENSt9enable_ifIXntsr10test_utilsE35device_test_enabled_for_warp_size_vIXT1_EEEvE4typeEPT_S4_S3_,comdat
.Lfunc_end123:
	.size	_Z26warp_exclusive_scan_kernelIiLj61ELj61EENSt9enable_ifIXntsr10test_utilsE35device_test_enabled_for_warp_size_vIXT1_EEEvE4typeEPT_S4_S3_, .Lfunc_end123-_Z26warp_exclusive_scan_kernelIiLj61ELj61EENSt9enable_ifIXntsr10test_utilsE35device_test_enabled_for_warp_size_vIXT1_EEEvE4typeEPT_S4_S3_
                                        ; -- End function
	.section	.AMDGPU.csdata,"",@progbits
; Kernel info:
; codeLenInByte = 4
; NumSgprs: 0
; NumVgprs: 0
; ScratchSize: 0
; MemoryBound: 0
; FloatMode: 240
; IeeeMode: 1
; LDSByteSize: 0 bytes/workgroup (compile time only)
; SGPRBlocks: 0
; VGPRBlocks: 0
; NumSGPRsForWavesPerEU: 1
; NumVGPRsForWavesPerEU: 1
; Occupancy: 16
; WaveLimiterHint : 0
; COMPUTE_PGM_RSRC2:SCRATCH_EN: 0
; COMPUTE_PGM_RSRC2:USER_SGPR: 15
; COMPUTE_PGM_RSRC2:TRAP_HANDLER: 0
; COMPUTE_PGM_RSRC2:TGID_X_EN: 1
; COMPUTE_PGM_RSRC2:TGID_Y_EN: 0
; COMPUTE_PGM_RSRC2:TGID_Z_EN: 0
; COMPUTE_PGM_RSRC2:TIDIG_COMP_CNT: 0
	.section	.text._Z26warp_exclusive_scan_kernelIiLj1ELj37EENSt9enable_ifIXntsr10test_utilsE35device_test_enabled_for_warp_size_vIXT1_EEEvE4typeEPT_S4_S3_,"axG",@progbits,_Z26warp_exclusive_scan_kernelIiLj1ELj37EENSt9enable_ifIXntsr10test_utilsE35device_test_enabled_for_warp_size_vIXT1_EEEvE4typeEPT_S4_S3_,comdat
	.protected	_Z26warp_exclusive_scan_kernelIiLj1ELj37EENSt9enable_ifIXntsr10test_utilsE35device_test_enabled_for_warp_size_vIXT1_EEEvE4typeEPT_S4_S3_ ; -- Begin function _Z26warp_exclusive_scan_kernelIiLj1ELj37EENSt9enable_ifIXntsr10test_utilsE35device_test_enabled_for_warp_size_vIXT1_EEEvE4typeEPT_S4_S3_
	.globl	_Z26warp_exclusive_scan_kernelIiLj1ELj37EENSt9enable_ifIXntsr10test_utilsE35device_test_enabled_for_warp_size_vIXT1_EEEvE4typeEPT_S4_S3_
	.p2align	8
	.type	_Z26warp_exclusive_scan_kernelIiLj1ELj37EENSt9enable_ifIXntsr10test_utilsE35device_test_enabled_for_warp_size_vIXT1_EEEvE4typeEPT_S4_S3_,@function
_Z26warp_exclusive_scan_kernelIiLj1ELj37EENSt9enable_ifIXntsr10test_utilsE35device_test_enabled_for_warp_size_vIXT1_EEEvE4typeEPT_S4_S3_: ; @_Z26warp_exclusive_scan_kernelIiLj1ELj37EENSt9enable_ifIXntsr10test_utilsE35device_test_enabled_for_warp_size_vIXT1_EEEvE4typeEPT_S4_S3_
; %bb.0:
	s_endpgm
	.section	.rodata,"a",@progbits
	.p2align	6, 0x0
	.amdhsa_kernel _Z26warp_exclusive_scan_kernelIiLj1ELj37EENSt9enable_ifIXntsr10test_utilsE35device_test_enabled_for_warp_size_vIXT1_EEEvE4typeEPT_S4_S3_
		.amdhsa_group_segment_fixed_size 0
		.amdhsa_private_segment_fixed_size 0
		.amdhsa_kernarg_size 20
		.amdhsa_user_sgpr_count 15
		.amdhsa_user_sgpr_dispatch_ptr 0
		.amdhsa_user_sgpr_queue_ptr 0
		.amdhsa_user_sgpr_kernarg_segment_ptr 1
		.amdhsa_user_sgpr_dispatch_id 0
		.amdhsa_user_sgpr_private_segment_size 0
		.amdhsa_wavefront_size32 1
		.amdhsa_uses_dynamic_stack 0
		.amdhsa_enable_private_segment 0
		.amdhsa_system_sgpr_workgroup_id_x 1
		.amdhsa_system_sgpr_workgroup_id_y 0
		.amdhsa_system_sgpr_workgroup_id_z 0
		.amdhsa_system_sgpr_workgroup_info 0
		.amdhsa_system_vgpr_workitem_id 0
		.amdhsa_next_free_vgpr 1
		.amdhsa_next_free_sgpr 1
		.amdhsa_reserve_vcc 0
		.amdhsa_float_round_mode_32 0
		.amdhsa_float_round_mode_16_64 0
		.amdhsa_float_denorm_mode_32 3
		.amdhsa_float_denorm_mode_16_64 3
		.amdhsa_dx10_clamp 1
		.amdhsa_ieee_mode 1
		.amdhsa_fp16_overflow 0
		.amdhsa_workgroup_processor_mode 1
		.amdhsa_memory_ordered 1
		.amdhsa_forward_progress 0
		.amdhsa_shared_vgpr_count 0
		.amdhsa_exception_fp_ieee_invalid_op 0
		.amdhsa_exception_fp_denorm_src 0
		.amdhsa_exception_fp_ieee_div_zero 0
		.amdhsa_exception_fp_ieee_overflow 0
		.amdhsa_exception_fp_ieee_underflow 0
		.amdhsa_exception_fp_ieee_inexact 0
		.amdhsa_exception_int_div_zero 0
	.end_amdhsa_kernel
	.section	.text._Z26warp_exclusive_scan_kernelIiLj1ELj37EENSt9enable_ifIXntsr10test_utilsE35device_test_enabled_for_warp_size_vIXT1_EEEvE4typeEPT_S4_S3_,"axG",@progbits,_Z26warp_exclusive_scan_kernelIiLj1ELj37EENSt9enable_ifIXntsr10test_utilsE35device_test_enabled_for_warp_size_vIXT1_EEEvE4typeEPT_S4_S3_,comdat
.Lfunc_end124:
	.size	_Z26warp_exclusive_scan_kernelIiLj1ELj37EENSt9enable_ifIXntsr10test_utilsE35device_test_enabled_for_warp_size_vIXT1_EEEvE4typeEPT_S4_S3_, .Lfunc_end124-_Z26warp_exclusive_scan_kernelIiLj1ELj37EENSt9enable_ifIXntsr10test_utilsE35device_test_enabled_for_warp_size_vIXT1_EEEvE4typeEPT_S4_S3_
                                        ; -- End function
	.section	.AMDGPU.csdata,"",@progbits
; Kernel info:
; codeLenInByte = 4
; NumSgprs: 0
; NumVgprs: 0
; ScratchSize: 0
; MemoryBound: 0
; FloatMode: 240
; IeeeMode: 1
; LDSByteSize: 0 bytes/workgroup (compile time only)
; SGPRBlocks: 0
; VGPRBlocks: 0
; NumSGPRsForWavesPerEU: 1
; NumVGPRsForWavesPerEU: 1
; Occupancy: 16
; WaveLimiterHint : 0
; COMPUTE_PGM_RSRC2:SCRATCH_EN: 0
; COMPUTE_PGM_RSRC2:USER_SGPR: 15
; COMPUTE_PGM_RSRC2:TRAP_HANDLER: 0
; COMPUTE_PGM_RSRC2:TGID_X_EN: 1
; COMPUTE_PGM_RSRC2:TGID_Y_EN: 0
; COMPUTE_PGM_RSRC2:TGID_Z_EN: 0
; COMPUTE_PGM_RSRC2:TIDIG_COMP_CNT: 0
	.section	.text._Z26warp_exclusive_scan_kernelIiLj37ELj37EENSt9enable_ifIXntsr10test_utilsE35device_test_enabled_for_warp_size_vIXT1_EEEvE4typeEPT_S4_S3_,"axG",@progbits,_Z26warp_exclusive_scan_kernelIiLj37ELj37EENSt9enable_ifIXntsr10test_utilsE35device_test_enabled_for_warp_size_vIXT1_EEEvE4typeEPT_S4_S3_,comdat
	.protected	_Z26warp_exclusive_scan_kernelIiLj37ELj37EENSt9enable_ifIXntsr10test_utilsE35device_test_enabled_for_warp_size_vIXT1_EEEvE4typeEPT_S4_S3_ ; -- Begin function _Z26warp_exclusive_scan_kernelIiLj37ELj37EENSt9enable_ifIXntsr10test_utilsE35device_test_enabled_for_warp_size_vIXT1_EEEvE4typeEPT_S4_S3_
	.globl	_Z26warp_exclusive_scan_kernelIiLj37ELj37EENSt9enable_ifIXntsr10test_utilsE35device_test_enabled_for_warp_size_vIXT1_EEEvE4typeEPT_S4_S3_
	.p2align	8
	.type	_Z26warp_exclusive_scan_kernelIiLj37ELj37EENSt9enable_ifIXntsr10test_utilsE35device_test_enabled_for_warp_size_vIXT1_EEEvE4typeEPT_S4_S3_,@function
_Z26warp_exclusive_scan_kernelIiLj37ELj37EENSt9enable_ifIXntsr10test_utilsE35device_test_enabled_for_warp_size_vIXT1_EEEvE4typeEPT_S4_S3_: ; @_Z26warp_exclusive_scan_kernelIiLj37ELj37EENSt9enable_ifIXntsr10test_utilsE35device_test_enabled_for_warp_size_vIXT1_EEEvE4typeEPT_S4_S3_
; %bb.0:
	s_endpgm
	.section	.rodata,"a",@progbits
	.p2align	6, 0x0
	.amdhsa_kernel _Z26warp_exclusive_scan_kernelIiLj37ELj37EENSt9enable_ifIXntsr10test_utilsE35device_test_enabled_for_warp_size_vIXT1_EEEvE4typeEPT_S4_S3_
		.amdhsa_group_segment_fixed_size 0
		.amdhsa_private_segment_fixed_size 0
		.amdhsa_kernarg_size 20
		.amdhsa_user_sgpr_count 15
		.amdhsa_user_sgpr_dispatch_ptr 0
		.amdhsa_user_sgpr_queue_ptr 0
		.amdhsa_user_sgpr_kernarg_segment_ptr 1
		.amdhsa_user_sgpr_dispatch_id 0
		.amdhsa_user_sgpr_private_segment_size 0
		.amdhsa_wavefront_size32 1
		.amdhsa_uses_dynamic_stack 0
		.amdhsa_enable_private_segment 0
		.amdhsa_system_sgpr_workgroup_id_x 1
		.amdhsa_system_sgpr_workgroup_id_y 0
		.amdhsa_system_sgpr_workgroup_id_z 0
		.amdhsa_system_sgpr_workgroup_info 0
		.amdhsa_system_vgpr_workitem_id 0
		.amdhsa_next_free_vgpr 1
		.amdhsa_next_free_sgpr 1
		.amdhsa_reserve_vcc 0
		.amdhsa_float_round_mode_32 0
		.amdhsa_float_round_mode_16_64 0
		.amdhsa_float_denorm_mode_32 3
		.amdhsa_float_denorm_mode_16_64 3
		.amdhsa_dx10_clamp 1
		.amdhsa_ieee_mode 1
		.amdhsa_fp16_overflow 0
		.amdhsa_workgroup_processor_mode 1
		.amdhsa_memory_ordered 1
		.amdhsa_forward_progress 0
		.amdhsa_shared_vgpr_count 0
		.amdhsa_exception_fp_ieee_invalid_op 0
		.amdhsa_exception_fp_denorm_src 0
		.amdhsa_exception_fp_ieee_div_zero 0
		.amdhsa_exception_fp_ieee_overflow 0
		.amdhsa_exception_fp_ieee_underflow 0
		.amdhsa_exception_fp_ieee_inexact 0
		.amdhsa_exception_int_div_zero 0
	.end_amdhsa_kernel
	.section	.text._Z26warp_exclusive_scan_kernelIiLj37ELj37EENSt9enable_ifIXntsr10test_utilsE35device_test_enabled_for_warp_size_vIXT1_EEEvE4typeEPT_S4_S3_,"axG",@progbits,_Z26warp_exclusive_scan_kernelIiLj37ELj37EENSt9enable_ifIXntsr10test_utilsE35device_test_enabled_for_warp_size_vIXT1_EEEvE4typeEPT_S4_S3_,comdat
.Lfunc_end125:
	.size	_Z26warp_exclusive_scan_kernelIiLj37ELj37EENSt9enable_ifIXntsr10test_utilsE35device_test_enabled_for_warp_size_vIXT1_EEEvE4typeEPT_S4_S3_, .Lfunc_end125-_Z26warp_exclusive_scan_kernelIiLj37ELj37EENSt9enable_ifIXntsr10test_utilsE35device_test_enabled_for_warp_size_vIXT1_EEEvE4typeEPT_S4_S3_
                                        ; -- End function
	.section	.AMDGPU.csdata,"",@progbits
; Kernel info:
; codeLenInByte = 4
; NumSgprs: 0
; NumVgprs: 0
; ScratchSize: 0
; MemoryBound: 0
; FloatMode: 240
; IeeeMode: 1
; LDSByteSize: 0 bytes/workgroup (compile time only)
; SGPRBlocks: 0
; VGPRBlocks: 0
; NumSGPRsForWavesPerEU: 1
; NumVGPRsForWavesPerEU: 1
; Occupancy: 16
; WaveLimiterHint : 0
; COMPUTE_PGM_RSRC2:SCRATCH_EN: 0
; COMPUTE_PGM_RSRC2:USER_SGPR: 15
; COMPUTE_PGM_RSRC2:TRAP_HANDLER: 0
; COMPUTE_PGM_RSRC2:TGID_X_EN: 1
; COMPUTE_PGM_RSRC2:TGID_Y_EN: 0
; COMPUTE_PGM_RSRC2:TGID_Z_EN: 0
; COMPUTE_PGM_RSRC2:TIDIG_COMP_CNT: 0
	.section	.text._Z26warp_exclusive_scan_kernelIiLj30ELj15EENSt9enable_ifIXsr10test_utilsE35device_test_enabled_for_warp_size_vIXT1_EEEvE4typeEPT_S4_S3_,"axG",@progbits,_Z26warp_exclusive_scan_kernelIiLj30ELj15EENSt9enable_ifIXsr10test_utilsE35device_test_enabled_for_warp_size_vIXT1_EEEvE4typeEPT_S4_S3_,comdat
	.protected	_Z26warp_exclusive_scan_kernelIiLj30ELj15EENSt9enable_ifIXsr10test_utilsE35device_test_enabled_for_warp_size_vIXT1_EEEvE4typeEPT_S4_S3_ ; -- Begin function _Z26warp_exclusive_scan_kernelIiLj30ELj15EENSt9enable_ifIXsr10test_utilsE35device_test_enabled_for_warp_size_vIXT1_EEEvE4typeEPT_S4_S3_
	.globl	_Z26warp_exclusive_scan_kernelIiLj30ELj15EENSt9enable_ifIXsr10test_utilsE35device_test_enabled_for_warp_size_vIXT1_EEEvE4typeEPT_S4_S3_
	.p2align	8
	.type	_Z26warp_exclusive_scan_kernelIiLj30ELj15EENSt9enable_ifIXsr10test_utilsE35device_test_enabled_for_warp_size_vIXT1_EEEvE4typeEPT_S4_S3_,@function
_Z26warp_exclusive_scan_kernelIiLj30ELj15EENSt9enable_ifIXsr10test_utilsE35device_test_enabled_for_warp_size_vIXT1_EEEvE4typeEPT_S4_S3_: ; @_Z26warp_exclusive_scan_kernelIiLj30ELj15EENSt9enable_ifIXsr10test_utilsE35device_test_enabled_for_warp_size_vIXT1_EEEvE4typeEPT_S4_S3_
; %bb.0:
	s_clause 0x1
	s_load_b32 s2, s[0:1], 0x24
	s_load_b128 s[4:7], s[0:1], 0x0
	s_waitcnt lgkmcnt(0)
	s_and_b32 s2, s2, 0xffff
	s_delay_alu instid0(SALU_CYCLE_1) | instskip(SKIP_2) | instid1(VALU_DEP_1)
	v_mad_u64_u32 v[1:2], null, s15, s2, v[0:1]
	v_mov_b32_e32 v2, 0
	v_mul_u32_u24_e32 v0, 0x1112, v0
	v_lshrrev_b32_e32 v0, 16, v0
	s_delay_alu instid0(VALU_DEP_3) | instskip(NEXT) | instid1(VALU_DEP_1)
	v_lshlrev_b64 v[1:2], 2, v[1:2]
	v_add_co_u32 v3, vcc_lo, s4, v1
	s_delay_alu instid0(VALU_DEP_2) | instskip(SKIP_2) | instid1(VALU_DEP_1)
	v_add_co_ci_u32_e32 v4, vcc_lo, s5, v2, vcc_lo
	global_load_b32 v3, v[3:4], off
	v_mbcnt_lo_u32_b32 v4, -1, 0
	v_mul_hi_u32 v5, 0x11111112, v4
	s_delay_alu instid0(VALU_DEP_1) | instskip(NEXT) | instid1(VALU_DEP_1)
	v_mul_u32_u24_e32 v5, 15, v5
	v_sub_nc_u32_e32 v5, v4, v5
	s_delay_alu instid0(VALU_DEP_1) | instskip(SKIP_1) | instid1(VALU_DEP_2)
	v_lshlrev_b32_e32 v4, 2, v5
	v_cmp_ne_u32_e32 vcc_lo, 0, v5
	v_mad_u32_u24 v4, v0, 60, v4
	s_delay_alu instid0(VALU_DEP_1)
	v_add_nc_u32_e32 v0, -4, v4
	s_waitcnt vmcnt(0)
	ds_store_b32 v4, v3
	; wave barrier
	s_and_saveexec_b32 s2, vcc_lo
	s_cbranch_execz .LBB126_2
; %bb.1:
	ds_load_b32 v6, v0
	s_waitcnt lgkmcnt(0)
	v_add_nc_u32_e32 v3, v6, v3
.LBB126_2:
	s_or_b32 exec_lo, exec_lo, s2
	; wave barrier
	s_and_saveexec_b32 s2, vcc_lo
	s_cbranch_execz .LBB126_4
; %bb.3:
	ds_store_b32 v4, v3
.LBB126_4:
	s_or_b32 exec_lo, exec_lo, s2
	v_cmp_lt_u32_e64 s2, 1, v5
	; wave barrier
	s_delay_alu instid0(VALU_DEP_1)
	s_and_saveexec_b32 s3, s2
	s_cbranch_execz .LBB126_6
; %bb.5:
	v_add_nc_u32_e32 v6, -8, v4
	ds_load_b32 v6, v6
	s_waitcnt lgkmcnt(0)
	v_add_nc_u32_e32 v3, v6, v3
.LBB126_6:
	s_or_b32 exec_lo, exec_lo, s3
	; wave barrier
	s_and_saveexec_b32 s3, s2
	s_cbranch_execz .LBB126_8
; %bb.7:
	ds_store_b32 v4, v3
.LBB126_8:
	s_or_b32 exec_lo, exec_lo, s3
	v_cmp_lt_u32_e64 s2, 3, v5
	; wave barrier
	s_delay_alu instid0(VALU_DEP_1)
	s_and_saveexec_b32 s3, s2
	s_cbranch_execz .LBB126_10
; %bb.9:
	v_add_nc_u32_e32 v6, -16, v4
	ds_load_b32 v6, v6
	s_waitcnt lgkmcnt(0)
	v_add_nc_u32_e32 v3, v6, v3
.LBB126_10:
	s_or_b32 exec_lo, exec_lo, s3
	; wave barrier
	s_and_saveexec_b32 s3, s2
	s_cbranch_execz .LBB126_12
; %bb.11:
	ds_store_b32 v4, v3
.LBB126_12:
	s_or_b32 exec_lo, exec_lo, s3
	v_cmp_lt_u32_e64 s2, 7, v5
	; wave barrier
	s_delay_alu instid0(VALU_DEP_1)
	s_and_saveexec_b32 s3, s2
	s_cbranch_execz .LBB126_14
; %bb.13:
	v_subrev_nc_u32_e32 v5, 32, v4
	ds_load_b32 v5, v5
	s_waitcnt lgkmcnt(0)
	v_add_nc_u32_e32 v3, v5, v3
.LBB126_14:
	s_or_b32 exec_lo, exec_lo, s3
	; wave barrier
	s_and_saveexec_b32 s3, s2
	s_cbranch_execz .LBB126_16
; %bb.15:
	ds_store_b32 v4, v3
.LBB126_16:
	s_or_b32 exec_lo, exec_lo, s3
	s_load_b32 s0, s[0:1], 0x10
	; wave barrier
	s_waitcnt lgkmcnt(0)
	v_mov_b32_e32 v3, s0
	s_and_saveexec_b32 s1, vcc_lo
	s_cbranch_execz .LBB126_18
; %bb.17:
	ds_load_b32 v0, v0
	s_waitcnt lgkmcnt(0)
	v_add_nc_u32_e32 v3, s0, v0
.LBB126_18:
	s_or_b32 exec_lo, exec_lo, s1
	v_add_co_u32 v0, vcc_lo, s6, v1
	v_add_co_ci_u32_e32 v1, vcc_lo, s7, v2, vcc_lo
	global_store_b32 v[0:1], v3, off
	s_nop 0
	s_sendmsg sendmsg(MSG_DEALLOC_VGPRS)
	s_endpgm
	.section	.rodata,"a",@progbits
	.p2align	6, 0x0
	.amdhsa_kernel _Z26warp_exclusive_scan_kernelIiLj30ELj15EENSt9enable_ifIXsr10test_utilsE35device_test_enabled_for_warp_size_vIXT1_EEEvE4typeEPT_S4_S3_
		.amdhsa_group_segment_fixed_size 120
		.amdhsa_private_segment_fixed_size 0
		.amdhsa_kernarg_size 280
		.amdhsa_user_sgpr_count 15
		.amdhsa_user_sgpr_dispatch_ptr 0
		.amdhsa_user_sgpr_queue_ptr 0
		.amdhsa_user_sgpr_kernarg_segment_ptr 1
		.amdhsa_user_sgpr_dispatch_id 0
		.amdhsa_user_sgpr_private_segment_size 0
		.amdhsa_wavefront_size32 1
		.amdhsa_uses_dynamic_stack 0
		.amdhsa_enable_private_segment 0
		.amdhsa_system_sgpr_workgroup_id_x 1
		.amdhsa_system_sgpr_workgroup_id_y 0
		.amdhsa_system_sgpr_workgroup_id_z 0
		.amdhsa_system_sgpr_workgroup_info 0
		.amdhsa_system_vgpr_workitem_id 0
		.amdhsa_next_free_vgpr 7
		.amdhsa_next_free_sgpr 16
		.amdhsa_reserve_vcc 1
		.amdhsa_float_round_mode_32 0
		.amdhsa_float_round_mode_16_64 0
		.amdhsa_float_denorm_mode_32 3
		.amdhsa_float_denorm_mode_16_64 3
		.amdhsa_dx10_clamp 1
		.amdhsa_ieee_mode 1
		.amdhsa_fp16_overflow 0
		.amdhsa_workgroup_processor_mode 1
		.amdhsa_memory_ordered 1
		.amdhsa_forward_progress 0
		.amdhsa_shared_vgpr_count 0
		.amdhsa_exception_fp_ieee_invalid_op 0
		.amdhsa_exception_fp_denorm_src 0
		.amdhsa_exception_fp_ieee_div_zero 0
		.amdhsa_exception_fp_ieee_overflow 0
		.amdhsa_exception_fp_ieee_underflow 0
		.amdhsa_exception_fp_ieee_inexact 0
		.amdhsa_exception_int_div_zero 0
	.end_amdhsa_kernel
	.section	.text._Z26warp_exclusive_scan_kernelIiLj30ELj15EENSt9enable_ifIXsr10test_utilsE35device_test_enabled_for_warp_size_vIXT1_EEEvE4typeEPT_S4_S3_,"axG",@progbits,_Z26warp_exclusive_scan_kernelIiLj30ELj15EENSt9enable_ifIXsr10test_utilsE35device_test_enabled_for_warp_size_vIXT1_EEEvE4typeEPT_S4_S3_,comdat
.Lfunc_end126:
	.size	_Z26warp_exclusive_scan_kernelIiLj30ELj15EENSt9enable_ifIXsr10test_utilsE35device_test_enabled_for_warp_size_vIXT1_EEEvE4typeEPT_S4_S3_, .Lfunc_end126-_Z26warp_exclusive_scan_kernelIiLj30ELj15EENSt9enable_ifIXsr10test_utilsE35device_test_enabled_for_warp_size_vIXT1_EEEvE4typeEPT_S4_S3_
                                        ; -- End function
	.section	.AMDGPU.csdata,"",@progbits
; Kernel info:
; codeLenInByte = 484
; NumSgprs: 18
; NumVgprs: 7
; ScratchSize: 0
; MemoryBound: 0
; FloatMode: 240
; IeeeMode: 1
; LDSByteSize: 120 bytes/workgroup (compile time only)
; SGPRBlocks: 2
; VGPRBlocks: 0
; NumSGPRsForWavesPerEU: 18
; NumVGPRsForWavesPerEU: 7
; Occupancy: 16
; WaveLimiterHint : 0
; COMPUTE_PGM_RSRC2:SCRATCH_EN: 0
; COMPUTE_PGM_RSRC2:USER_SGPR: 15
; COMPUTE_PGM_RSRC2:TRAP_HANDLER: 0
; COMPUTE_PGM_RSRC2:TGID_X_EN: 1
; COMPUTE_PGM_RSRC2:TGID_Y_EN: 0
; COMPUTE_PGM_RSRC2:TGID_Z_EN: 0
; COMPUTE_PGM_RSRC2:TIDIG_COMP_CNT: 0
	.section	.text._Z26warp_exclusive_scan_kernelIiLj60ELj15EENSt9enable_ifIXsr10test_utilsE35device_test_enabled_for_warp_size_vIXT1_EEEvE4typeEPT_S4_S3_,"axG",@progbits,_Z26warp_exclusive_scan_kernelIiLj60ELj15EENSt9enable_ifIXsr10test_utilsE35device_test_enabled_for_warp_size_vIXT1_EEEvE4typeEPT_S4_S3_,comdat
	.protected	_Z26warp_exclusive_scan_kernelIiLj60ELj15EENSt9enable_ifIXsr10test_utilsE35device_test_enabled_for_warp_size_vIXT1_EEEvE4typeEPT_S4_S3_ ; -- Begin function _Z26warp_exclusive_scan_kernelIiLj60ELj15EENSt9enable_ifIXsr10test_utilsE35device_test_enabled_for_warp_size_vIXT1_EEEvE4typeEPT_S4_S3_
	.globl	_Z26warp_exclusive_scan_kernelIiLj60ELj15EENSt9enable_ifIXsr10test_utilsE35device_test_enabled_for_warp_size_vIXT1_EEEvE4typeEPT_S4_S3_
	.p2align	8
	.type	_Z26warp_exclusive_scan_kernelIiLj60ELj15EENSt9enable_ifIXsr10test_utilsE35device_test_enabled_for_warp_size_vIXT1_EEEvE4typeEPT_S4_S3_,@function
_Z26warp_exclusive_scan_kernelIiLj60ELj15EENSt9enable_ifIXsr10test_utilsE35device_test_enabled_for_warp_size_vIXT1_EEEvE4typeEPT_S4_S3_: ; @_Z26warp_exclusive_scan_kernelIiLj60ELj15EENSt9enable_ifIXsr10test_utilsE35device_test_enabled_for_warp_size_vIXT1_EEEvE4typeEPT_S4_S3_
; %bb.0:
	s_clause 0x1
	s_load_b32 s2, s[0:1], 0x24
	s_load_b128 s[4:7], s[0:1], 0x0
	s_waitcnt lgkmcnt(0)
	s_and_b32 s2, s2, 0xffff
	s_delay_alu instid0(SALU_CYCLE_1) | instskip(SKIP_2) | instid1(VALU_DEP_1)
	v_mad_u64_u32 v[1:2], null, s15, s2, v[0:1]
	v_mov_b32_e32 v2, 0
	v_mul_u32_u24_e32 v0, 0x1112, v0
	v_lshrrev_b32_e32 v0, 16, v0
	s_delay_alu instid0(VALU_DEP_3) | instskip(NEXT) | instid1(VALU_DEP_1)
	v_lshlrev_b64 v[1:2], 2, v[1:2]
	v_add_co_u32 v3, vcc_lo, s4, v1
	s_delay_alu instid0(VALU_DEP_2) | instskip(SKIP_2) | instid1(VALU_DEP_1)
	v_add_co_ci_u32_e32 v4, vcc_lo, s5, v2, vcc_lo
	global_load_b32 v3, v[3:4], off
	v_mbcnt_lo_u32_b32 v4, -1, 0
	v_mul_hi_u32 v5, 0x11111112, v4
	s_delay_alu instid0(VALU_DEP_1) | instskip(NEXT) | instid1(VALU_DEP_1)
	v_mul_u32_u24_e32 v5, 15, v5
	v_sub_nc_u32_e32 v5, v4, v5
	s_delay_alu instid0(VALU_DEP_1) | instskip(SKIP_1) | instid1(VALU_DEP_2)
	v_lshlrev_b32_e32 v4, 2, v5
	v_cmp_ne_u32_e32 vcc_lo, 0, v5
	v_mad_u32_u24 v4, v0, 60, v4
	s_delay_alu instid0(VALU_DEP_1)
	v_add_nc_u32_e32 v0, -4, v4
	s_waitcnt vmcnt(0)
	ds_store_b32 v4, v3
	; wave barrier
	s_and_saveexec_b32 s2, vcc_lo
	s_cbranch_execz .LBB127_2
; %bb.1:
	ds_load_b32 v6, v0
	s_waitcnt lgkmcnt(0)
	v_add_nc_u32_e32 v3, v6, v3
.LBB127_2:
	s_or_b32 exec_lo, exec_lo, s2
	; wave barrier
	s_and_saveexec_b32 s2, vcc_lo
	s_cbranch_execz .LBB127_4
; %bb.3:
	ds_store_b32 v4, v3
.LBB127_4:
	s_or_b32 exec_lo, exec_lo, s2
	v_cmp_lt_u32_e64 s2, 1, v5
	; wave barrier
	s_delay_alu instid0(VALU_DEP_1)
	s_and_saveexec_b32 s3, s2
	s_cbranch_execz .LBB127_6
; %bb.5:
	v_add_nc_u32_e32 v6, -8, v4
	ds_load_b32 v6, v6
	s_waitcnt lgkmcnt(0)
	v_add_nc_u32_e32 v3, v6, v3
.LBB127_6:
	s_or_b32 exec_lo, exec_lo, s3
	; wave barrier
	s_and_saveexec_b32 s3, s2
	s_cbranch_execz .LBB127_8
; %bb.7:
	ds_store_b32 v4, v3
.LBB127_8:
	s_or_b32 exec_lo, exec_lo, s3
	v_cmp_lt_u32_e64 s2, 3, v5
	; wave barrier
	s_delay_alu instid0(VALU_DEP_1)
	s_and_saveexec_b32 s3, s2
	s_cbranch_execz .LBB127_10
; %bb.9:
	v_add_nc_u32_e32 v6, -16, v4
	ds_load_b32 v6, v6
	s_waitcnt lgkmcnt(0)
	v_add_nc_u32_e32 v3, v6, v3
.LBB127_10:
	s_or_b32 exec_lo, exec_lo, s3
	; wave barrier
	s_and_saveexec_b32 s3, s2
	s_cbranch_execz .LBB127_12
; %bb.11:
	ds_store_b32 v4, v3
.LBB127_12:
	s_or_b32 exec_lo, exec_lo, s3
	v_cmp_lt_u32_e64 s2, 7, v5
	; wave barrier
	s_delay_alu instid0(VALU_DEP_1)
	s_and_saveexec_b32 s3, s2
	s_cbranch_execz .LBB127_14
; %bb.13:
	v_subrev_nc_u32_e32 v5, 32, v4
	ds_load_b32 v5, v5
	s_waitcnt lgkmcnt(0)
	v_add_nc_u32_e32 v3, v5, v3
.LBB127_14:
	s_or_b32 exec_lo, exec_lo, s3
	; wave barrier
	s_and_saveexec_b32 s3, s2
	s_cbranch_execz .LBB127_16
; %bb.15:
	ds_store_b32 v4, v3
.LBB127_16:
	s_or_b32 exec_lo, exec_lo, s3
	s_load_b32 s0, s[0:1], 0x10
	; wave barrier
	s_waitcnt lgkmcnt(0)
	v_mov_b32_e32 v3, s0
	s_and_saveexec_b32 s1, vcc_lo
	s_cbranch_execz .LBB127_18
; %bb.17:
	ds_load_b32 v0, v0
	s_waitcnt lgkmcnt(0)
	v_add_nc_u32_e32 v3, s0, v0
.LBB127_18:
	s_or_b32 exec_lo, exec_lo, s1
	v_add_co_u32 v0, vcc_lo, s6, v1
	v_add_co_ci_u32_e32 v1, vcc_lo, s7, v2, vcc_lo
	global_store_b32 v[0:1], v3, off
	s_nop 0
	s_sendmsg sendmsg(MSG_DEALLOC_VGPRS)
	s_endpgm
	.section	.rodata,"a",@progbits
	.p2align	6, 0x0
	.amdhsa_kernel _Z26warp_exclusive_scan_kernelIiLj60ELj15EENSt9enable_ifIXsr10test_utilsE35device_test_enabled_for_warp_size_vIXT1_EEEvE4typeEPT_S4_S3_
		.amdhsa_group_segment_fixed_size 240
		.amdhsa_private_segment_fixed_size 0
		.amdhsa_kernarg_size 280
		.amdhsa_user_sgpr_count 15
		.amdhsa_user_sgpr_dispatch_ptr 0
		.amdhsa_user_sgpr_queue_ptr 0
		.amdhsa_user_sgpr_kernarg_segment_ptr 1
		.amdhsa_user_sgpr_dispatch_id 0
		.amdhsa_user_sgpr_private_segment_size 0
		.amdhsa_wavefront_size32 1
		.amdhsa_uses_dynamic_stack 0
		.amdhsa_enable_private_segment 0
		.amdhsa_system_sgpr_workgroup_id_x 1
		.amdhsa_system_sgpr_workgroup_id_y 0
		.amdhsa_system_sgpr_workgroup_id_z 0
		.amdhsa_system_sgpr_workgroup_info 0
		.amdhsa_system_vgpr_workitem_id 0
		.amdhsa_next_free_vgpr 7
		.amdhsa_next_free_sgpr 16
		.amdhsa_reserve_vcc 1
		.amdhsa_float_round_mode_32 0
		.amdhsa_float_round_mode_16_64 0
		.amdhsa_float_denorm_mode_32 3
		.amdhsa_float_denorm_mode_16_64 3
		.amdhsa_dx10_clamp 1
		.amdhsa_ieee_mode 1
		.amdhsa_fp16_overflow 0
		.amdhsa_workgroup_processor_mode 1
		.amdhsa_memory_ordered 1
		.amdhsa_forward_progress 0
		.amdhsa_shared_vgpr_count 0
		.amdhsa_exception_fp_ieee_invalid_op 0
		.amdhsa_exception_fp_denorm_src 0
		.amdhsa_exception_fp_ieee_div_zero 0
		.amdhsa_exception_fp_ieee_overflow 0
		.amdhsa_exception_fp_ieee_underflow 0
		.amdhsa_exception_fp_ieee_inexact 0
		.amdhsa_exception_int_div_zero 0
	.end_amdhsa_kernel
	.section	.text._Z26warp_exclusive_scan_kernelIiLj60ELj15EENSt9enable_ifIXsr10test_utilsE35device_test_enabled_for_warp_size_vIXT1_EEEvE4typeEPT_S4_S3_,"axG",@progbits,_Z26warp_exclusive_scan_kernelIiLj60ELj15EENSt9enable_ifIXsr10test_utilsE35device_test_enabled_for_warp_size_vIXT1_EEEvE4typeEPT_S4_S3_,comdat
.Lfunc_end127:
	.size	_Z26warp_exclusive_scan_kernelIiLj60ELj15EENSt9enable_ifIXsr10test_utilsE35device_test_enabled_for_warp_size_vIXT1_EEEvE4typeEPT_S4_S3_, .Lfunc_end127-_Z26warp_exclusive_scan_kernelIiLj60ELj15EENSt9enable_ifIXsr10test_utilsE35device_test_enabled_for_warp_size_vIXT1_EEEvE4typeEPT_S4_S3_
                                        ; -- End function
	.section	.AMDGPU.csdata,"",@progbits
; Kernel info:
; codeLenInByte = 484
; NumSgprs: 18
; NumVgprs: 7
; ScratchSize: 0
; MemoryBound: 0
; FloatMode: 240
; IeeeMode: 1
; LDSByteSize: 240 bytes/workgroup (compile time only)
; SGPRBlocks: 2
; VGPRBlocks: 0
; NumSGPRsForWavesPerEU: 18
; NumVGPRsForWavesPerEU: 7
; Occupancy: 16
; WaveLimiterHint : 0
; COMPUTE_PGM_RSRC2:SCRATCH_EN: 0
; COMPUTE_PGM_RSRC2:USER_SGPR: 15
; COMPUTE_PGM_RSRC2:TRAP_HANDLER: 0
; COMPUTE_PGM_RSRC2:TGID_X_EN: 1
; COMPUTE_PGM_RSRC2:TGID_Y_EN: 0
; COMPUTE_PGM_RSRC2:TGID_Z_EN: 0
; COMPUTE_PGM_RSRC2:TIDIG_COMP_CNT: 0
	.section	.text._Z26warp_exclusive_scan_kernelIiLj28ELj7EENSt9enable_ifIXsr10test_utilsE35device_test_enabled_for_warp_size_vIXT1_EEEvE4typeEPT_S4_S3_,"axG",@progbits,_Z26warp_exclusive_scan_kernelIiLj28ELj7EENSt9enable_ifIXsr10test_utilsE35device_test_enabled_for_warp_size_vIXT1_EEEvE4typeEPT_S4_S3_,comdat
	.protected	_Z26warp_exclusive_scan_kernelIiLj28ELj7EENSt9enable_ifIXsr10test_utilsE35device_test_enabled_for_warp_size_vIXT1_EEEvE4typeEPT_S4_S3_ ; -- Begin function _Z26warp_exclusive_scan_kernelIiLj28ELj7EENSt9enable_ifIXsr10test_utilsE35device_test_enabled_for_warp_size_vIXT1_EEEvE4typeEPT_S4_S3_
	.globl	_Z26warp_exclusive_scan_kernelIiLj28ELj7EENSt9enable_ifIXsr10test_utilsE35device_test_enabled_for_warp_size_vIXT1_EEEvE4typeEPT_S4_S3_
	.p2align	8
	.type	_Z26warp_exclusive_scan_kernelIiLj28ELj7EENSt9enable_ifIXsr10test_utilsE35device_test_enabled_for_warp_size_vIXT1_EEEvE4typeEPT_S4_S3_,@function
_Z26warp_exclusive_scan_kernelIiLj28ELj7EENSt9enable_ifIXsr10test_utilsE35device_test_enabled_for_warp_size_vIXT1_EEEvE4typeEPT_S4_S3_: ; @_Z26warp_exclusive_scan_kernelIiLj28ELj7EENSt9enable_ifIXsr10test_utilsE35device_test_enabled_for_warp_size_vIXT1_EEEvE4typeEPT_S4_S3_
; %bb.0:
	s_clause 0x1
	s_load_b32 s2, s[0:1], 0x24
	s_load_b128 s[4:7], s[0:1], 0x0
	s_waitcnt lgkmcnt(0)
	s_and_b32 s2, s2, 0xffff
	s_delay_alu instid0(SALU_CYCLE_1) | instskip(SKIP_2) | instid1(VALU_DEP_1)
	v_mad_u64_u32 v[1:2], null, s15, s2, v[0:1]
	v_mov_b32_e32 v2, 0
	v_mul_u32_u24_e32 v0, 0x2493, v0
	v_lshrrev_b32_e32 v0, 16, v0
	s_delay_alu instid0(VALU_DEP_3) | instskip(NEXT) | instid1(VALU_DEP_1)
	v_lshlrev_b64 v[1:2], 2, v[1:2]
	v_add_co_u32 v3, vcc_lo, s4, v1
	s_delay_alu instid0(VALU_DEP_2) | instskip(SKIP_2) | instid1(VALU_DEP_1)
	v_add_co_ci_u32_e32 v4, vcc_lo, s5, v2, vcc_lo
	global_load_b32 v3, v[3:4], off
	v_mbcnt_lo_u32_b32 v4, -1, 0
	v_mul_hi_u32 v5, 0x24924925, v4
	s_delay_alu instid0(VALU_DEP_1) | instskip(NEXT) | instid1(VALU_DEP_1)
	v_mul_u32_u24_e32 v5, 7, v5
	v_sub_nc_u32_e32 v5, v4, v5
	s_delay_alu instid0(VALU_DEP_1) | instskip(SKIP_1) | instid1(VALU_DEP_2)
	v_lshlrev_b32_e32 v4, 2, v5
	v_cmp_ne_u32_e32 vcc_lo, 0, v5
	v_mad_u32_u24 v4, v0, 28, v4
	s_delay_alu instid0(VALU_DEP_1)
	v_add_nc_u32_e32 v0, -4, v4
	s_waitcnt vmcnt(0)
	ds_store_b32 v4, v3
	; wave barrier
	s_and_saveexec_b32 s2, vcc_lo
	s_cbranch_execz .LBB128_2
; %bb.1:
	ds_load_b32 v6, v0
	s_waitcnt lgkmcnt(0)
	v_add_nc_u32_e32 v3, v6, v3
.LBB128_2:
	s_or_b32 exec_lo, exec_lo, s2
	; wave barrier
	s_and_saveexec_b32 s2, vcc_lo
	s_cbranch_execz .LBB128_4
; %bb.3:
	ds_store_b32 v4, v3
.LBB128_4:
	s_or_b32 exec_lo, exec_lo, s2
	v_cmp_lt_u32_e64 s2, 1, v5
	; wave barrier
	s_delay_alu instid0(VALU_DEP_1)
	s_and_saveexec_b32 s3, s2
	s_cbranch_execz .LBB128_6
; %bb.5:
	v_add_nc_u32_e32 v6, -8, v4
	ds_load_b32 v6, v6
	s_waitcnt lgkmcnt(0)
	v_add_nc_u32_e32 v3, v6, v3
.LBB128_6:
	s_or_b32 exec_lo, exec_lo, s3
	; wave barrier
	s_and_saveexec_b32 s3, s2
	s_cbranch_execz .LBB128_8
; %bb.7:
	ds_store_b32 v4, v3
.LBB128_8:
	s_or_b32 exec_lo, exec_lo, s3
	v_cmp_lt_u32_e64 s2, 3, v5
	; wave barrier
	s_delay_alu instid0(VALU_DEP_1)
	s_and_saveexec_b32 s3, s2
	s_cbranch_execz .LBB128_10
; %bb.9:
	v_add_nc_u32_e32 v5, -16, v4
	ds_load_b32 v5, v5
	s_waitcnt lgkmcnt(0)
	v_add_nc_u32_e32 v3, v5, v3
.LBB128_10:
	s_or_b32 exec_lo, exec_lo, s3
	; wave barrier
	s_and_saveexec_b32 s3, s2
	s_cbranch_execz .LBB128_12
; %bb.11:
	ds_store_b32 v4, v3
.LBB128_12:
	s_or_b32 exec_lo, exec_lo, s3
	s_load_b32 s0, s[0:1], 0x10
	; wave barrier
	s_waitcnt lgkmcnt(0)
	v_mov_b32_e32 v3, s0
	s_and_saveexec_b32 s1, vcc_lo
	s_cbranch_execz .LBB128_14
; %bb.13:
	ds_load_b32 v0, v0
	s_waitcnt lgkmcnt(0)
	v_add_nc_u32_e32 v3, s0, v0
.LBB128_14:
	s_or_b32 exec_lo, exec_lo, s1
	v_add_co_u32 v0, vcc_lo, s6, v1
	v_add_co_ci_u32_e32 v1, vcc_lo, s7, v2, vcc_lo
	global_store_b32 v[0:1], v3, off
	s_nop 0
	s_sendmsg sendmsg(MSG_DEALLOC_VGPRS)
	s_endpgm
	.section	.rodata,"a",@progbits
	.p2align	6, 0x0
	.amdhsa_kernel _Z26warp_exclusive_scan_kernelIiLj28ELj7EENSt9enable_ifIXsr10test_utilsE35device_test_enabled_for_warp_size_vIXT1_EEEvE4typeEPT_S4_S3_
		.amdhsa_group_segment_fixed_size 112
		.amdhsa_private_segment_fixed_size 0
		.amdhsa_kernarg_size 280
		.amdhsa_user_sgpr_count 15
		.amdhsa_user_sgpr_dispatch_ptr 0
		.amdhsa_user_sgpr_queue_ptr 0
		.amdhsa_user_sgpr_kernarg_segment_ptr 1
		.amdhsa_user_sgpr_dispatch_id 0
		.amdhsa_user_sgpr_private_segment_size 0
		.amdhsa_wavefront_size32 1
		.amdhsa_uses_dynamic_stack 0
		.amdhsa_enable_private_segment 0
		.amdhsa_system_sgpr_workgroup_id_x 1
		.amdhsa_system_sgpr_workgroup_id_y 0
		.amdhsa_system_sgpr_workgroup_id_z 0
		.amdhsa_system_sgpr_workgroup_info 0
		.amdhsa_system_vgpr_workitem_id 0
		.amdhsa_next_free_vgpr 7
		.amdhsa_next_free_sgpr 16
		.amdhsa_reserve_vcc 1
		.amdhsa_float_round_mode_32 0
		.amdhsa_float_round_mode_16_64 0
		.amdhsa_float_denorm_mode_32 3
		.amdhsa_float_denorm_mode_16_64 3
		.amdhsa_dx10_clamp 1
		.amdhsa_ieee_mode 1
		.amdhsa_fp16_overflow 0
		.amdhsa_workgroup_processor_mode 1
		.amdhsa_memory_ordered 1
		.amdhsa_forward_progress 0
		.amdhsa_shared_vgpr_count 0
		.amdhsa_exception_fp_ieee_invalid_op 0
		.amdhsa_exception_fp_denorm_src 0
		.amdhsa_exception_fp_ieee_div_zero 0
		.amdhsa_exception_fp_ieee_overflow 0
		.amdhsa_exception_fp_ieee_underflow 0
		.amdhsa_exception_fp_ieee_inexact 0
		.amdhsa_exception_int_div_zero 0
	.end_amdhsa_kernel
	.section	.text._Z26warp_exclusive_scan_kernelIiLj28ELj7EENSt9enable_ifIXsr10test_utilsE35device_test_enabled_for_warp_size_vIXT1_EEEvE4typeEPT_S4_S3_,"axG",@progbits,_Z26warp_exclusive_scan_kernelIiLj28ELj7EENSt9enable_ifIXsr10test_utilsE35device_test_enabled_for_warp_size_vIXT1_EEEvE4typeEPT_S4_S3_,comdat
.Lfunc_end128:
	.size	_Z26warp_exclusive_scan_kernelIiLj28ELj7EENSt9enable_ifIXsr10test_utilsE35device_test_enabled_for_warp_size_vIXT1_EEEvE4typeEPT_S4_S3_, .Lfunc_end128-_Z26warp_exclusive_scan_kernelIiLj28ELj7EENSt9enable_ifIXsr10test_utilsE35device_test_enabled_for_warp_size_vIXT1_EEEvE4typeEPT_S4_S3_
                                        ; -- End function
	.section	.AMDGPU.csdata,"",@progbits
; Kernel info:
; codeLenInByte = 420
; NumSgprs: 18
; NumVgprs: 7
; ScratchSize: 0
; MemoryBound: 0
; FloatMode: 240
; IeeeMode: 1
; LDSByteSize: 112 bytes/workgroup (compile time only)
; SGPRBlocks: 2
; VGPRBlocks: 0
; NumSGPRsForWavesPerEU: 18
; NumVGPRsForWavesPerEU: 7
; Occupancy: 16
; WaveLimiterHint : 0
; COMPUTE_PGM_RSRC2:SCRATCH_EN: 0
; COMPUTE_PGM_RSRC2:USER_SGPR: 15
; COMPUTE_PGM_RSRC2:TRAP_HANDLER: 0
; COMPUTE_PGM_RSRC2:TGID_X_EN: 1
; COMPUTE_PGM_RSRC2:TGID_Y_EN: 0
; COMPUTE_PGM_RSRC2:TGID_Z_EN: 0
; COMPUTE_PGM_RSRC2:TIDIG_COMP_CNT: 0
	.section	.text._Z26warp_exclusive_scan_kernelIiLj63ELj7EENSt9enable_ifIXsr10test_utilsE35device_test_enabled_for_warp_size_vIXT1_EEEvE4typeEPT_S4_S3_,"axG",@progbits,_Z26warp_exclusive_scan_kernelIiLj63ELj7EENSt9enable_ifIXsr10test_utilsE35device_test_enabled_for_warp_size_vIXT1_EEEvE4typeEPT_S4_S3_,comdat
	.protected	_Z26warp_exclusive_scan_kernelIiLj63ELj7EENSt9enable_ifIXsr10test_utilsE35device_test_enabled_for_warp_size_vIXT1_EEEvE4typeEPT_S4_S3_ ; -- Begin function _Z26warp_exclusive_scan_kernelIiLj63ELj7EENSt9enable_ifIXsr10test_utilsE35device_test_enabled_for_warp_size_vIXT1_EEEvE4typeEPT_S4_S3_
	.globl	_Z26warp_exclusive_scan_kernelIiLj63ELj7EENSt9enable_ifIXsr10test_utilsE35device_test_enabled_for_warp_size_vIXT1_EEEvE4typeEPT_S4_S3_
	.p2align	8
	.type	_Z26warp_exclusive_scan_kernelIiLj63ELj7EENSt9enable_ifIXsr10test_utilsE35device_test_enabled_for_warp_size_vIXT1_EEEvE4typeEPT_S4_S3_,@function
_Z26warp_exclusive_scan_kernelIiLj63ELj7EENSt9enable_ifIXsr10test_utilsE35device_test_enabled_for_warp_size_vIXT1_EEEvE4typeEPT_S4_S3_: ; @_Z26warp_exclusive_scan_kernelIiLj63ELj7EENSt9enable_ifIXsr10test_utilsE35device_test_enabled_for_warp_size_vIXT1_EEEvE4typeEPT_S4_S3_
; %bb.0:
	s_clause 0x1
	s_load_b32 s2, s[0:1], 0x24
	s_load_b128 s[4:7], s[0:1], 0x0
	s_waitcnt lgkmcnt(0)
	s_and_b32 s2, s2, 0xffff
	s_delay_alu instid0(SALU_CYCLE_1) | instskip(SKIP_2) | instid1(VALU_DEP_1)
	v_mad_u64_u32 v[1:2], null, s15, s2, v[0:1]
	v_mov_b32_e32 v2, 0
	v_mul_u32_u24_e32 v0, 0x2493, v0
	v_lshrrev_b32_e32 v0, 16, v0
	s_delay_alu instid0(VALU_DEP_3) | instskip(NEXT) | instid1(VALU_DEP_1)
	v_lshlrev_b64 v[1:2], 2, v[1:2]
	v_add_co_u32 v3, vcc_lo, s4, v1
	s_delay_alu instid0(VALU_DEP_2) | instskip(SKIP_2) | instid1(VALU_DEP_1)
	v_add_co_ci_u32_e32 v4, vcc_lo, s5, v2, vcc_lo
	global_load_b32 v3, v[3:4], off
	v_mbcnt_lo_u32_b32 v4, -1, 0
	v_mul_hi_u32 v5, 0x24924925, v4
	s_delay_alu instid0(VALU_DEP_1) | instskip(NEXT) | instid1(VALU_DEP_1)
	v_mul_u32_u24_e32 v5, 7, v5
	v_sub_nc_u32_e32 v5, v4, v5
	s_delay_alu instid0(VALU_DEP_1) | instskip(SKIP_1) | instid1(VALU_DEP_2)
	v_lshlrev_b32_e32 v4, 2, v5
	v_cmp_ne_u32_e32 vcc_lo, 0, v5
	v_mad_u32_u24 v4, v0, 28, v4
	s_delay_alu instid0(VALU_DEP_1)
	v_add_nc_u32_e32 v0, -4, v4
	s_waitcnt vmcnt(0)
	ds_store_b32 v4, v3
	; wave barrier
	s_and_saveexec_b32 s2, vcc_lo
	s_cbranch_execz .LBB129_2
; %bb.1:
	ds_load_b32 v6, v0
	s_waitcnt lgkmcnt(0)
	v_add_nc_u32_e32 v3, v6, v3
.LBB129_2:
	s_or_b32 exec_lo, exec_lo, s2
	; wave barrier
	s_and_saveexec_b32 s2, vcc_lo
	s_cbranch_execz .LBB129_4
; %bb.3:
	ds_store_b32 v4, v3
.LBB129_4:
	s_or_b32 exec_lo, exec_lo, s2
	v_cmp_lt_u32_e64 s2, 1, v5
	; wave barrier
	s_delay_alu instid0(VALU_DEP_1)
	s_and_saveexec_b32 s3, s2
	s_cbranch_execz .LBB129_6
; %bb.5:
	v_add_nc_u32_e32 v6, -8, v4
	ds_load_b32 v6, v6
	s_waitcnt lgkmcnt(0)
	v_add_nc_u32_e32 v3, v6, v3
.LBB129_6:
	s_or_b32 exec_lo, exec_lo, s3
	; wave barrier
	s_and_saveexec_b32 s3, s2
	s_cbranch_execz .LBB129_8
; %bb.7:
	ds_store_b32 v4, v3
.LBB129_8:
	s_or_b32 exec_lo, exec_lo, s3
	v_cmp_lt_u32_e64 s2, 3, v5
	; wave barrier
	s_delay_alu instid0(VALU_DEP_1)
	s_and_saveexec_b32 s3, s2
	s_cbranch_execz .LBB129_10
; %bb.9:
	v_add_nc_u32_e32 v5, -16, v4
	ds_load_b32 v5, v5
	s_waitcnt lgkmcnt(0)
	v_add_nc_u32_e32 v3, v5, v3
.LBB129_10:
	s_or_b32 exec_lo, exec_lo, s3
	; wave barrier
	s_and_saveexec_b32 s3, s2
	s_cbranch_execz .LBB129_12
; %bb.11:
	ds_store_b32 v4, v3
.LBB129_12:
	s_or_b32 exec_lo, exec_lo, s3
	s_load_b32 s0, s[0:1], 0x10
	; wave barrier
	s_waitcnt lgkmcnt(0)
	v_mov_b32_e32 v3, s0
	s_and_saveexec_b32 s1, vcc_lo
	s_cbranch_execz .LBB129_14
; %bb.13:
	ds_load_b32 v0, v0
	s_waitcnt lgkmcnt(0)
	v_add_nc_u32_e32 v3, s0, v0
.LBB129_14:
	s_or_b32 exec_lo, exec_lo, s1
	v_add_co_u32 v0, vcc_lo, s6, v1
	v_add_co_ci_u32_e32 v1, vcc_lo, s7, v2, vcc_lo
	global_store_b32 v[0:1], v3, off
	s_nop 0
	s_sendmsg sendmsg(MSG_DEALLOC_VGPRS)
	s_endpgm
	.section	.rodata,"a",@progbits
	.p2align	6, 0x0
	.amdhsa_kernel _Z26warp_exclusive_scan_kernelIiLj63ELj7EENSt9enable_ifIXsr10test_utilsE35device_test_enabled_for_warp_size_vIXT1_EEEvE4typeEPT_S4_S3_
		.amdhsa_group_segment_fixed_size 252
		.amdhsa_private_segment_fixed_size 0
		.amdhsa_kernarg_size 280
		.amdhsa_user_sgpr_count 15
		.amdhsa_user_sgpr_dispatch_ptr 0
		.amdhsa_user_sgpr_queue_ptr 0
		.amdhsa_user_sgpr_kernarg_segment_ptr 1
		.amdhsa_user_sgpr_dispatch_id 0
		.amdhsa_user_sgpr_private_segment_size 0
		.amdhsa_wavefront_size32 1
		.amdhsa_uses_dynamic_stack 0
		.amdhsa_enable_private_segment 0
		.amdhsa_system_sgpr_workgroup_id_x 1
		.amdhsa_system_sgpr_workgroup_id_y 0
		.amdhsa_system_sgpr_workgroup_id_z 0
		.amdhsa_system_sgpr_workgroup_info 0
		.amdhsa_system_vgpr_workitem_id 0
		.amdhsa_next_free_vgpr 7
		.amdhsa_next_free_sgpr 16
		.amdhsa_reserve_vcc 1
		.amdhsa_float_round_mode_32 0
		.amdhsa_float_round_mode_16_64 0
		.amdhsa_float_denorm_mode_32 3
		.amdhsa_float_denorm_mode_16_64 3
		.amdhsa_dx10_clamp 1
		.amdhsa_ieee_mode 1
		.amdhsa_fp16_overflow 0
		.amdhsa_workgroup_processor_mode 1
		.amdhsa_memory_ordered 1
		.amdhsa_forward_progress 0
		.amdhsa_shared_vgpr_count 0
		.amdhsa_exception_fp_ieee_invalid_op 0
		.amdhsa_exception_fp_denorm_src 0
		.amdhsa_exception_fp_ieee_div_zero 0
		.amdhsa_exception_fp_ieee_overflow 0
		.amdhsa_exception_fp_ieee_underflow 0
		.amdhsa_exception_fp_ieee_inexact 0
		.amdhsa_exception_int_div_zero 0
	.end_amdhsa_kernel
	.section	.text._Z26warp_exclusive_scan_kernelIiLj63ELj7EENSt9enable_ifIXsr10test_utilsE35device_test_enabled_for_warp_size_vIXT1_EEEvE4typeEPT_S4_S3_,"axG",@progbits,_Z26warp_exclusive_scan_kernelIiLj63ELj7EENSt9enable_ifIXsr10test_utilsE35device_test_enabled_for_warp_size_vIXT1_EEEvE4typeEPT_S4_S3_,comdat
.Lfunc_end129:
	.size	_Z26warp_exclusive_scan_kernelIiLj63ELj7EENSt9enable_ifIXsr10test_utilsE35device_test_enabled_for_warp_size_vIXT1_EEEvE4typeEPT_S4_S3_, .Lfunc_end129-_Z26warp_exclusive_scan_kernelIiLj63ELj7EENSt9enable_ifIXsr10test_utilsE35device_test_enabled_for_warp_size_vIXT1_EEEvE4typeEPT_S4_S3_
                                        ; -- End function
	.section	.AMDGPU.csdata,"",@progbits
; Kernel info:
; codeLenInByte = 420
; NumSgprs: 18
; NumVgprs: 7
; ScratchSize: 0
; MemoryBound: 0
; FloatMode: 240
; IeeeMode: 1
; LDSByteSize: 252 bytes/workgroup (compile time only)
; SGPRBlocks: 2
; VGPRBlocks: 0
; NumSGPRsForWavesPerEU: 18
; NumVGPRsForWavesPerEU: 7
; Occupancy: 16
; WaveLimiterHint : 0
; COMPUTE_PGM_RSRC2:SCRATCH_EN: 0
; COMPUTE_PGM_RSRC2:USER_SGPR: 15
; COMPUTE_PGM_RSRC2:TRAP_HANDLER: 0
; COMPUTE_PGM_RSRC2:TGID_X_EN: 1
; COMPUTE_PGM_RSRC2:TGID_Y_EN: 0
; COMPUTE_PGM_RSRC2:TGID_Z_EN: 0
; COMPUTE_PGM_RSRC2:TIDIG_COMP_CNT: 0
	.section	.text._Z26warp_exclusive_scan_kernelIiLj30ELj3EENSt9enable_ifIXsr10test_utilsE35device_test_enabled_for_warp_size_vIXT1_EEEvE4typeEPT_S4_S3_,"axG",@progbits,_Z26warp_exclusive_scan_kernelIiLj30ELj3EENSt9enable_ifIXsr10test_utilsE35device_test_enabled_for_warp_size_vIXT1_EEEvE4typeEPT_S4_S3_,comdat
	.protected	_Z26warp_exclusive_scan_kernelIiLj30ELj3EENSt9enable_ifIXsr10test_utilsE35device_test_enabled_for_warp_size_vIXT1_EEEvE4typeEPT_S4_S3_ ; -- Begin function _Z26warp_exclusive_scan_kernelIiLj30ELj3EENSt9enable_ifIXsr10test_utilsE35device_test_enabled_for_warp_size_vIXT1_EEEvE4typeEPT_S4_S3_
	.globl	_Z26warp_exclusive_scan_kernelIiLj30ELj3EENSt9enable_ifIXsr10test_utilsE35device_test_enabled_for_warp_size_vIXT1_EEEvE4typeEPT_S4_S3_
	.p2align	8
	.type	_Z26warp_exclusive_scan_kernelIiLj30ELj3EENSt9enable_ifIXsr10test_utilsE35device_test_enabled_for_warp_size_vIXT1_EEEvE4typeEPT_S4_S3_,@function
_Z26warp_exclusive_scan_kernelIiLj30ELj3EENSt9enable_ifIXsr10test_utilsE35device_test_enabled_for_warp_size_vIXT1_EEEvE4typeEPT_S4_S3_: ; @_Z26warp_exclusive_scan_kernelIiLj30ELj3EENSt9enable_ifIXsr10test_utilsE35device_test_enabled_for_warp_size_vIXT1_EEEvE4typeEPT_S4_S3_
; %bb.0:
	s_clause 0x1
	s_load_b32 s2, s[0:1], 0x24
	s_load_b128 s[4:7], s[0:1], 0x0
	s_waitcnt lgkmcnt(0)
	s_and_b32 s2, s2, 0xffff
	s_delay_alu instid0(SALU_CYCLE_1) | instskip(SKIP_2) | instid1(VALU_DEP_1)
	v_mad_u64_u32 v[1:2], null, s15, s2, v[0:1]
	v_mov_b32_e32 v2, 0
	v_mul_u32_u24_e32 v0, 0x5556, v0
	v_lshrrev_b32_e32 v0, 16, v0
	s_delay_alu instid0(VALU_DEP_3) | instskip(NEXT) | instid1(VALU_DEP_1)
	v_lshlrev_b64 v[1:2], 2, v[1:2]
	v_add_co_u32 v3, vcc_lo, s4, v1
	s_delay_alu instid0(VALU_DEP_2) | instskip(SKIP_2) | instid1(VALU_DEP_1)
	v_add_co_ci_u32_e32 v4, vcc_lo, s5, v2, vcc_lo
	global_load_b32 v3, v[3:4], off
	v_mbcnt_lo_u32_b32 v4, -1, 0
	v_mul_hi_u32 v5, 0x55555556, v4
	s_delay_alu instid0(VALU_DEP_1) | instskip(NEXT) | instid1(VALU_DEP_1)
	v_mul_u32_u24_e32 v5, 3, v5
	v_sub_nc_u32_e32 v5, v4, v5
	s_delay_alu instid0(VALU_DEP_1) | instskip(SKIP_1) | instid1(VALU_DEP_2)
	v_lshlrev_b32_e32 v4, 2, v5
	v_cmp_ne_u32_e32 vcc_lo, 0, v5
	v_mad_u32_u24 v4, v0, 12, v4
	s_delay_alu instid0(VALU_DEP_1)
	v_add_nc_u32_e32 v0, -4, v4
	s_waitcnt vmcnt(0)
	ds_store_b32 v4, v3
	; wave barrier
	s_and_saveexec_b32 s2, vcc_lo
	s_cbranch_execz .LBB130_2
; %bb.1:
	ds_load_b32 v6, v0
	s_waitcnt lgkmcnt(0)
	v_add_nc_u32_e32 v3, v6, v3
.LBB130_2:
	s_or_b32 exec_lo, exec_lo, s2
	; wave barrier
	s_and_saveexec_b32 s2, vcc_lo
	s_cbranch_execz .LBB130_4
; %bb.3:
	ds_store_b32 v4, v3
.LBB130_4:
	s_or_b32 exec_lo, exec_lo, s2
	v_cmp_lt_u32_e64 s2, 1, v5
	; wave barrier
	s_delay_alu instid0(VALU_DEP_1)
	s_and_saveexec_b32 s3, s2
	s_cbranch_execz .LBB130_6
; %bb.5:
	v_add_nc_u32_e32 v5, -8, v4
	ds_load_b32 v5, v5
	s_waitcnt lgkmcnt(0)
	v_add_nc_u32_e32 v3, v5, v3
.LBB130_6:
	s_or_b32 exec_lo, exec_lo, s3
	; wave barrier
	s_and_saveexec_b32 s3, s2
	s_cbranch_execz .LBB130_8
; %bb.7:
	ds_store_b32 v4, v3
.LBB130_8:
	s_or_b32 exec_lo, exec_lo, s3
	s_load_b32 s0, s[0:1], 0x10
	; wave barrier
	s_waitcnt lgkmcnt(0)
	v_mov_b32_e32 v3, s0
	s_and_saveexec_b32 s1, vcc_lo
	s_cbranch_execz .LBB130_10
; %bb.9:
	ds_load_b32 v0, v0
	s_waitcnt lgkmcnt(0)
	v_add_nc_u32_e32 v3, s0, v0
.LBB130_10:
	s_or_b32 exec_lo, exec_lo, s1
	v_add_co_u32 v0, vcc_lo, s6, v1
	v_add_co_ci_u32_e32 v1, vcc_lo, s7, v2, vcc_lo
	global_store_b32 v[0:1], v3, off
	s_nop 0
	s_sendmsg sendmsg(MSG_DEALLOC_VGPRS)
	s_endpgm
	.section	.rodata,"a",@progbits
	.p2align	6, 0x0
	.amdhsa_kernel _Z26warp_exclusive_scan_kernelIiLj30ELj3EENSt9enable_ifIXsr10test_utilsE35device_test_enabled_for_warp_size_vIXT1_EEEvE4typeEPT_S4_S3_
		.amdhsa_group_segment_fixed_size 120
		.amdhsa_private_segment_fixed_size 0
		.amdhsa_kernarg_size 280
		.amdhsa_user_sgpr_count 15
		.amdhsa_user_sgpr_dispatch_ptr 0
		.amdhsa_user_sgpr_queue_ptr 0
		.amdhsa_user_sgpr_kernarg_segment_ptr 1
		.amdhsa_user_sgpr_dispatch_id 0
		.amdhsa_user_sgpr_private_segment_size 0
		.amdhsa_wavefront_size32 1
		.amdhsa_uses_dynamic_stack 0
		.amdhsa_enable_private_segment 0
		.amdhsa_system_sgpr_workgroup_id_x 1
		.amdhsa_system_sgpr_workgroup_id_y 0
		.amdhsa_system_sgpr_workgroup_id_z 0
		.amdhsa_system_sgpr_workgroup_info 0
		.amdhsa_system_vgpr_workitem_id 0
		.amdhsa_next_free_vgpr 7
		.amdhsa_next_free_sgpr 16
		.amdhsa_reserve_vcc 1
		.amdhsa_float_round_mode_32 0
		.amdhsa_float_round_mode_16_64 0
		.amdhsa_float_denorm_mode_32 3
		.amdhsa_float_denorm_mode_16_64 3
		.amdhsa_dx10_clamp 1
		.amdhsa_ieee_mode 1
		.amdhsa_fp16_overflow 0
		.amdhsa_workgroup_processor_mode 1
		.amdhsa_memory_ordered 1
		.amdhsa_forward_progress 0
		.amdhsa_shared_vgpr_count 0
		.amdhsa_exception_fp_ieee_invalid_op 0
		.amdhsa_exception_fp_denorm_src 0
		.amdhsa_exception_fp_ieee_div_zero 0
		.amdhsa_exception_fp_ieee_overflow 0
		.amdhsa_exception_fp_ieee_underflow 0
		.amdhsa_exception_fp_ieee_inexact 0
		.amdhsa_exception_int_div_zero 0
	.end_amdhsa_kernel
	.section	.text._Z26warp_exclusive_scan_kernelIiLj30ELj3EENSt9enable_ifIXsr10test_utilsE35device_test_enabled_for_warp_size_vIXT1_EEEvE4typeEPT_S4_S3_,"axG",@progbits,_Z26warp_exclusive_scan_kernelIiLj30ELj3EENSt9enable_ifIXsr10test_utilsE35device_test_enabled_for_warp_size_vIXT1_EEEvE4typeEPT_S4_S3_,comdat
.Lfunc_end130:
	.size	_Z26warp_exclusive_scan_kernelIiLj30ELj3EENSt9enable_ifIXsr10test_utilsE35device_test_enabled_for_warp_size_vIXT1_EEEvE4typeEPT_S4_S3_, .Lfunc_end130-_Z26warp_exclusive_scan_kernelIiLj30ELj3EENSt9enable_ifIXsr10test_utilsE35device_test_enabled_for_warp_size_vIXT1_EEEvE4typeEPT_S4_S3_
                                        ; -- End function
	.section	.AMDGPU.csdata,"",@progbits
; Kernel info:
; codeLenInByte = 356
; NumSgprs: 18
; NumVgprs: 7
; ScratchSize: 0
; MemoryBound: 0
; FloatMode: 240
; IeeeMode: 1
; LDSByteSize: 120 bytes/workgroup (compile time only)
; SGPRBlocks: 2
; VGPRBlocks: 0
; NumSGPRsForWavesPerEU: 18
; NumVGPRsForWavesPerEU: 7
; Occupancy: 16
; WaveLimiterHint : 0
; COMPUTE_PGM_RSRC2:SCRATCH_EN: 0
; COMPUTE_PGM_RSRC2:USER_SGPR: 15
; COMPUTE_PGM_RSRC2:TRAP_HANDLER: 0
; COMPUTE_PGM_RSRC2:TGID_X_EN: 1
; COMPUTE_PGM_RSRC2:TGID_Y_EN: 0
; COMPUTE_PGM_RSRC2:TGID_Z_EN: 0
; COMPUTE_PGM_RSRC2:TIDIG_COMP_CNT: 0
	.section	.text._Z26warp_exclusive_scan_kernelIiLj63ELj3EENSt9enable_ifIXsr10test_utilsE35device_test_enabled_for_warp_size_vIXT1_EEEvE4typeEPT_S4_S3_,"axG",@progbits,_Z26warp_exclusive_scan_kernelIiLj63ELj3EENSt9enable_ifIXsr10test_utilsE35device_test_enabled_for_warp_size_vIXT1_EEEvE4typeEPT_S4_S3_,comdat
	.protected	_Z26warp_exclusive_scan_kernelIiLj63ELj3EENSt9enable_ifIXsr10test_utilsE35device_test_enabled_for_warp_size_vIXT1_EEEvE4typeEPT_S4_S3_ ; -- Begin function _Z26warp_exclusive_scan_kernelIiLj63ELj3EENSt9enable_ifIXsr10test_utilsE35device_test_enabled_for_warp_size_vIXT1_EEEvE4typeEPT_S4_S3_
	.globl	_Z26warp_exclusive_scan_kernelIiLj63ELj3EENSt9enable_ifIXsr10test_utilsE35device_test_enabled_for_warp_size_vIXT1_EEEvE4typeEPT_S4_S3_
	.p2align	8
	.type	_Z26warp_exclusive_scan_kernelIiLj63ELj3EENSt9enable_ifIXsr10test_utilsE35device_test_enabled_for_warp_size_vIXT1_EEEvE4typeEPT_S4_S3_,@function
_Z26warp_exclusive_scan_kernelIiLj63ELj3EENSt9enable_ifIXsr10test_utilsE35device_test_enabled_for_warp_size_vIXT1_EEEvE4typeEPT_S4_S3_: ; @_Z26warp_exclusive_scan_kernelIiLj63ELj3EENSt9enable_ifIXsr10test_utilsE35device_test_enabled_for_warp_size_vIXT1_EEEvE4typeEPT_S4_S3_
; %bb.0:
	s_clause 0x1
	s_load_b32 s2, s[0:1], 0x24
	s_load_b128 s[4:7], s[0:1], 0x0
	s_waitcnt lgkmcnt(0)
	s_and_b32 s2, s2, 0xffff
	s_delay_alu instid0(SALU_CYCLE_1) | instskip(SKIP_2) | instid1(VALU_DEP_1)
	v_mad_u64_u32 v[1:2], null, s15, s2, v[0:1]
	v_mov_b32_e32 v2, 0
	v_mul_u32_u24_e32 v0, 0x5556, v0
	v_lshrrev_b32_e32 v0, 16, v0
	s_delay_alu instid0(VALU_DEP_3) | instskip(NEXT) | instid1(VALU_DEP_1)
	v_lshlrev_b64 v[1:2], 2, v[1:2]
	v_add_co_u32 v3, vcc_lo, s4, v1
	s_delay_alu instid0(VALU_DEP_2) | instskip(SKIP_2) | instid1(VALU_DEP_1)
	v_add_co_ci_u32_e32 v4, vcc_lo, s5, v2, vcc_lo
	global_load_b32 v3, v[3:4], off
	v_mbcnt_lo_u32_b32 v4, -1, 0
	v_mul_hi_u32 v5, 0x55555556, v4
	s_delay_alu instid0(VALU_DEP_1) | instskip(NEXT) | instid1(VALU_DEP_1)
	v_mul_u32_u24_e32 v5, 3, v5
	v_sub_nc_u32_e32 v5, v4, v5
	s_delay_alu instid0(VALU_DEP_1) | instskip(SKIP_1) | instid1(VALU_DEP_2)
	v_lshlrev_b32_e32 v4, 2, v5
	v_cmp_ne_u32_e32 vcc_lo, 0, v5
	v_mad_u32_u24 v4, v0, 12, v4
	s_delay_alu instid0(VALU_DEP_1)
	v_add_nc_u32_e32 v0, -4, v4
	s_waitcnt vmcnt(0)
	ds_store_b32 v4, v3
	; wave barrier
	s_and_saveexec_b32 s2, vcc_lo
	s_cbranch_execz .LBB131_2
; %bb.1:
	ds_load_b32 v6, v0
	s_waitcnt lgkmcnt(0)
	v_add_nc_u32_e32 v3, v6, v3
.LBB131_2:
	s_or_b32 exec_lo, exec_lo, s2
	; wave barrier
	s_and_saveexec_b32 s2, vcc_lo
	s_cbranch_execz .LBB131_4
; %bb.3:
	ds_store_b32 v4, v3
.LBB131_4:
	s_or_b32 exec_lo, exec_lo, s2
	v_cmp_lt_u32_e64 s2, 1, v5
	; wave barrier
	s_delay_alu instid0(VALU_DEP_1)
	s_and_saveexec_b32 s3, s2
	s_cbranch_execz .LBB131_6
; %bb.5:
	v_add_nc_u32_e32 v5, -8, v4
	ds_load_b32 v5, v5
	s_waitcnt lgkmcnt(0)
	v_add_nc_u32_e32 v3, v5, v3
.LBB131_6:
	s_or_b32 exec_lo, exec_lo, s3
	; wave barrier
	s_and_saveexec_b32 s3, s2
	s_cbranch_execz .LBB131_8
; %bb.7:
	ds_store_b32 v4, v3
.LBB131_8:
	s_or_b32 exec_lo, exec_lo, s3
	s_load_b32 s0, s[0:1], 0x10
	; wave barrier
	s_waitcnt lgkmcnt(0)
	v_mov_b32_e32 v3, s0
	s_and_saveexec_b32 s1, vcc_lo
	s_cbranch_execz .LBB131_10
; %bb.9:
	ds_load_b32 v0, v0
	s_waitcnt lgkmcnt(0)
	v_add_nc_u32_e32 v3, s0, v0
.LBB131_10:
	s_or_b32 exec_lo, exec_lo, s1
	v_add_co_u32 v0, vcc_lo, s6, v1
	v_add_co_ci_u32_e32 v1, vcc_lo, s7, v2, vcc_lo
	global_store_b32 v[0:1], v3, off
	s_nop 0
	s_sendmsg sendmsg(MSG_DEALLOC_VGPRS)
	s_endpgm
	.section	.rodata,"a",@progbits
	.p2align	6, 0x0
	.amdhsa_kernel _Z26warp_exclusive_scan_kernelIiLj63ELj3EENSt9enable_ifIXsr10test_utilsE35device_test_enabled_for_warp_size_vIXT1_EEEvE4typeEPT_S4_S3_
		.amdhsa_group_segment_fixed_size 252
		.amdhsa_private_segment_fixed_size 0
		.amdhsa_kernarg_size 280
		.amdhsa_user_sgpr_count 15
		.amdhsa_user_sgpr_dispatch_ptr 0
		.amdhsa_user_sgpr_queue_ptr 0
		.amdhsa_user_sgpr_kernarg_segment_ptr 1
		.amdhsa_user_sgpr_dispatch_id 0
		.amdhsa_user_sgpr_private_segment_size 0
		.amdhsa_wavefront_size32 1
		.amdhsa_uses_dynamic_stack 0
		.amdhsa_enable_private_segment 0
		.amdhsa_system_sgpr_workgroup_id_x 1
		.amdhsa_system_sgpr_workgroup_id_y 0
		.amdhsa_system_sgpr_workgroup_id_z 0
		.amdhsa_system_sgpr_workgroup_info 0
		.amdhsa_system_vgpr_workitem_id 0
		.amdhsa_next_free_vgpr 7
		.amdhsa_next_free_sgpr 16
		.amdhsa_reserve_vcc 1
		.amdhsa_float_round_mode_32 0
		.amdhsa_float_round_mode_16_64 0
		.amdhsa_float_denorm_mode_32 3
		.amdhsa_float_denorm_mode_16_64 3
		.amdhsa_dx10_clamp 1
		.amdhsa_ieee_mode 1
		.amdhsa_fp16_overflow 0
		.amdhsa_workgroup_processor_mode 1
		.amdhsa_memory_ordered 1
		.amdhsa_forward_progress 0
		.amdhsa_shared_vgpr_count 0
		.amdhsa_exception_fp_ieee_invalid_op 0
		.amdhsa_exception_fp_denorm_src 0
		.amdhsa_exception_fp_ieee_div_zero 0
		.amdhsa_exception_fp_ieee_overflow 0
		.amdhsa_exception_fp_ieee_underflow 0
		.amdhsa_exception_fp_ieee_inexact 0
		.amdhsa_exception_int_div_zero 0
	.end_amdhsa_kernel
	.section	.text._Z26warp_exclusive_scan_kernelIiLj63ELj3EENSt9enable_ifIXsr10test_utilsE35device_test_enabled_for_warp_size_vIXT1_EEEvE4typeEPT_S4_S3_,"axG",@progbits,_Z26warp_exclusive_scan_kernelIiLj63ELj3EENSt9enable_ifIXsr10test_utilsE35device_test_enabled_for_warp_size_vIXT1_EEEvE4typeEPT_S4_S3_,comdat
.Lfunc_end131:
	.size	_Z26warp_exclusive_scan_kernelIiLj63ELj3EENSt9enable_ifIXsr10test_utilsE35device_test_enabled_for_warp_size_vIXT1_EEEvE4typeEPT_S4_S3_, .Lfunc_end131-_Z26warp_exclusive_scan_kernelIiLj63ELj3EENSt9enable_ifIXsr10test_utilsE35device_test_enabled_for_warp_size_vIXT1_EEEvE4typeEPT_S4_S3_
                                        ; -- End function
	.section	.AMDGPU.csdata,"",@progbits
; Kernel info:
; codeLenInByte = 356
; NumSgprs: 18
; NumVgprs: 7
; ScratchSize: 0
; MemoryBound: 0
; FloatMode: 240
; IeeeMode: 1
; LDSByteSize: 252 bytes/workgroup (compile time only)
; SGPRBlocks: 2
; VGPRBlocks: 0
; NumSGPRsForWavesPerEU: 18
; NumVGPRsForWavesPerEU: 7
; Occupancy: 16
; WaveLimiterHint : 0
; COMPUTE_PGM_RSRC2:SCRATCH_EN: 0
; COMPUTE_PGM_RSRC2:USER_SGPR: 15
; COMPUTE_PGM_RSRC2:TRAP_HANDLER: 0
; COMPUTE_PGM_RSRC2:TGID_X_EN: 1
; COMPUTE_PGM_RSRC2:TGID_Y_EN: 0
; COMPUTE_PGM_RSRC2:TGID_Z_EN: 0
; COMPUTE_PGM_RSRC2:TIDIG_COMP_CNT: 0
	.section	.text._Z26warp_exclusive_scan_kernelI12hip_bfloat16Lj256ELj64EENSt9enable_ifIXntsr10test_utilsE35device_test_enabled_for_warp_size_vIXT1_EEEvE4typeEPT_S5_S4_,"axG",@progbits,_Z26warp_exclusive_scan_kernelI12hip_bfloat16Lj256ELj64EENSt9enable_ifIXntsr10test_utilsE35device_test_enabled_for_warp_size_vIXT1_EEEvE4typeEPT_S5_S4_,comdat
	.protected	_Z26warp_exclusive_scan_kernelI12hip_bfloat16Lj256ELj64EENSt9enable_ifIXntsr10test_utilsE35device_test_enabled_for_warp_size_vIXT1_EEEvE4typeEPT_S5_S4_ ; -- Begin function _Z26warp_exclusive_scan_kernelI12hip_bfloat16Lj256ELj64EENSt9enable_ifIXntsr10test_utilsE35device_test_enabled_for_warp_size_vIXT1_EEEvE4typeEPT_S5_S4_
	.globl	_Z26warp_exclusive_scan_kernelI12hip_bfloat16Lj256ELj64EENSt9enable_ifIXntsr10test_utilsE35device_test_enabled_for_warp_size_vIXT1_EEEvE4typeEPT_S5_S4_
	.p2align	8
	.type	_Z26warp_exclusive_scan_kernelI12hip_bfloat16Lj256ELj64EENSt9enable_ifIXntsr10test_utilsE35device_test_enabled_for_warp_size_vIXT1_EEEvE4typeEPT_S5_S4_,@function
_Z26warp_exclusive_scan_kernelI12hip_bfloat16Lj256ELj64EENSt9enable_ifIXntsr10test_utilsE35device_test_enabled_for_warp_size_vIXT1_EEEvE4typeEPT_S5_S4_: ; @_Z26warp_exclusive_scan_kernelI12hip_bfloat16Lj256ELj64EENSt9enable_ifIXntsr10test_utilsE35device_test_enabled_for_warp_size_vIXT1_EEEvE4typeEPT_S5_S4_
; %bb.0:
	s_endpgm
	.section	.rodata,"a",@progbits
	.p2align	6, 0x0
	.amdhsa_kernel _Z26warp_exclusive_scan_kernelI12hip_bfloat16Lj256ELj64EENSt9enable_ifIXntsr10test_utilsE35device_test_enabled_for_warp_size_vIXT1_EEEvE4typeEPT_S5_S4_
		.amdhsa_group_segment_fixed_size 0
		.amdhsa_private_segment_fixed_size 0
		.amdhsa_kernarg_size 20
		.amdhsa_user_sgpr_count 15
		.amdhsa_user_sgpr_dispatch_ptr 0
		.amdhsa_user_sgpr_queue_ptr 0
		.amdhsa_user_sgpr_kernarg_segment_ptr 1
		.amdhsa_user_sgpr_dispatch_id 0
		.amdhsa_user_sgpr_private_segment_size 0
		.amdhsa_wavefront_size32 1
		.amdhsa_uses_dynamic_stack 0
		.amdhsa_enable_private_segment 0
		.amdhsa_system_sgpr_workgroup_id_x 1
		.amdhsa_system_sgpr_workgroup_id_y 0
		.amdhsa_system_sgpr_workgroup_id_z 0
		.amdhsa_system_sgpr_workgroup_info 0
		.amdhsa_system_vgpr_workitem_id 0
		.amdhsa_next_free_vgpr 1
		.amdhsa_next_free_sgpr 1
		.amdhsa_reserve_vcc 0
		.amdhsa_float_round_mode_32 0
		.amdhsa_float_round_mode_16_64 0
		.amdhsa_float_denorm_mode_32 3
		.amdhsa_float_denorm_mode_16_64 3
		.amdhsa_dx10_clamp 1
		.amdhsa_ieee_mode 1
		.amdhsa_fp16_overflow 0
		.amdhsa_workgroup_processor_mode 1
		.amdhsa_memory_ordered 1
		.amdhsa_forward_progress 0
		.amdhsa_shared_vgpr_count 0
		.amdhsa_exception_fp_ieee_invalid_op 0
		.amdhsa_exception_fp_denorm_src 0
		.amdhsa_exception_fp_ieee_div_zero 0
		.amdhsa_exception_fp_ieee_overflow 0
		.amdhsa_exception_fp_ieee_underflow 0
		.amdhsa_exception_fp_ieee_inexact 0
		.amdhsa_exception_int_div_zero 0
	.end_amdhsa_kernel
	.section	.text._Z26warp_exclusive_scan_kernelI12hip_bfloat16Lj256ELj64EENSt9enable_ifIXntsr10test_utilsE35device_test_enabled_for_warp_size_vIXT1_EEEvE4typeEPT_S5_S4_,"axG",@progbits,_Z26warp_exclusive_scan_kernelI12hip_bfloat16Lj256ELj64EENSt9enable_ifIXntsr10test_utilsE35device_test_enabled_for_warp_size_vIXT1_EEEvE4typeEPT_S5_S4_,comdat
.Lfunc_end132:
	.size	_Z26warp_exclusive_scan_kernelI12hip_bfloat16Lj256ELj64EENSt9enable_ifIXntsr10test_utilsE35device_test_enabled_for_warp_size_vIXT1_EEEvE4typeEPT_S5_S4_, .Lfunc_end132-_Z26warp_exclusive_scan_kernelI12hip_bfloat16Lj256ELj64EENSt9enable_ifIXntsr10test_utilsE35device_test_enabled_for_warp_size_vIXT1_EEEvE4typeEPT_S5_S4_
                                        ; -- End function
	.section	.AMDGPU.csdata,"",@progbits
; Kernel info:
; codeLenInByte = 4
; NumSgprs: 0
; NumVgprs: 0
; ScratchSize: 0
; MemoryBound: 0
; FloatMode: 240
; IeeeMode: 1
; LDSByteSize: 0 bytes/workgroup (compile time only)
; SGPRBlocks: 0
; VGPRBlocks: 0
; NumSGPRsForWavesPerEU: 1
; NumVGPRsForWavesPerEU: 1
; Occupancy: 16
; WaveLimiterHint : 0
; COMPUTE_PGM_RSRC2:SCRATCH_EN: 0
; COMPUTE_PGM_RSRC2:USER_SGPR: 15
; COMPUTE_PGM_RSRC2:TRAP_HANDLER: 0
; COMPUTE_PGM_RSRC2:TGID_X_EN: 1
; COMPUTE_PGM_RSRC2:TGID_Y_EN: 0
; COMPUTE_PGM_RSRC2:TGID_Z_EN: 0
; COMPUTE_PGM_RSRC2:TIDIG_COMP_CNT: 0
	.section	.text._Z26warp_exclusive_scan_kernelI12hip_bfloat16Lj128ELj32EENSt9enable_ifIXsr10test_utilsE35device_test_enabled_for_warp_size_vIXT1_EEEvE4typeEPT_S5_S4_,"axG",@progbits,_Z26warp_exclusive_scan_kernelI12hip_bfloat16Lj128ELj32EENSt9enable_ifIXsr10test_utilsE35device_test_enabled_for_warp_size_vIXT1_EEEvE4typeEPT_S5_S4_,comdat
	.protected	_Z26warp_exclusive_scan_kernelI12hip_bfloat16Lj128ELj32EENSt9enable_ifIXsr10test_utilsE35device_test_enabled_for_warp_size_vIXT1_EEEvE4typeEPT_S5_S4_ ; -- Begin function _Z26warp_exclusive_scan_kernelI12hip_bfloat16Lj128ELj32EENSt9enable_ifIXsr10test_utilsE35device_test_enabled_for_warp_size_vIXT1_EEEvE4typeEPT_S5_S4_
	.globl	_Z26warp_exclusive_scan_kernelI12hip_bfloat16Lj128ELj32EENSt9enable_ifIXsr10test_utilsE35device_test_enabled_for_warp_size_vIXT1_EEEvE4typeEPT_S5_S4_
	.p2align	8
	.type	_Z26warp_exclusive_scan_kernelI12hip_bfloat16Lj128ELj32EENSt9enable_ifIXsr10test_utilsE35device_test_enabled_for_warp_size_vIXT1_EEEvE4typeEPT_S5_S4_,@function
_Z26warp_exclusive_scan_kernelI12hip_bfloat16Lj128ELj32EENSt9enable_ifIXsr10test_utilsE35device_test_enabled_for_warp_size_vIXT1_EEEvE4typeEPT_S5_S4_: ; @_Z26warp_exclusive_scan_kernelI12hip_bfloat16Lj128ELj32EENSt9enable_ifIXsr10test_utilsE35device_test_enabled_for_warp_size_vIXT1_EEEvE4typeEPT_S5_S4_
; %bb.0:
	s_clause 0x1
	s_load_b32 s2, s[0:1], 0x24
	s_load_b128 s[4:7], s[0:1], 0x0
                                        ; implicit-def: $vgpr6
	s_waitcnt lgkmcnt(0)
	s_and_b32 s2, s2, 0xffff
	s_delay_alu instid0(SALU_CYCLE_1) | instskip(SKIP_2) | instid1(VALU_DEP_1)
	v_mad_u64_u32 v[1:2], null, s15, s2, v[0:1]
	v_mov_b32_e32 v2, 0
	s_mov_b32 s2, exec_lo
	v_lshlrev_b64 v[0:1], 1, v[1:2]
	s_delay_alu instid0(VALU_DEP_1) | instskip(NEXT) | instid1(VALU_DEP_2)
	v_add_co_u32 v2, vcc_lo, s4, v0
	v_add_co_ci_u32_e32 v3, vcc_lo, s5, v1, vcc_lo
	global_load_u16 v4, v[2:3], off
	s_waitcnt vmcnt(0)
	v_lshlrev_b32_e32 v5, 16, v4
	v_mov_b32_dpp v2, v4 row_shr:1 row_mask:0xf bank_mask:0xf
	s_delay_alu instid0(VALU_DEP_1) | instskip(NEXT) | instid1(VALU_DEP_1)
	v_lshlrev_b32_e32 v2, 16, v2
	v_add_f32_e32 v2, v5, v2
	s_delay_alu instid0(VALU_DEP_1) | instskip(NEXT) | instid1(VALU_DEP_1)
	v_and_b32_e32 v3, 0x7f800000, v2
	v_cmpx_ne_u32_e32 0x7f800000, v3
	s_xor_b32 s2, exec_lo, s2
; %bb.1:
	v_bfe_u32 v3, v2, 16, 1
	s_delay_alu instid0(VALU_DEP_1)
	v_add3_u32 v6, v2, v3, 0x7fff
                                        ; implicit-def: $vgpr2
; %bb.2:
	s_and_not1_saveexec_b32 s2, s2
; %bb.3:
	v_and_b32_e32 v3, 0xffff, v2
	v_or_b32_e32 v6, 0x10000, v2
	s_delay_alu instid0(VALU_DEP_2) | instskip(NEXT) | instid1(VALU_DEP_2)
	v_cmp_eq_u32_e32 vcc_lo, 0, v3
	v_cndmask_b32_e32 v6, v6, v2, vcc_lo
; %bb.4:
	s_or_b32 exec_lo, exec_lo, s2
	v_mbcnt_lo_u32_b32 v2, -1, 0
	s_delay_alu instid0(VALU_DEP_2) | instskip(SKIP_1) | instid1(VALU_DEP_3)
	v_and_b32_e32 v7, 0xffff0000, v6
	v_lshrrev_b32_e32 v6, 16, v6
	v_and_b32_e32 v3, 15, v2
	s_delay_alu instid0(VALU_DEP_1) | instskip(NEXT) | instid1(VALU_DEP_3)
	v_cmp_eq_u32_e32 vcc_lo, 0, v3
	v_cndmask_b32_e32 v4, v6, v4, vcc_lo
	s_delay_alu instid0(VALU_DEP_1) | instskip(NEXT) | instid1(VALU_DEP_1)
	v_mov_b32_dpp v6, v4 row_shr:2 row_mask:0xf bank_mask:0xf
	v_dual_cndmask_b32 v5, v7, v5 :: v_dual_lshlrev_b32 v6, 16, v6
	s_delay_alu instid0(VALU_DEP_1) | instskip(NEXT) | instid1(VALU_DEP_1)
	v_add_f32_e32 v6, v5, v6
	v_and_b32_e32 v7, 0x7f800000, v6
	s_delay_alu instid0(VALU_DEP_1) | instskip(SKIP_1) | instid1(SALU_CYCLE_1)
	v_cmp_ne_u32_e32 vcc_lo, 0x7f800000, v7
                                        ; implicit-def: $vgpr7
	s_and_saveexec_b32 s2, vcc_lo
	s_xor_b32 s2, exec_lo, s2
; %bb.5:
	v_bfe_u32 v7, v6, 16, 1
	s_delay_alu instid0(VALU_DEP_1)
	v_add3_u32 v7, v6, v7, 0x7fff
                                        ; implicit-def: $vgpr6
; %bb.6:
	s_and_not1_saveexec_b32 s2, s2
; %bb.7:
	v_and_b32_e32 v7, 0xffff, v6
	v_or_b32_e32 v8, 0x10000, v6
	s_delay_alu instid0(VALU_DEP_2) | instskip(NEXT) | instid1(VALU_DEP_2)
	v_cmp_eq_u32_e32 vcc_lo, 0, v7
	v_cndmask_b32_e32 v7, v8, v6, vcc_lo
; %bb.8:
	s_or_b32 exec_lo, exec_lo, s2
	s_delay_alu instid0(VALU_DEP_1) | instskip(SKIP_2) | instid1(VALU_DEP_2)
	v_and_b32_e32 v6, 0xffff0000, v7
	v_lshrrev_b32_e32 v7, 16, v7
	v_cmp_lt_u32_e32 vcc_lo, 1, v3
	v_dual_cndmask_b32 v5, v5, v6 :: v_dual_cndmask_b32 v4, v4, v7
	s_delay_alu instid0(VALU_DEP_1) | instskip(NEXT) | instid1(VALU_DEP_1)
	v_mov_b32_dpp v6, v4 row_shr:4 row_mask:0xf bank_mask:0xf
	v_lshlrev_b32_e32 v6, 16, v6
	s_delay_alu instid0(VALU_DEP_1) | instskip(NEXT) | instid1(VALU_DEP_1)
	v_add_f32_e32 v6, v5, v6
	v_and_b32_e32 v7, 0x7f800000, v6
	s_delay_alu instid0(VALU_DEP_1) | instskip(SKIP_1) | instid1(SALU_CYCLE_1)
	v_cmp_ne_u32_e32 vcc_lo, 0x7f800000, v7
                                        ; implicit-def: $vgpr7
	s_and_saveexec_b32 s2, vcc_lo
	s_xor_b32 s2, exec_lo, s2
; %bb.9:
	v_bfe_u32 v7, v6, 16, 1
	s_delay_alu instid0(VALU_DEP_1)
	v_add3_u32 v7, v6, v7, 0x7fff
                                        ; implicit-def: $vgpr6
; %bb.10:
	s_and_not1_saveexec_b32 s2, s2
; %bb.11:
	v_and_b32_e32 v7, 0xffff, v6
	v_or_b32_e32 v8, 0x10000, v6
	s_delay_alu instid0(VALU_DEP_2) | instskip(NEXT) | instid1(VALU_DEP_2)
	v_cmp_eq_u32_e32 vcc_lo, 0, v7
	v_cndmask_b32_e32 v7, v8, v6, vcc_lo
; %bb.12:
	s_or_b32 exec_lo, exec_lo, s2
	s_delay_alu instid0(VALU_DEP_1) | instskip(SKIP_2) | instid1(VALU_DEP_2)
	v_and_b32_e32 v6, 0xffff0000, v7
	v_lshrrev_b32_e32 v7, 16, v7
	v_cmp_lt_u32_e32 vcc_lo, 3, v3
	v_dual_cndmask_b32 v5, v5, v6 :: v_dual_cndmask_b32 v4, v4, v7
	s_delay_alu instid0(VALU_DEP_1) | instskip(NEXT) | instid1(VALU_DEP_1)
	v_mov_b32_dpp v6, v4 row_shr:8 row_mask:0xf bank_mask:0xf
	v_lshlrev_b32_e32 v6, 16, v6
	s_delay_alu instid0(VALU_DEP_1) | instskip(NEXT) | instid1(VALU_DEP_1)
	v_add_f32_e32 v6, v5, v6
	v_and_b32_e32 v7, 0x7f800000, v6
	s_delay_alu instid0(VALU_DEP_1) | instskip(SKIP_1) | instid1(SALU_CYCLE_1)
	v_cmp_ne_u32_e32 vcc_lo, 0x7f800000, v7
                                        ; implicit-def: $vgpr7
	s_and_saveexec_b32 s2, vcc_lo
	s_xor_b32 s2, exec_lo, s2
; %bb.13:
	v_bfe_u32 v7, v6, 16, 1
	s_delay_alu instid0(VALU_DEP_1)
	v_add3_u32 v7, v6, v7, 0x7fff
                                        ; implicit-def: $vgpr6
; %bb.14:
	s_and_not1_saveexec_b32 s2, s2
; %bb.15:
	v_and_b32_e32 v7, 0xffff, v6
	v_or_b32_e32 v8, 0x10000, v6
	s_delay_alu instid0(VALU_DEP_2) | instskip(NEXT) | instid1(VALU_DEP_2)
	v_cmp_eq_u32_e32 vcc_lo, 0, v7
	v_cndmask_b32_e32 v7, v8, v6, vcc_lo
; %bb.16:
	s_or_b32 exec_lo, exec_lo, s2
	s_delay_alu instid0(VALU_DEP_1) | instskip(SKIP_2) | instid1(VALU_DEP_2)
	v_and_b32_e32 v6, 0xffff0000, v7
	v_lshrrev_b32_e32 v7, 16, v7
	v_cmp_lt_u32_e32 vcc_lo, 7, v3
	v_cndmask_b32_e32 v3, v4, v7, vcc_lo
	ds_swizzle_b32 v4, v3 offset:swizzle(BROADCAST,32,15)
	s_waitcnt lgkmcnt(0)
	v_dual_cndmask_b32 v5, v5, v6 :: v_dual_lshlrev_b32 v4, 16, v4
	s_delay_alu instid0(VALU_DEP_1) | instskip(NEXT) | instid1(VALU_DEP_1)
	v_add_f32_e32 v4, v5, v4
	v_and_b32_e32 v5, 0x7f800000, v4
	s_delay_alu instid0(VALU_DEP_1) | instskip(SKIP_1) | instid1(SALU_CYCLE_1)
	v_cmp_ne_u32_e32 vcc_lo, 0x7f800000, v5
                                        ; implicit-def: $vgpr5
	s_and_saveexec_b32 s2, vcc_lo
	s_xor_b32 s2, exec_lo, s2
; %bb.17:
	v_bfe_u32 v5, v4, 16, 1
	s_delay_alu instid0(VALU_DEP_1)
	v_add3_u32 v5, v4, v5, 0x7fff
                                        ; implicit-def: $vgpr4
; %bb.18:
	s_and_not1_saveexec_b32 s2, s2
; %bb.19:
	v_and_b32_e32 v5, 0xffff, v4
	v_or_b32_e32 v6, 0x10000, v4
	s_delay_alu instid0(VALU_DEP_2) | instskip(NEXT) | instid1(VALU_DEP_2)
	v_cmp_eq_u32_e32 vcc_lo, 0, v5
	v_cndmask_b32_e32 v5, v6, v4, vcc_lo
; %bb.20:
	s_or_b32 exec_lo, exec_lo, s2
	s_load_b32 s0, s[0:1], 0x10
	s_delay_alu instid0(VALU_DEP_1) | instskip(SKIP_1) | instid1(VALU_DEP_1)
	v_lshrrev_b32_e32 v5, 16, v5
	v_and_b32_e32 v4, 16, v2
	v_cmp_eq_u32_e32 vcc_lo, 0, v4
	s_delay_alu instid0(VALU_DEP_3) | instskip(NEXT) | instid1(VALU_DEP_1)
	v_cndmask_b32_e32 v3, v5, v3, vcc_lo
	v_lshlrev_b32_e32 v3, 16, v3
	s_waitcnt lgkmcnt(0)
	s_lshl_b32 s1, s0, 16
	s_delay_alu instid0(VALU_DEP_1) | instid1(SALU_CYCLE_1)
	v_add_f32_e32 v4, s1, v3
	s_delay_alu instid0(VALU_DEP_1) | instskip(NEXT) | instid1(VALU_DEP_1)
	v_and_b32_e32 v3, 0x7f800000, v4
	v_cmp_ne_u32_e32 vcc_lo, 0x7f800000, v3
                                        ; implicit-def: $vgpr3
	s_and_saveexec_b32 s1, vcc_lo
	s_delay_alu instid0(SALU_CYCLE_1)
	s_xor_b32 s1, exec_lo, s1
; %bb.21:
	v_bfe_u32 v3, v4, 16, 1
	s_delay_alu instid0(VALU_DEP_1)
	v_add3_u32 v3, v4, v3, 0x7fff
                                        ; implicit-def: $vgpr4
; %bb.22:
	s_and_not1_saveexec_b32 s1, s1
; %bb.23:
	v_and_b32_e32 v3, 0xffff, v4
	v_or_b32_e32 v5, 0x10000, v4
	s_delay_alu instid0(VALU_DEP_2) | instskip(NEXT) | instid1(VALU_DEP_2)
	v_cmp_eq_u32_e32 vcc_lo, 0, v3
	v_cndmask_b32_e32 v3, v5, v4, vcc_lo
; %bb.24:
	s_or_b32 exec_lo, exec_lo, s1
	v_add_nc_u32_e32 v4, -1, v2
	s_delay_alu instid0(VALU_DEP_2) | instskip(NEXT) | instid1(VALU_DEP_2)
	v_lshrrev_b32_e32 v3, 16, v3
	v_cmp_gt_i32_e32 vcc_lo, 0, v4
	v_cndmask_b32_e32 v4, v4, v2, vcc_lo
	v_cmp_eq_u32_e32 vcc_lo, 0, v2
	s_delay_alu instid0(VALU_DEP_2)
	v_lshlrev_b32_e32 v4, 2, v4
	ds_bpermute_b32 v3, v4, v3
	s_waitcnt lgkmcnt(0)
	v_cndmask_b32_e64 v2, v3, s0, vcc_lo
	v_add_co_u32 v0, vcc_lo, s6, v0
	v_add_co_ci_u32_e32 v1, vcc_lo, s7, v1, vcc_lo
	global_store_b16 v[0:1], v2, off
	s_nop 0
	s_sendmsg sendmsg(MSG_DEALLOC_VGPRS)
	s_endpgm
	.section	.rodata,"a",@progbits
	.p2align	6, 0x0
	.amdhsa_kernel _Z26warp_exclusive_scan_kernelI12hip_bfloat16Lj128ELj32EENSt9enable_ifIXsr10test_utilsE35device_test_enabled_for_warp_size_vIXT1_EEEvE4typeEPT_S5_S4_
		.amdhsa_group_segment_fixed_size 0
		.amdhsa_private_segment_fixed_size 0
		.amdhsa_kernarg_size 280
		.amdhsa_user_sgpr_count 15
		.amdhsa_user_sgpr_dispatch_ptr 0
		.amdhsa_user_sgpr_queue_ptr 0
		.amdhsa_user_sgpr_kernarg_segment_ptr 1
		.amdhsa_user_sgpr_dispatch_id 0
		.amdhsa_user_sgpr_private_segment_size 0
		.amdhsa_wavefront_size32 1
		.amdhsa_uses_dynamic_stack 0
		.amdhsa_enable_private_segment 0
		.amdhsa_system_sgpr_workgroup_id_x 1
		.amdhsa_system_sgpr_workgroup_id_y 0
		.amdhsa_system_sgpr_workgroup_id_z 0
		.amdhsa_system_sgpr_workgroup_info 0
		.amdhsa_system_vgpr_workitem_id 0
		.amdhsa_next_free_vgpr 9
		.amdhsa_next_free_sgpr 16
		.amdhsa_reserve_vcc 1
		.amdhsa_float_round_mode_32 0
		.amdhsa_float_round_mode_16_64 0
		.amdhsa_float_denorm_mode_32 3
		.amdhsa_float_denorm_mode_16_64 3
		.amdhsa_dx10_clamp 1
		.amdhsa_ieee_mode 1
		.amdhsa_fp16_overflow 0
		.amdhsa_workgroup_processor_mode 1
		.amdhsa_memory_ordered 1
		.amdhsa_forward_progress 0
		.amdhsa_shared_vgpr_count 0
		.amdhsa_exception_fp_ieee_invalid_op 0
		.amdhsa_exception_fp_denorm_src 0
		.amdhsa_exception_fp_ieee_div_zero 0
		.amdhsa_exception_fp_ieee_overflow 0
		.amdhsa_exception_fp_ieee_underflow 0
		.amdhsa_exception_fp_ieee_inexact 0
		.amdhsa_exception_int_div_zero 0
	.end_amdhsa_kernel
	.section	.text._Z26warp_exclusive_scan_kernelI12hip_bfloat16Lj128ELj32EENSt9enable_ifIXsr10test_utilsE35device_test_enabled_for_warp_size_vIXT1_EEEvE4typeEPT_S5_S4_,"axG",@progbits,_Z26warp_exclusive_scan_kernelI12hip_bfloat16Lj128ELj32EENSt9enable_ifIXsr10test_utilsE35device_test_enabled_for_warp_size_vIXT1_EEEvE4typeEPT_S5_S4_,comdat
.Lfunc_end133:
	.size	_Z26warp_exclusive_scan_kernelI12hip_bfloat16Lj128ELj32EENSt9enable_ifIXsr10test_utilsE35device_test_enabled_for_warp_size_vIXT1_EEEvE4typeEPT_S5_S4_, .Lfunc_end133-_Z26warp_exclusive_scan_kernelI12hip_bfloat16Lj128ELj32EENSt9enable_ifIXsr10test_utilsE35device_test_enabled_for_warp_size_vIXT1_EEEvE4typeEPT_S5_S4_
                                        ; -- End function
	.section	.AMDGPU.csdata,"",@progbits
; Kernel info:
; codeLenInByte = 1000
; NumSgprs: 18
; NumVgprs: 9
; ScratchSize: 0
; MemoryBound: 0
; FloatMode: 240
; IeeeMode: 1
; LDSByteSize: 0 bytes/workgroup (compile time only)
; SGPRBlocks: 2
; VGPRBlocks: 1
; NumSGPRsForWavesPerEU: 18
; NumVGPRsForWavesPerEU: 9
; Occupancy: 16
; WaveLimiterHint : 0
; COMPUTE_PGM_RSRC2:SCRATCH_EN: 0
; COMPUTE_PGM_RSRC2:USER_SGPR: 15
; COMPUTE_PGM_RSRC2:TRAP_HANDLER: 0
; COMPUTE_PGM_RSRC2:TGID_X_EN: 1
; COMPUTE_PGM_RSRC2:TGID_Y_EN: 0
; COMPUTE_PGM_RSRC2:TGID_Z_EN: 0
; COMPUTE_PGM_RSRC2:TIDIG_COMP_CNT: 0
	.section	.text._Z26warp_exclusive_scan_kernelI12hip_bfloat16Lj64ELj16EENSt9enable_ifIXsr10test_utilsE35device_test_enabled_for_warp_size_vIXT1_EEEvE4typeEPT_S5_S4_,"axG",@progbits,_Z26warp_exclusive_scan_kernelI12hip_bfloat16Lj64ELj16EENSt9enable_ifIXsr10test_utilsE35device_test_enabled_for_warp_size_vIXT1_EEEvE4typeEPT_S5_S4_,comdat
	.protected	_Z26warp_exclusive_scan_kernelI12hip_bfloat16Lj64ELj16EENSt9enable_ifIXsr10test_utilsE35device_test_enabled_for_warp_size_vIXT1_EEEvE4typeEPT_S5_S4_ ; -- Begin function _Z26warp_exclusive_scan_kernelI12hip_bfloat16Lj64ELj16EENSt9enable_ifIXsr10test_utilsE35device_test_enabled_for_warp_size_vIXT1_EEEvE4typeEPT_S5_S4_
	.globl	_Z26warp_exclusive_scan_kernelI12hip_bfloat16Lj64ELj16EENSt9enable_ifIXsr10test_utilsE35device_test_enabled_for_warp_size_vIXT1_EEEvE4typeEPT_S5_S4_
	.p2align	8
	.type	_Z26warp_exclusive_scan_kernelI12hip_bfloat16Lj64ELj16EENSt9enable_ifIXsr10test_utilsE35device_test_enabled_for_warp_size_vIXT1_EEEvE4typeEPT_S5_S4_,@function
_Z26warp_exclusive_scan_kernelI12hip_bfloat16Lj64ELj16EENSt9enable_ifIXsr10test_utilsE35device_test_enabled_for_warp_size_vIXT1_EEEvE4typeEPT_S5_S4_: ; @_Z26warp_exclusive_scan_kernelI12hip_bfloat16Lj64ELj16EENSt9enable_ifIXsr10test_utilsE35device_test_enabled_for_warp_size_vIXT1_EEEvE4typeEPT_S5_S4_
; %bb.0:
	s_clause 0x1
	s_load_b32 s2, s[0:1], 0x24
	s_load_b128 s[4:7], s[0:1], 0x0
                                        ; implicit-def: $vgpr6
	s_waitcnt lgkmcnt(0)
	s_and_b32 s2, s2, 0xffff
	s_delay_alu instid0(SALU_CYCLE_1) | instskip(SKIP_2) | instid1(VALU_DEP_1)
	v_mad_u64_u32 v[1:2], null, s15, s2, v[0:1]
	v_mov_b32_e32 v2, 0
	s_mov_b32 s2, exec_lo
	v_lshlrev_b64 v[0:1], 1, v[1:2]
	s_delay_alu instid0(VALU_DEP_1) | instskip(NEXT) | instid1(VALU_DEP_2)
	v_add_co_u32 v2, vcc_lo, s4, v0
	v_add_co_ci_u32_e32 v3, vcc_lo, s5, v1, vcc_lo
	global_load_u16 v4, v[2:3], off
	s_waitcnt vmcnt(0)
	v_lshlrev_b32_e32 v5, 16, v4
	v_mov_b32_dpp v2, v4 row_shr:1 row_mask:0xf bank_mask:0xf
	s_delay_alu instid0(VALU_DEP_1) | instskip(NEXT) | instid1(VALU_DEP_1)
	v_lshlrev_b32_e32 v2, 16, v2
	v_add_f32_e32 v2, v5, v2
	s_delay_alu instid0(VALU_DEP_1) | instskip(NEXT) | instid1(VALU_DEP_1)
	v_and_b32_e32 v3, 0x7f800000, v2
	v_cmpx_ne_u32_e32 0x7f800000, v3
	s_xor_b32 s2, exec_lo, s2
; %bb.1:
	v_bfe_u32 v3, v2, 16, 1
	s_delay_alu instid0(VALU_DEP_1)
	v_add3_u32 v6, v2, v3, 0x7fff
                                        ; implicit-def: $vgpr2
; %bb.2:
	s_and_not1_saveexec_b32 s2, s2
; %bb.3:
	v_and_b32_e32 v3, 0xffff, v2
	v_or_b32_e32 v6, 0x10000, v2
	s_delay_alu instid0(VALU_DEP_2) | instskip(NEXT) | instid1(VALU_DEP_2)
	v_cmp_eq_u32_e32 vcc_lo, 0, v3
	v_cndmask_b32_e32 v6, v6, v2, vcc_lo
; %bb.4:
	s_or_b32 exec_lo, exec_lo, s2
	v_mbcnt_lo_u32_b32 v2, -1, 0
	s_delay_alu instid0(VALU_DEP_2) | instskip(SKIP_1) | instid1(VALU_DEP_3)
	v_and_b32_e32 v7, 0xffff0000, v6
	v_lshrrev_b32_e32 v6, 16, v6
	v_and_b32_e32 v3, 15, v2
	s_delay_alu instid0(VALU_DEP_1) | instskip(NEXT) | instid1(VALU_DEP_3)
	v_cmp_eq_u32_e32 vcc_lo, 0, v3
	v_cndmask_b32_e32 v4, v6, v4, vcc_lo
	s_delay_alu instid0(VALU_DEP_1) | instskip(NEXT) | instid1(VALU_DEP_1)
	v_mov_b32_dpp v6, v4 row_shr:2 row_mask:0xf bank_mask:0xf
	v_dual_cndmask_b32 v5, v7, v5 :: v_dual_lshlrev_b32 v6, 16, v6
	s_delay_alu instid0(VALU_DEP_1) | instskip(NEXT) | instid1(VALU_DEP_1)
	v_add_f32_e32 v6, v5, v6
	v_and_b32_e32 v7, 0x7f800000, v6
	s_delay_alu instid0(VALU_DEP_1) | instskip(NEXT) | instid1(VALU_DEP_1)
	v_cmp_ne_u32_e64 s2, 0x7f800000, v7
                                        ; implicit-def: $vgpr7
	s_and_saveexec_b32 s3, s2
	s_delay_alu instid0(SALU_CYCLE_1)
	s_xor_b32 s2, exec_lo, s3
; %bb.5:
	v_bfe_u32 v7, v6, 16, 1
	s_delay_alu instid0(VALU_DEP_1)
	v_add3_u32 v7, v6, v7, 0x7fff
                                        ; implicit-def: $vgpr6
; %bb.6:
	s_and_not1_saveexec_b32 s3, s2
; %bb.7:
	v_and_b32_e32 v7, 0xffff, v6
	v_or_b32_e32 v8, 0x10000, v6
	s_delay_alu instid0(VALU_DEP_2) | instskip(NEXT) | instid1(VALU_DEP_1)
	v_cmp_eq_u32_e64 s2, 0, v7
	v_cndmask_b32_e64 v7, v8, v6, s2
; %bb.8:
	s_or_b32 exec_lo, exec_lo, s3
	s_delay_alu instid0(VALU_DEP_1) | instskip(SKIP_2) | instid1(VALU_DEP_1)
	v_and_b32_e32 v6, 0xffff0000, v7
	v_lshrrev_b32_e32 v7, 16, v7
	v_cmp_lt_u32_e64 s2, 1, v3
	v_cndmask_b32_e64 v4, v4, v7, s2
	s_delay_alu instid0(VALU_DEP_4) | instskip(NEXT) | instid1(VALU_DEP_2)
	v_cndmask_b32_e64 v5, v5, v6, s2
	v_mov_b32_dpp v6, v4 row_shr:4 row_mask:0xf bank_mask:0xf
	s_delay_alu instid0(VALU_DEP_1) | instskip(NEXT) | instid1(VALU_DEP_1)
	v_lshlrev_b32_e32 v6, 16, v6
	v_add_f32_e32 v6, v5, v6
	s_delay_alu instid0(VALU_DEP_1) | instskip(NEXT) | instid1(VALU_DEP_1)
	v_and_b32_e32 v7, 0x7f800000, v6
	v_cmp_ne_u32_e64 s2, 0x7f800000, v7
                                        ; implicit-def: $vgpr7
	s_delay_alu instid0(VALU_DEP_1) | instskip(NEXT) | instid1(SALU_CYCLE_1)
	s_and_saveexec_b32 s3, s2
	s_xor_b32 s2, exec_lo, s3
; %bb.9:
	v_bfe_u32 v7, v6, 16, 1
	s_delay_alu instid0(VALU_DEP_1)
	v_add3_u32 v7, v6, v7, 0x7fff
                                        ; implicit-def: $vgpr6
; %bb.10:
	s_and_not1_saveexec_b32 s3, s2
; %bb.11:
	v_and_b32_e32 v7, 0xffff, v6
	v_or_b32_e32 v8, 0x10000, v6
	s_delay_alu instid0(VALU_DEP_2) | instskip(NEXT) | instid1(VALU_DEP_1)
	v_cmp_eq_u32_e64 s2, 0, v7
	v_cndmask_b32_e64 v7, v8, v6, s2
; %bb.12:
	s_or_b32 exec_lo, exec_lo, s3
	s_delay_alu instid0(VALU_DEP_1) | instskip(SKIP_2) | instid1(VALU_DEP_1)
	v_and_b32_e32 v6, 0xffff0000, v7
	v_lshrrev_b32_e32 v7, 16, v7
	v_cmp_lt_u32_e64 s2, 3, v3
	v_cndmask_b32_e64 v4, v4, v7, s2
	s_delay_alu instid0(VALU_DEP_4) | instskip(NEXT) | instid1(VALU_DEP_2)
	v_cndmask_b32_e64 v5, v5, v6, s2
	v_mov_b32_dpp v6, v4 row_shr:8 row_mask:0xf bank_mask:0xf
	s_delay_alu instid0(VALU_DEP_1) | instskip(NEXT) | instid1(VALU_DEP_1)
	v_lshlrev_b32_e32 v6, 16, v6
	v_add_f32_e32 v5, v5, v6
	s_delay_alu instid0(VALU_DEP_1) | instskip(NEXT) | instid1(VALU_DEP_1)
	v_and_b32_e32 v6, 0x7f800000, v5
	v_cmp_ne_u32_e64 s2, 0x7f800000, v6
                                        ; implicit-def: $vgpr6
	s_delay_alu instid0(VALU_DEP_1) | instskip(NEXT) | instid1(SALU_CYCLE_1)
	s_and_saveexec_b32 s3, s2
	s_xor_b32 s2, exec_lo, s3
; %bb.13:
	v_bfe_u32 v6, v5, 16, 1
	s_delay_alu instid0(VALU_DEP_1)
	v_add3_u32 v6, v5, v6, 0x7fff
                                        ; implicit-def: $vgpr5
; %bb.14:
	s_and_not1_saveexec_b32 s3, s2
; %bb.15:
	v_and_b32_e32 v6, 0xffff, v5
	v_or_b32_e32 v7, 0x10000, v5
	s_delay_alu instid0(VALU_DEP_2) | instskip(NEXT) | instid1(VALU_DEP_1)
	v_cmp_eq_u32_e64 s2, 0, v6
	v_cndmask_b32_e64 v6, v7, v5, s2
; %bb.16:
	s_or_b32 exec_lo, exec_lo, s3
	s_load_b32 s1, s[0:1], 0x10
	s_delay_alu instid0(VALU_DEP_1) | instskip(SKIP_1) | instid1(VALU_DEP_1)
	v_lshrrev_b32_e32 v5, 16, v6
	v_cmp_lt_u32_e64 s0, 7, v3
	v_cndmask_b32_e64 v3, v4, v5, s0
	s_delay_alu instid0(VALU_DEP_1)
	v_lshlrev_b32_e32 v3, 16, v3
	s_waitcnt lgkmcnt(0)
	s_lshl_b32 s0, s1, 16
	s_delay_alu instid0(VALU_DEP_1) | instid1(SALU_CYCLE_1)
	v_add_f32_e32 v4, s0, v3
	s_delay_alu instid0(VALU_DEP_1) | instskip(NEXT) | instid1(VALU_DEP_1)
	v_and_b32_e32 v3, 0x7f800000, v4
	v_cmp_ne_u32_e64 s0, 0x7f800000, v3
                                        ; implicit-def: $vgpr3
	s_delay_alu instid0(VALU_DEP_1) | instskip(NEXT) | instid1(SALU_CYCLE_1)
	s_and_saveexec_b32 s2, s0
	s_xor_b32 s0, exec_lo, s2
; %bb.17:
	v_bfe_u32 v3, v4, 16, 1
	s_delay_alu instid0(VALU_DEP_1)
	v_add3_u32 v3, v4, v3, 0x7fff
                                        ; implicit-def: $vgpr4
; %bb.18:
	s_and_not1_saveexec_b32 s2, s0
; %bb.19:
	v_and_b32_e32 v3, 0xffff, v4
	v_or_b32_e32 v5, 0x10000, v4
	s_delay_alu instid0(VALU_DEP_2) | instskip(NEXT) | instid1(VALU_DEP_1)
	v_cmp_eq_u32_e64 s0, 0, v3
	v_cndmask_b32_e64 v3, v5, v4, s0
; %bb.20:
	s_or_b32 exec_lo, exec_lo, s2
	v_add_nc_u32_e32 v4, -1, v2
	v_and_b32_e32 v5, 16, v2
	s_delay_alu instid0(VALU_DEP_3) | instskip(NEXT) | instid1(VALU_DEP_2)
	v_lshrrev_b32_e32 v3, 16, v3
	v_cmp_lt_i32_e64 s0, v4, v5
	s_delay_alu instid0(VALU_DEP_1) | instskip(NEXT) | instid1(VALU_DEP_1)
	v_cndmask_b32_e64 v2, v4, v2, s0
	v_lshlrev_b32_e32 v2, 2, v2
	ds_bpermute_b32 v2, v2, v3
	s_waitcnt lgkmcnt(0)
	v_cndmask_b32_e64 v2, v2, s1, vcc_lo
	v_add_co_u32 v0, vcc_lo, s6, v0
	v_add_co_ci_u32_e32 v1, vcc_lo, s7, v1, vcc_lo
	global_store_b16 v[0:1], v2, off
	s_nop 0
	s_sendmsg sendmsg(MSG_DEALLOC_VGPRS)
	s_endpgm
	.section	.rodata,"a",@progbits
	.p2align	6, 0x0
	.amdhsa_kernel _Z26warp_exclusive_scan_kernelI12hip_bfloat16Lj64ELj16EENSt9enable_ifIXsr10test_utilsE35device_test_enabled_for_warp_size_vIXT1_EEEvE4typeEPT_S5_S4_
		.amdhsa_group_segment_fixed_size 0
		.amdhsa_private_segment_fixed_size 0
		.amdhsa_kernarg_size 280
		.amdhsa_user_sgpr_count 15
		.amdhsa_user_sgpr_dispatch_ptr 0
		.amdhsa_user_sgpr_queue_ptr 0
		.amdhsa_user_sgpr_kernarg_segment_ptr 1
		.amdhsa_user_sgpr_dispatch_id 0
		.amdhsa_user_sgpr_private_segment_size 0
		.amdhsa_wavefront_size32 1
		.amdhsa_uses_dynamic_stack 0
		.amdhsa_enable_private_segment 0
		.amdhsa_system_sgpr_workgroup_id_x 1
		.amdhsa_system_sgpr_workgroup_id_y 0
		.amdhsa_system_sgpr_workgroup_id_z 0
		.amdhsa_system_sgpr_workgroup_info 0
		.amdhsa_system_vgpr_workitem_id 0
		.amdhsa_next_free_vgpr 9
		.amdhsa_next_free_sgpr 16
		.amdhsa_reserve_vcc 1
		.amdhsa_float_round_mode_32 0
		.amdhsa_float_round_mode_16_64 0
		.amdhsa_float_denorm_mode_32 3
		.amdhsa_float_denorm_mode_16_64 3
		.amdhsa_dx10_clamp 1
		.amdhsa_ieee_mode 1
		.amdhsa_fp16_overflow 0
		.amdhsa_workgroup_processor_mode 1
		.amdhsa_memory_ordered 1
		.amdhsa_forward_progress 0
		.amdhsa_shared_vgpr_count 0
		.amdhsa_exception_fp_ieee_invalid_op 0
		.amdhsa_exception_fp_denorm_src 0
		.amdhsa_exception_fp_ieee_div_zero 0
		.amdhsa_exception_fp_ieee_overflow 0
		.amdhsa_exception_fp_ieee_underflow 0
		.amdhsa_exception_fp_ieee_inexact 0
		.amdhsa_exception_int_div_zero 0
	.end_amdhsa_kernel
	.section	.text._Z26warp_exclusive_scan_kernelI12hip_bfloat16Lj64ELj16EENSt9enable_ifIXsr10test_utilsE35device_test_enabled_for_warp_size_vIXT1_EEEvE4typeEPT_S5_S4_,"axG",@progbits,_Z26warp_exclusive_scan_kernelI12hip_bfloat16Lj64ELj16EENSt9enable_ifIXsr10test_utilsE35device_test_enabled_for_warp_size_vIXT1_EEEvE4typeEPT_S5_S4_,comdat
.Lfunc_end134:
	.size	_Z26warp_exclusive_scan_kernelI12hip_bfloat16Lj64ELj16EENSt9enable_ifIXsr10test_utilsE35device_test_enabled_for_warp_size_vIXT1_EEEvE4typeEPT_S5_S4_, .Lfunc_end134-_Z26warp_exclusive_scan_kernelI12hip_bfloat16Lj64ELj16EENSt9enable_ifIXsr10test_utilsE35device_test_enabled_for_warp_size_vIXT1_EEEvE4typeEPT_S5_S4_
                                        ; -- End function
	.section	.AMDGPU.csdata,"",@progbits
; Kernel info:
; codeLenInByte = 956
; NumSgprs: 18
; NumVgprs: 9
; ScratchSize: 0
; MemoryBound: 0
; FloatMode: 240
; IeeeMode: 1
; LDSByteSize: 0 bytes/workgroup (compile time only)
; SGPRBlocks: 2
; VGPRBlocks: 1
; NumSGPRsForWavesPerEU: 18
; NumVGPRsForWavesPerEU: 9
; Occupancy: 16
; WaveLimiterHint : 0
; COMPUTE_PGM_RSRC2:SCRATCH_EN: 0
; COMPUTE_PGM_RSRC2:USER_SGPR: 15
; COMPUTE_PGM_RSRC2:TRAP_HANDLER: 0
; COMPUTE_PGM_RSRC2:TGID_X_EN: 1
; COMPUTE_PGM_RSRC2:TGID_Y_EN: 0
; COMPUTE_PGM_RSRC2:TGID_Z_EN: 0
; COMPUTE_PGM_RSRC2:TIDIG_COMP_CNT: 0
	.section	.text._Z26warp_exclusive_scan_kernelI12hip_bfloat16Lj32ELj8EENSt9enable_ifIXsr10test_utilsE35device_test_enabled_for_warp_size_vIXT1_EEEvE4typeEPT_S5_S4_,"axG",@progbits,_Z26warp_exclusive_scan_kernelI12hip_bfloat16Lj32ELj8EENSt9enable_ifIXsr10test_utilsE35device_test_enabled_for_warp_size_vIXT1_EEEvE4typeEPT_S5_S4_,comdat
	.protected	_Z26warp_exclusive_scan_kernelI12hip_bfloat16Lj32ELj8EENSt9enable_ifIXsr10test_utilsE35device_test_enabled_for_warp_size_vIXT1_EEEvE4typeEPT_S5_S4_ ; -- Begin function _Z26warp_exclusive_scan_kernelI12hip_bfloat16Lj32ELj8EENSt9enable_ifIXsr10test_utilsE35device_test_enabled_for_warp_size_vIXT1_EEEvE4typeEPT_S5_S4_
	.globl	_Z26warp_exclusive_scan_kernelI12hip_bfloat16Lj32ELj8EENSt9enable_ifIXsr10test_utilsE35device_test_enabled_for_warp_size_vIXT1_EEEvE4typeEPT_S5_S4_
	.p2align	8
	.type	_Z26warp_exclusive_scan_kernelI12hip_bfloat16Lj32ELj8EENSt9enable_ifIXsr10test_utilsE35device_test_enabled_for_warp_size_vIXT1_EEEvE4typeEPT_S5_S4_,@function
_Z26warp_exclusive_scan_kernelI12hip_bfloat16Lj32ELj8EENSt9enable_ifIXsr10test_utilsE35device_test_enabled_for_warp_size_vIXT1_EEEvE4typeEPT_S5_S4_: ; @_Z26warp_exclusive_scan_kernelI12hip_bfloat16Lj32ELj8EENSt9enable_ifIXsr10test_utilsE35device_test_enabled_for_warp_size_vIXT1_EEEvE4typeEPT_S5_S4_
; %bb.0:
	s_clause 0x1
	s_load_b32 s2, s[0:1], 0x24
	s_load_b128 s[4:7], s[0:1], 0x0
                                        ; implicit-def: $vgpr6
	s_waitcnt lgkmcnt(0)
	s_and_b32 s2, s2, 0xffff
	s_delay_alu instid0(SALU_CYCLE_1) | instskip(SKIP_2) | instid1(VALU_DEP_1)
	v_mad_u64_u32 v[1:2], null, s15, s2, v[0:1]
	v_mov_b32_e32 v2, 0
	s_mov_b32 s2, exec_lo
	v_lshlrev_b64 v[0:1], 1, v[1:2]
	s_delay_alu instid0(VALU_DEP_1) | instskip(NEXT) | instid1(VALU_DEP_2)
	v_add_co_u32 v2, vcc_lo, s4, v0
	v_add_co_ci_u32_e32 v3, vcc_lo, s5, v1, vcc_lo
	global_load_u16 v4, v[2:3], off
	s_waitcnt vmcnt(0)
	v_lshlrev_b32_e32 v5, 16, v4
	v_mov_b32_dpp v2, v4 row_shr:1 row_mask:0xf bank_mask:0xf
	s_delay_alu instid0(VALU_DEP_1) | instskip(NEXT) | instid1(VALU_DEP_1)
	v_lshlrev_b32_e32 v2, 16, v2
	v_add_f32_e32 v2, v5, v2
	s_delay_alu instid0(VALU_DEP_1) | instskip(NEXT) | instid1(VALU_DEP_1)
	v_and_b32_e32 v3, 0x7f800000, v2
	v_cmpx_ne_u32_e32 0x7f800000, v3
	s_xor_b32 s2, exec_lo, s2
; %bb.1:
	v_bfe_u32 v3, v2, 16, 1
	s_delay_alu instid0(VALU_DEP_1)
	v_add3_u32 v6, v2, v3, 0x7fff
                                        ; implicit-def: $vgpr2
; %bb.2:
	s_and_not1_saveexec_b32 s2, s2
; %bb.3:
	v_and_b32_e32 v3, 0xffff, v2
	v_or_b32_e32 v6, 0x10000, v2
	s_delay_alu instid0(VALU_DEP_2) | instskip(NEXT) | instid1(VALU_DEP_2)
	v_cmp_eq_u32_e32 vcc_lo, 0, v3
	v_cndmask_b32_e32 v6, v6, v2, vcc_lo
; %bb.4:
	s_or_b32 exec_lo, exec_lo, s2
	v_mbcnt_lo_u32_b32 v2, -1, 0
	s_delay_alu instid0(VALU_DEP_2) | instskip(SKIP_1) | instid1(VALU_DEP_3)
	v_and_b32_e32 v7, 0xffff0000, v6
	v_lshrrev_b32_e32 v6, 16, v6
	v_and_b32_e32 v3, 7, v2
	s_delay_alu instid0(VALU_DEP_1) | instskip(NEXT) | instid1(VALU_DEP_3)
	v_cmp_eq_u32_e32 vcc_lo, 0, v3
	v_cndmask_b32_e32 v4, v6, v4, vcc_lo
	s_delay_alu instid0(VALU_DEP_1) | instskip(NEXT) | instid1(VALU_DEP_1)
	v_mov_b32_dpp v6, v4 row_shr:2 row_mask:0xf bank_mask:0xf
	v_dual_cndmask_b32 v5, v7, v5 :: v_dual_lshlrev_b32 v6, 16, v6
	s_delay_alu instid0(VALU_DEP_1) | instskip(NEXT) | instid1(VALU_DEP_1)
	v_add_f32_e32 v6, v5, v6
	v_and_b32_e32 v7, 0x7f800000, v6
	s_delay_alu instid0(VALU_DEP_1) | instskip(NEXT) | instid1(VALU_DEP_1)
	v_cmp_ne_u32_e64 s2, 0x7f800000, v7
                                        ; implicit-def: $vgpr7
	s_and_saveexec_b32 s3, s2
	s_delay_alu instid0(SALU_CYCLE_1)
	s_xor_b32 s2, exec_lo, s3
; %bb.5:
	v_bfe_u32 v7, v6, 16, 1
	s_delay_alu instid0(VALU_DEP_1)
	v_add3_u32 v7, v6, v7, 0x7fff
                                        ; implicit-def: $vgpr6
; %bb.6:
	s_and_not1_saveexec_b32 s3, s2
; %bb.7:
	v_and_b32_e32 v7, 0xffff, v6
	v_or_b32_e32 v8, 0x10000, v6
	s_delay_alu instid0(VALU_DEP_2) | instskip(NEXT) | instid1(VALU_DEP_1)
	v_cmp_eq_u32_e64 s2, 0, v7
	v_cndmask_b32_e64 v7, v8, v6, s2
; %bb.8:
	s_or_b32 exec_lo, exec_lo, s3
	s_delay_alu instid0(VALU_DEP_1) | instskip(SKIP_2) | instid1(VALU_DEP_1)
	v_and_b32_e32 v6, 0xffff0000, v7
	v_lshrrev_b32_e32 v7, 16, v7
	v_cmp_lt_u32_e64 s2, 1, v3
	v_cndmask_b32_e64 v4, v4, v7, s2
	s_delay_alu instid0(VALU_DEP_4) | instskip(NEXT) | instid1(VALU_DEP_2)
	v_cndmask_b32_e64 v5, v5, v6, s2
	v_mov_b32_dpp v6, v4 row_shr:4 row_mask:0xf bank_mask:0xf
	s_delay_alu instid0(VALU_DEP_1) | instskip(NEXT) | instid1(VALU_DEP_1)
	v_lshlrev_b32_e32 v6, 16, v6
	v_add_f32_e32 v5, v5, v6
	s_delay_alu instid0(VALU_DEP_1) | instskip(NEXT) | instid1(VALU_DEP_1)
	v_and_b32_e32 v6, 0x7f800000, v5
	v_cmp_ne_u32_e64 s2, 0x7f800000, v6
                                        ; implicit-def: $vgpr6
	s_delay_alu instid0(VALU_DEP_1) | instskip(NEXT) | instid1(SALU_CYCLE_1)
	s_and_saveexec_b32 s3, s2
	s_xor_b32 s2, exec_lo, s3
; %bb.9:
	v_bfe_u32 v6, v5, 16, 1
	s_delay_alu instid0(VALU_DEP_1)
	v_add3_u32 v6, v5, v6, 0x7fff
                                        ; implicit-def: $vgpr5
; %bb.10:
	s_and_not1_saveexec_b32 s3, s2
; %bb.11:
	v_and_b32_e32 v6, 0xffff, v5
	v_or_b32_e32 v7, 0x10000, v5
	s_delay_alu instid0(VALU_DEP_2) | instskip(NEXT) | instid1(VALU_DEP_1)
	v_cmp_eq_u32_e64 s2, 0, v6
	v_cndmask_b32_e64 v6, v7, v5, s2
; %bb.12:
	s_or_b32 exec_lo, exec_lo, s3
	s_load_b32 s1, s[0:1], 0x10
	s_delay_alu instid0(VALU_DEP_1) | instskip(SKIP_1) | instid1(VALU_DEP_1)
	v_lshrrev_b32_e32 v5, 16, v6
	v_cmp_lt_u32_e64 s0, 3, v3
	v_cndmask_b32_e64 v3, v4, v5, s0
	s_delay_alu instid0(VALU_DEP_1)
	v_lshlrev_b32_e32 v3, 16, v3
	s_waitcnt lgkmcnt(0)
	s_lshl_b32 s0, s1, 16
	s_delay_alu instid0(VALU_DEP_1) | instid1(SALU_CYCLE_1)
	v_add_f32_e32 v4, s0, v3
	s_delay_alu instid0(VALU_DEP_1) | instskip(NEXT) | instid1(VALU_DEP_1)
	v_and_b32_e32 v3, 0x7f800000, v4
	v_cmp_ne_u32_e64 s0, 0x7f800000, v3
                                        ; implicit-def: $vgpr3
	s_delay_alu instid0(VALU_DEP_1) | instskip(NEXT) | instid1(SALU_CYCLE_1)
	s_and_saveexec_b32 s2, s0
	s_xor_b32 s0, exec_lo, s2
; %bb.13:
	v_bfe_u32 v3, v4, 16, 1
	s_delay_alu instid0(VALU_DEP_1)
	v_add3_u32 v3, v4, v3, 0x7fff
                                        ; implicit-def: $vgpr4
; %bb.14:
	s_and_not1_saveexec_b32 s2, s0
; %bb.15:
	v_and_b32_e32 v3, 0xffff, v4
	v_or_b32_e32 v5, 0x10000, v4
	s_delay_alu instid0(VALU_DEP_2) | instskip(NEXT) | instid1(VALU_DEP_1)
	v_cmp_eq_u32_e64 s0, 0, v3
	v_cndmask_b32_e64 v3, v5, v4, s0
; %bb.16:
	s_or_b32 exec_lo, exec_lo, s2
	v_add_nc_u32_e32 v4, -1, v2
	v_and_b32_e32 v5, 24, v2
	s_delay_alu instid0(VALU_DEP_3) | instskip(NEXT) | instid1(VALU_DEP_2)
	v_lshrrev_b32_e32 v3, 16, v3
	v_cmp_lt_i32_e64 s0, v4, v5
	s_delay_alu instid0(VALU_DEP_1) | instskip(NEXT) | instid1(VALU_DEP_1)
	v_cndmask_b32_e64 v2, v4, v2, s0
	v_lshlrev_b32_e32 v2, 2, v2
	ds_bpermute_b32 v2, v2, v3
	s_waitcnt lgkmcnt(0)
	v_cndmask_b32_e64 v2, v2, s1, vcc_lo
	v_add_co_u32 v0, vcc_lo, s6, v0
	v_add_co_ci_u32_e32 v1, vcc_lo, s7, v1, vcc_lo
	global_store_b16 v[0:1], v2, off
	s_nop 0
	s_sendmsg sendmsg(MSG_DEALLOC_VGPRS)
	s_endpgm
	.section	.rodata,"a",@progbits
	.p2align	6, 0x0
	.amdhsa_kernel _Z26warp_exclusive_scan_kernelI12hip_bfloat16Lj32ELj8EENSt9enable_ifIXsr10test_utilsE35device_test_enabled_for_warp_size_vIXT1_EEEvE4typeEPT_S5_S4_
		.amdhsa_group_segment_fixed_size 0
		.amdhsa_private_segment_fixed_size 0
		.amdhsa_kernarg_size 280
		.amdhsa_user_sgpr_count 15
		.amdhsa_user_sgpr_dispatch_ptr 0
		.amdhsa_user_sgpr_queue_ptr 0
		.amdhsa_user_sgpr_kernarg_segment_ptr 1
		.amdhsa_user_sgpr_dispatch_id 0
		.amdhsa_user_sgpr_private_segment_size 0
		.amdhsa_wavefront_size32 1
		.amdhsa_uses_dynamic_stack 0
		.amdhsa_enable_private_segment 0
		.amdhsa_system_sgpr_workgroup_id_x 1
		.amdhsa_system_sgpr_workgroup_id_y 0
		.amdhsa_system_sgpr_workgroup_id_z 0
		.amdhsa_system_sgpr_workgroup_info 0
		.amdhsa_system_vgpr_workitem_id 0
		.amdhsa_next_free_vgpr 9
		.amdhsa_next_free_sgpr 16
		.amdhsa_reserve_vcc 1
		.amdhsa_float_round_mode_32 0
		.amdhsa_float_round_mode_16_64 0
		.amdhsa_float_denorm_mode_32 3
		.amdhsa_float_denorm_mode_16_64 3
		.amdhsa_dx10_clamp 1
		.amdhsa_ieee_mode 1
		.amdhsa_fp16_overflow 0
		.amdhsa_workgroup_processor_mode 1
		.amdhsa_memory_ordered 1
		.amdhsa_forward_progress 0
		.amdhsa_shared_vgpr_count 0
		.amdhsa_exception_fp_ieee_invalid_op 0
		.amdhsa_exception_fp_denorm_src 0
		.amdhsa_exception_fp_ieee_div_zero 0
		.amdhsa_exception_fp_ieee_overflow 0
		.amdhsa_exception_fp_ieee_underflow 0
		.amdhsa_exception_fp_ieee_inexact 0
		.amdhsa_exception_int_div_zero 0
	.end_amdhsa_kernel
	.section	.text._Z26warp_exclusive_scan_kernelI12hip_bfloat16Lj32ELj8EENSt9enable_ifIXsr10test_utilsE35device_test_enabled_for_warp_size_vIXT1_EEEvE4typeEPT_S5_S4_,"axG",@progbits,_Z26warp_exclusive_scan_kernelI12hip_bfloat16Lj32ELj8EENSt9enable_ifIXsr10test_utilsE35device_test_enabled_for_warp_size_vIXT1_EEEvE4typeEPT_S5_S4_,comdat
.Lfunc_end135:
	.size	_Z26warp_exclusive_scan_kernelI12hip_bfloat16Lj32ELj8EENSt9enable_ifIXsr10test_utilsE35device_test_enabled_for_warp_size_vIXT1_EEEvE4typeEPT_S5_S4_, .Lfunc_end135-_Z26warp_exclusive_scan_kernelI12hip_bfloat16Lj32ELj8EENSt9enable_ifIXsr10test_utilsE35device_test_enabled_for_warp_size_vIXT1_EEEvE4typeEPT_S5_S4_
                                        ; -- End function
	.section	.AMDGPU.csdata,"",@progbits
; Kernel info:
; codeLenInByte = 788
; NumSgprs: 18
; NumVgprs: 9
; ScratchSize: 0
; MemoryBound: 0
; FloatMode: 240
; IeeeMode: 1
; LDSByteSize: 0 bytes/workgroup (compile time only)
; SGPRBlocks: 2
; VGPRBlocks: 1
; NumSGPRsForWavesPerEU: 18
; NumVGPRsForWavesPerEU: 9
; Occupancy: 16
; WaveLimiterHint : 0
; COMPUTE_PGM_RSRC2:SCRATCH_EN: 0
; COMPUTE_PGM_RSRC2:USER_SGPR: 15
; COMPUTE_PGM_RSRC2:TRAP_HANDLER: 0
; COMPUTE_PGM_RSRC2:TGID_X_EN: 1
; COMPUTE_PGM_RSRC2:TGID_Y_EN: 0
; COMPUTE_PGM_RSRC2:TGID_Z_EN: 0
; COMPUTE_PGM_RSRC2:TIDIG_COMP_CNT: 0
	.section	.text._Z26warp_exclusive_scan_kernelI12hip_bfloat16Lj64ELj8EENSt9enable_ifIXsr10test_utilsE35device_test_enabled_for_warp_size_vIXT1_EEEvE4typeEPT_S5_S4_,"axG",@progbits,_Z26warp_exclusive_scan_kernelI12hip_bfloat16Lj64ELj8EENSt9enable_ifIXsr10test_utilsE35device_test_enabled_for_warp_size_vIXT1_EEEvE4typeEPT_S5_S4_,comdat
	.protected	_Z26warp_exclusive_scan_kernelI12hip_bfloat16Lj64ELj8EENSt9enable_ifIXsr10test_utilsE35device_test_enabled_for_warp_size_vIXT1_EEEvE4typeEPT_S5_S4_ ; -- Begin function _Z26warp_exclusive_scan_kernelI12hip_bfloat16Lj64ELj8EENSt9enable_ifIXsr10test_utilsE35device_test_enabled_for_warp_size_vIXT1_EEEvE4typeEPT_S5_S4_
	.globl	_Z26warp_exclusive_scan_kernelI12hip_bfloat16Lj64ELj8EENSt9enable_ifIXsr10test_utilsE35device_test_enabled_for_warp_size_vIXT1_EEEvE4typeEPT_S5_S4_
	.p2align	8
	.type	_Z26warp_exclusive_scan_kernelI12hip_bfloat16Lj64ELj8EENSt9enable_ifIXsr10test_utilsE35device_test_enabled_for_warp_size_vIXT1_EEEvE4typeEPT_S5_S4_,@function
_Z26warp_exclusive_scan_kernelI12hip_bfloat16Lj64ELj8EENSt9enable_ifIXsr10test_utilsE35device_test_enabled_for_warp_size_vIXT1_EEEvE4typeEPT_S5_S4_: ; @_Z26warp_exclusive_scan_kernelI12hip_bfloat16Lj64ELj8EENSt9enable_ifIXsr10test_utilsE35device_test_enabled_for_warp_size_vIXT1_EEEvE4typeEPT_S5_S4_
; %bb.0:
	s_clause 0x1
	s_load_b32 s2, s[0:1], 0x24
	s_load_b128 s[4:7], s[0:1], 0x0
                                        ; implicit-def: $vgpr6
	s_waitcnt lgkmcnt(0)
	s_and_b32 s2, s2, 0xffff
	s_delay_alu instid0(SALU_CYCLE_1) | instskip(SKIP_2) | instid1(VALU_DEP_1)
	v_mad_u64_u32 v[1:2], null, s15, s2, v[0:1]
	v_mov_b32_e32 v2, 0
	s_mov_b32 s2, exec_lo
	v_lshlrev_b64 v[0:1], 1, v[1:2]
	s_delay_alu instid0(VALU_DEP_1) | instskip(NEXT) | instid1(VALU_DEP_2)
	v_add_co_u32 v2, vcc_lo, s4, v0
	v_add_co_ci_u32_e32 v3, vcc_lo, s5, v1, vcc_lo
	global_load_u16 v4, v[2:3], off
	s_waitcnt vmcnt(0)
	v_lshlrev_b32_e32 v5, 16, v4
	v_mov_b32_dpp v2, v4 row_shr:1 row_mask:0xf bank_mask:0xf
	s_delay_alu instid0(VALU_DEP_1) | instskip(NEXT) | instid1(VALU_DEP_1)
	v_lshlrev_b32_e32 v2, 16, v2
	v_add_f32_e32 v2, v5, v2
	s_delay_alu instid0(VALU_DEP_1) | instskip(NEXT) | instid1(VALU_DEP_1)
	v_and_b32_e32 v3, 0x7f800000, v2
	v_cmpx_ne_u32_e32 0x7f800000, v3
	s_xor_b32 s2, exec_lo, s2
; %bb.1:
	v_bfe_u32 v3, v2, 16, 1
	s_delay_alu instid0(VALU_DEP_1)
	v_add3_u32 v6, v2, v3, 0x7fff
                                        ; implicit-def: $vgpr2
; %bb.2:
	s_and_not1_saveexec_b32 s2, s2
; %bb.3:
	v_and_b32_e32 v3, 0xffff, v2
	v_or_b32_e32 v6, 0x10000, v2
	s_delay_alu instid0(VALU_DEP_2) | instskip(NEXT) | instid1(VALU_DEP_2)
	v_cmp_eq_u32_e32 vcc_lo, 0, v3
	v_cndmask_b32_e32 v6, v6, v2, vcc_lo
; %bb.4:
	s_or_b32 exec_lo, exec_lo, s2
	v_mbcnt_lo_u32_b32 v2, -1, 0
	s_delay_alu instid0(VALU_DEP_2) | instskip(SKIP_1) | instid1(VALU_DEP_3)
	v_and_b32_e32 v7, 0xffff0000, v6
	v_lshrrev_b32_e32 v6, 16, v6
	v_and_b32_e32 v3, 7, v2
	s_delay_alu instid0(VALU_DEP_1) | instskip(NEXT) | instid1(VALU_DEP_3)
	v_cmp_eq_u32_e32 vcc_lo, 0, v3
	v_cndmask_b32_e32 v4, v6, v4, vcc_lo
	s_delay_alu instid0(VALU_DEP_1) | instskip(NEXT) | instid1(VALU_DEP_1)
	v_mov_b32_dpp v6, v4 row_shr:2 row_mask:0xf bank_mask:0xf
	v_dual_cndmask_b32 v5, v7, v5 :: v_dual_lshlrev_b32 v6, 16, v6
	s_delay_alu instid0(VALU_DEP_1) | instskip(NEXT) | instid1(VALU_DEP_1)
	v_add_f32_e32 v6, v5, v6
	v_and_b32_e32 v7, 0x7f800000, v6
	s_delay_alu instid0(VALU_DEP_1) | instskip(NEXT) | instid1(VALU_DEP_1)
	v_cmp_ne_u32_e64 s2, 0x7f800000, v7
                                        ; implicit-def: $vgpr7
	s_and_saveexec_b32 s3, s2
	s_delay_alu instid0(SALU_CYCLE_1)
	s_xor_b32 s2, exec_lo, s3
; %bb.5:
	v_bfe_u32 v7, v6, 16, 1
	s_delay_alu instid0(VALU_DEP_1)
	v_add3_u32 v7, v6, v7, 0x7fff
                                        ; implicit-def: $vgpr6
; %bb.6:
	s_and_not1_saveexec_b32 s3, s2
; %bb.7:
	v_and_b32_e32 v7, 0xffff, v6
	v_or_b32_e32 v8, 0x10000, v6
	s_delay_alu instid0(VALU_DEP_2) | instskip(NEXT) | instid1(VALU_DEP_1)
	v_cmp_eq_u32_e64 s2, 0, v7
	v_cndmask_b32_e64 v7, v8, v6, s2
; %bb.8:
	s_or_b32 exec_lo, exec_lo, s3
	s_delay_alu instid0(VALU_DEP_1) | instskip(SKIP_2) | instid1(VALU_DEP_1)
	v_and_b32_e32 v6, 0xffff0000, v7
	v_lshrrev_b32_e32 v7, 16, v7
	v_cmp_lt_u32_e64 s2, 1, v3
	v_cndmask_b32_e64 v4, v4, v7, s2
	s_delay_alu instid0(VALU_DEP_4) | instskip(NEXT) | instid1(VALU_DEP_2)
	v_cndmask_b32_e64 v5, v5, v6, s2
	v_mov_b32_dpp v6, v4 row_shr:4 row_mask:0xf bank_mask:0xf
	s_delay_alu instid0(VALU_DEP_1) | instskip(NEXT) | instid1(VALU_DEP_1)
	v_lshlrev_b32_e32 v6, 16, v6
	v_add_f32_e32 v5, v5, v6
	s_delay_alu instid0(VALU_DEP_1) | instskip(NEXT) | instid1(VALU_DEP_1)
	v_and_b32_e32 v6, 0x7f800000, v5
	v_cmp_ne_u32_e64 s2, 0x7f800000, v6
                                        ; implicit-def: $vgpr6
	s_delay_alu instid0(VALU_DEP_1) | instskip(NEXT) | instid1(SALU_CYCLE_1)
	s_and_saveexec_b32 s3, s2
	s_xor_b32 s2, exec_lo, s3
; %bb.9:
	v_bfe_u32 v6, v5, 16, 1
	s_delay_alu instid0(VALU_DEP_1)
	v_add3_u32 v6, v5, v6, 0x7fff
                                        ; implicit-def: $vgpr5
; %bb.10:
	s_and_not1_saveexec_b32 s3, s2
; %bb.11:
	v_and_b32_e32 v6, 0xffff, v5
	v_or_b32_e32 v7, 0x10000, v5
	s_delay_alu instid0(VALU_DEP_2) | instskip(NEXT) | instid1(VALU_DEP_1)
	v_cmp_eq_u32_e64 s2, 0, v6
	v_cndmask_b32_e64 v6, v7, v5, s2
; %bb.12:
	s_or_b32 exec_lo, exec_lo, s3
	s_load_b32 s1, s[0:1], 0x10
	s_delay_alu instid0(VALU_DEP_1) | instskip(SKIP_1) | instid1(VALU_DEP_1)
	v_lshrrev_b32_e32 v5, 16, v6
	v_cmp_lt_u32_e64 s0, 3, v3
	v_cndmask_b32_e64 v3, v4, v5, s0
	s_delay_alu instid0(VALU_DEP_1)
	v_lshlrev_b32_e32 v3, 16, v3
	s_waitcnt lgkmcnt(0)
	s_lshl_b32 s0, s1, 16
	s_delay_alu instid0(VALU_DEP_1) | instid1(SALU_CYCLE_1)
	v_add_f32_e32 v4, s0, v3
	s_delay_alu instid0(VALU_DEP_1) | instskip(NEXT) | instid1(VALU_DEP_1)
	v_and_b32_e32 v3, 0x7f800000, v4
	v_cmp_ne_u32_e64 s0, 0x7f800000, v3
                                        ; implicit-def: $vgpr3
	s_delay_alu instid0(VALU_DEP_1) | instskip(NEXT) | instid1(SALU_CYCLE_1)
	s_and_saveexec_b32 s2, s0
	s_xor_b32 s0, exec_lo, s2
; %bb.13:
	v_bfe_u32 v3, v4, 16, 1
	s_delay_alu instid0(VALU_DEP_1)
	v_add3_u32 v3, v4, v3, 0x7fff
                                        ; implicit-def: $vgpr4
; %bb.14:
	s_and_not1_saveexec_b32 s2, s0
; %bb.15:
	v_and_b32_e32 v3, 0xffff, v4
	v_or_b32_e32 v5, 0x10000, v4
	s_delay_alu instid0(VALU_DEP_2) | instskip(NEXT) | instid1(VALU_DEP_1)
	v_cmp_eq_u32_e64 s0, 0, v3
	v_cndmask_b32_e64 v3, v5, v4, s0
; %bb.16:
	s_or_b32 exec_lo, exec_lo, s2
	v_add_nc_u32_e32 v4, -1, v2
	v_and_b32_e32 v5, 24, v2
	s_delay_alu instid0(VALU_DEP_3) | instskip(NEXT) | instid1(VALU_DEP_2)
	v_lshrrev_b32_e32 v3, 16, v3
	v_cmp_lt_i32_e64 s0, v4, v5
	s_delay_alu instid0(VALU_DEP_1) | instskip(NEXT) | instid1(VALU_DEP_1)
	v_cndmask_b32_e64 v2, v4, v2, s0
	v_lshlrev_b32_e32 v2, 2, v2
	ds_bpermute_b32 v2, v2, v3
	s_waitcnt lgkmcnt(0)
	v_cndmask_b32_e64 v2, v2, s1, vcc_lo
	v_add_co_u32 v0, vcc_lo, s6, v0
	v_add_co_ci_u32_e32 v1, vcc_lo, s7, v1, vcc_lo
	global_store_b16 v[0:1], v2, off
	s_nop 0
	s_sendmsg sendmsg(MSG_DEALLOC_VGPRS)
	s_endpgm
	.section	.rodata,"a",@progbits
	.p2align	6, 0x0
	.amdhsa_kernel _Z26warp_exclusive_scan_kernelI12hip_bfloat16Lj64ELj8EENSt9enable_ifIXsr10test_utilsE35device_test_enabled_for_warp_size_vIXT1_EEEvE4typeEPT_S5_S4_
		.amdhsa_group_segment_fixed_size 0
		.amdhsa_private_segment_fixed_size 0
		.amdhsa_kernarg_size 280
		.amdhsa_user_sgpr_count 15
		.amdhsa_user_sgpr_dispatch_ptr 0
		.amdhsa_user_sgpr_queue_ptr 0
		.amdhsa_user_sgpr_kernarg_segment_ptr 1
		.amdhsa_user_sgpr_dispatch_id 0
		.amdhsa_user_sgpr_private_segment_size 0
		.amdhsa_wavefront_size32 1
		.amdhsa_uses_dynamic_stack 0
		.amdhsa_enable_private_segment 0
		.amdhsa_system_sgpr_workgroup_id_x 1
		.amdhsa_system_sgpr_workgroup_id_y 0
		.amdhsa_system_sgpr_workgroup_id_z 0
		.amdhsa_system_sgpr_workgroup_info 0
		.amdhsa_system_vgpr_workitem_id 0
		.amdhsa_next_free_vgpr 9
		.amdhsa_next_free_sgpr 16
		.amdhsa_reserve_vcc 1
		.amdhsa_float_round_mode_32 0
		.amdhsa_float_round_mode_16_64 0
		.amdhsa_float_denorm_mode_32 3
		.amdhsa_float_denorm_mode_16_64 3
		.amdhsa_dx10_clamp 1
		.amdhsa_ieee_mode 1
		.amdhsa_fp16_overflow 0
		.amdhsa_workgroup_processor_mode 1
		.amdhsa_memory_ordered 1
		.amdhsa_forward_progress 0
		.amdhsa_shared_vgpr_count 0
		.amdhsa_exception_fp_ieee_invalid_op 0
		.amdhsa_exception_fp_denorm_src 0
		.amdhsa_exception_fp_ieee_div_zero 0
		.amdhsa_exception_fp_ieee_overflow 0
		.amdhsa_exception_fp_ieee_underflow 0
		.amdhsa_exception_fp_ieee_inexact 0
		.amdhsa_exception_int_div_zero 0
	.end_amdhsa_kernel
	.section	.text._Z26warp_exclusive_scan_kernelI12hip_bfloat16Lj64ELj8EENSt9enable_ifIXsr10test_utilsE35device_test_enabled_for_warp_size_vIXT1_EEEvE4typeEPT_S5_S4_,"axG",@progbits,_Z26warp_exclusive_scan_kernelI12hip_bfloat16Lj64ELj8EENSt9enable_ifIXsr10test_utilsE35device_test_enabled_for_warp_size_vIXT1_EEEvE4typeEPT_S5_S4_,comdat
.Lfunc_end136:
	.size	_Z26warp_exclusive_scan_kernelI12hip_bfloat16Lj64ELj8EENSt9enable_ifIXsr10test_utilsE35device_test_enabled_for_warp_size_vIXT1_EEEvE4typeEPT_S5_S4_, .Lfunc_end136-_Z26warp_exclusive_scan_kernelI12hip_bfloat16Lj64ELj8EENSt9enable_ifIXsr10test_utilsE35device_test_enabled_for_warp_size_vIXT1_EEEvE4typeEPT_S5_S4_
                                        ; -- End function
	.section	.AMDGPU.csdata,"",@progbits
; Kernel info:
; codeLenInByte = 788
; NumSgprs: 18
; NumVgprs: 9
; ScratchSize: 0
; MemoryBound: 0
; FloatMode: 240
; IeeeMode: 1
; LDSByteSize: 0 bytes/workgroup (compile time only)
; SGPRBlocks: 2
; VGPRBlocks: 1
; NumSGPRsForWavesPerEU: 18
; NumVGPRsForWavesPerEU: 9
; Occupancy: 16
; WaveLimiterHint : 0
; COMPUTE_PGM_RSRC2:SCRATCH_EN: 0
; COMPUTE_PGM_RSRC2:USER_SGPR: 15
; COMPUTE_PGM_RSRC2:TRAP_HANDLER: 0
; COMPUTE_PGM_RSRC2:TGID_X_EN: 1
; COMPUTE_PGM_RSRC2:TGID_Y_EN: 0
; COMPUTE_PGM_RSRC2:TGID_Z_EN: 0
; COMPUTE_PGM_RSRC2:TIDIG_COMP_CNT: 0
	.section	.text._Z26warp_exclusive_scan_kernelI12hip_bfloat16Lj32ELj4EENSt9enable_ifIXsr10test_utilsE35device_test_enabled_for_warp_size_vIXT1_EEEvE4typeEPT_S5_S4_,"axG",@progbits,_Z26warp_exclusive_scan_kernelI12hip_bfloat16Lj32ELj4EENSt9enable_ifIXsr10test_utilsE35device_test_enabled_for_warp_size_vIXT1_EEEvE4typeEPT_S5_S4_,comdat
	.protected	_Z26warp_exclusive_scan_kernelI12hip_bfloat16Lj32ELj4EENSt9enable_ifIXsr10test_utilsE35device_test_enabled_for_warp_size_vIXT1_EEEvE4typeEPT_S5_S4_ ; -- Begin function _Z26warp_exclusive_scan_kernelI12hip_bfloat16Lj32ELj4EENSt9enable_ifIXsr10test_utilsE35device_test_enabled_for_warp_size_vIXT1_EEEvE4typeEPT_S5_S4_
	.globl	_Z26warp_exclusive_scan_kernelI12hip_bfloat16Lj32ELj4EENSt9enable_ifIXsr10test_utilsE35device_test_enabled_for_warp_size_vIXT1_EEEvE4typeEPT_S5_S4_
	.p2align	8
	.type	_Z26warp_exclusive_scan_kernelI12hip_bfloat16Lj32ELj4EENSt9enable_ifIXsr10test_utilsE35device_test_enabled_for_warp_size_vIXT1_EEEvE4typeEPT_S5_S4_,@function
_Z26warp_exclusive_scan_kernelI12hip_bfloat16Lj32ELj4EENSt9enable_ifIXsr10test_utilsE35device_test_enabled_for_warp_size_vIXT1_EEEvE4typeEPT_S5_S4_: ; @_Z26warp_exclusive_scan_kernelI12hip_bfloat16Lj32ELj4EENSt9enable_ifIXsr10test_utilsE35device_test_enabled_for_warp_size_vIXT1_EEEvE4typeEPT_S5_S4_
; %bb.0:
	s_clause 0x1
	s_load_b32 s2, s[0:1], 0x24
	s_load_b128 s[4:7], s[0:1], 0x0
                                        ; implicit-def: $vgpr6
	s_waitcnt lgkmcnt(0)
	s_and_b32 s2, s2, 0xffff
	s_delay_alu instid0(SALU_CYCLE_1) | instskip(SKIP_2) | instid1(VALU_DEP_1)
	v_mad_u64_u32 v[1:2], null, s15, s2, v[0:1]
	v_mov_b32_e32 v2, 0
	s_mov_b32 s2, exec_lo
	v_lshlrev_b64 v[0:1], 1, v[1:2]
	s_delay_alu instid0(VALU_DEP_1) | instskip(NEXT) | instid1(VALU_DEP_2)
	v_add_co_u32 v2, vcc_lo, s4, v0
	v_add_co_ci_u32_e32 v3, vcc_lo, s5, v1, vcc_lo
	global_load_u16 v4, v[2:3], off
	s_waitcnt vmcnt(0)
	v_lshlrev_b32_e32 v5, 16, v4
	v_mov_b32_dpp v2, v4 row_shr:1 row_mask:0xf bank_mask:0xf
	s_delay_alu instid0(VALU_DEP_1) | instskip(NEXT) | instid1(VALU_DEP_1)
	v_lshlrev_b32_e32 v2, 16, v2
	v_add_f32_e32 v2, v5, v2
	s_delay_alu instid0(VALU_DEP_1) | instskip(NEXT) | instid1(VALU_DEP_1)
	v_and_b32_e32 v3, 0x7f800000, v2
	v_cmpx_ne_u32_e32 0x7f800000, v3
	s_xor_b32 s2, exec_lo, s2
; %bb.1:
	v_bfe_u32 v3, v2, 16, 1
	s_delay_alu instid0(VALU_DEP_1)
	v_add3_u32 v6, v2, v3, 0x7fff
                                        ; implicit-def: $vgpr2
; %bb.2:
	s_and_not1_saveexec_b32 s2, s2
; %bb.3:
	v_and_b32_e32 v3, 0xffff, v2
	v_or_b32_e32 v6, 0x10000, v2
	s_delay_alu instid0(VALU_DEP_2) | instskip(NEXT) | instid1(VALU_DEP_2)
	v_cmp_eq_u32_e32 vcc_lo, 0, v3
	v_cndmask_b32_e32 v6, v6, v2, vcc_lo
; %bb.4:
	s_or_b32 exec_lo, exec_lo, s2
	v_mbcnt_lo_u32_b32 v2, -1, 0
	s_delay_alu instid0(VALU_DEP_2) | instskip(SKIP_1) | instid1(VALU_DEP_3)
	v_and_b32_e32 v7, 0xffff0000, v6
	v_lshrrev_b32_e32 v6, 16, v6
	v_and_b32_e32 v3, 3, v2
	s_delay_alu instid0(VALU_DEP_1) | instskip(NEXT) | instid1(VALU_DEP_3)
	v_cmp_eq_u32_e32 vcc_lo, 0, v3
	v_cndmask_b32_e32 v4, v6, v4, vcc_lo
	s_delay_alu instid0(VALU_DEP_1) | instskip(NEXT) | instid1(VALU_DEP_1)
	v_mov_b32_dpp v6, v4 row_shr:2 row_mask:0xf bank_mask:0xf
	v_dual_cndmask_b32 v5, v7, v5 :: v_dual_lshlrev_b32 v6, 16, v6
	s_delay_alu instid0(VALU_DEP_1) | instskip(NEXT) | instid1(VALU_DEP_1)
	v_add_f32_e32 v5, v5, v6
	v_and_b32_e32 v6, 0x7f800000, v5
	s_delay_alu instid0(VALU_DEP_1) | instskip(NEXT) | instid1(VALU_DEP_1)
	v_cmp_ne_u32_e64 s2, 0x7f800000, v6
                                        ; implicit-def: $vgpr6
	s_and_saveexec_b32 s3, s2
	s_delay_alu instid0(SALU_CYCLE_1)
	s_xor_b32 s2, exec_lo, s3
; %bb.5:
	v_bfe_u32 v6, v5, 16, 1
	s_delay_alu instid0(VALU_DEP_1)
	v_add3_u32 v6, v5, v6, 0x7fff
                                        ; implicit-def: $vgpr5
; %bb.6:
	s_and_not1_saveexec_b32 s3, s2
; %bb.7:
	v_and_b32_e32 v6, 0xffff, v5
	v_or_b32_e32 v7, 0x10000, v5
	s_delay_alu instid0(VALU_DEP_2) | instskip(NEXT) | instid1(VALU_DEP_1)
	v_cmp_eq_u32_e64 s2, 0, v6
	v_cndmask_b32_e64 v6, v7, v5, s2
; %bb.8:
	s_or_b32 exec_lo, exec_lo, s3
	s_load_b32 s1, s[0:1], 0x10
	s_delay_alu instid0(VALU_DEP_1) | instskip(SKIP_1) | instid1(VALU_DEP_1)
	v_lshrrev_b32_e32 v5, 16, v6
	v_cmp_lt_u32_e64 s0, 1, v3
	v_cndmask_b32_e64 v3, v4, v5, s0
	s_delay_alu instid0(VALU_DEP_1)
	v_lshlrev_b32_e32 v3, 16, v3
	s_waitcnt lgkmcnt(0)
	s_lshl_b32 s0, s1, 16
	s_delay_alu instid0(VALU_DEP_1) | instid1(SALU_CYCLE_1)
	v_add_f32_e32 v4, s0, v3
	s_delay_alu instid0(VALU_DEP_1) | instskip(NEXT) | instid1(VALU_DEP_1)
	v_and_b32_e32 v3, 0x7f800000, v4
	v_cmp_ne_u32_e64 s0, 0x7f800000, v3
                                        ; implicit-def: $vgpr3
	s_delay_alu instid0(VALU_DEP_1) | instskip(NEXT) | instid1(SALU_CYCLE_1)
	s_and_saveexec_b32 s2, s0
	s_xor_b32 s0, exec_lo, s2
; %bb.9:
	v_bfe_u32 v3, v4, 16, 1
	s_delay_alu instid0(VALU_DEP_1)
	v_add3_u32 v3, v4, v3, 0x7fff
                                        ; implicit-def: $vgpr4
; %bb.10:
	s_and_not1_saveexec_b32 s2, s0
; %bb.11:
	v_and_b32_e32 v3, 0xffff, v4
	v_or_b32_e32 v5, 0x10000, v4
	s_delay_alu instid0(VALU_DEP_2) | instskip(NEXT) | instid1(VALU_DEP_1)
	v_cmp_eq_u32_e64 s0, 0, v3
	v_cndmask_b32_e64 v3, v5, v4, s0
; %bb.12:
	s_or_b32 exec_lo, exec_lo, s2
	v_add_nc_u32_e32 v4, -1, v2
	v_and_b32_e32 v5, 28, v2
	s_delay_alu instid0(VALU_DEP_3) | instskip(NEXT) | instid1(VALU_DEP_2)
	v_lshrrev_b32_e32 v3, 16, v3
	v_cmp_lt_i32_e64 s0, v4, v5
	s_delay_alu instid0(VALU_DEP_1) | instskip(NEXT) | instid1(VALU_DEP_1)
	v_cndmask_b32_e64 v2, v4, v2, s0
	v_lshlrev_b32_e32 v2, 2, v2
	ds_bpermute_b32 v2, v2, v3
	s_waitcnt lgkmcnt(0)
	v_cndmask_b32_e64 v2, v2, s1, vcc_lo
	v_add_co_u32 v0, vcc_lo, s6, v0
	v_add_co_ci_u32_e32 v1, vcc_lo, s7, v1, vcc_lo
	global_store_b16 v[0:1], v2, off
	s_nop 0
	s_sendmsg sendmsg(MSG_DEALLOC_VGPRS)
	s_endpgm
	.section	.rodata,"a",@progbits
	.p2align	6, 0x0
	.amdhsa_kernel _Z26warp_exclusive_scan_kernelI12hip_bfloat16Lj32ELj4EENSt9enable_ifIXsr10test_utilsE35device_test_enabled_for_warp_size_vIXT1_EEEvE4typeEPT_S5_S4_
		.amdhsa_group_segment_fixed_size 0
		.amdhsa_private_segment_fixed_size 0
		.amdhsa_kernarg_size 280
		.amdhsa_user_sgpr_count 15
		.amdhsa_user_sgpr_dispatch_ptr 0
		.amdhsa_user_sgpr_queue_ptr 0
		.amdhsa_user_sgpr_kernarg_segment_ptr 1
		.amdhsa_user_sgpr_dispatch_id 0
		.amdhsa_user_sgpr_private_segment_size 0
		.amdhsa_wavefront_size32 1
		.amdhsa_uses_dynamic_stack 0
		.amdhsa_enable_private_segment 0
		.amdhsa_system_sgpr_workgroup_id_x 1
		.amdhsa_system_sgpr_workgroup_id_y 0
		.amdhsa_system_sgpr_workgroup_id_z 0
		.amdhsa_system_sgpr_workgroup_info 0
		.amdhsa_system_vgpr_workitem_id 0
		.amdhsa_next_free_vgpr 8
		.amdhsa_next_free_sgpr 16
		.amdhsa_reserve_vcc 1
		.amdhsa_float_round_mode_32 0
		.amdhsa_float_round_mode_16_64 0
		.amdhsa_float_denorm_mode_32 3
		.amdhsa_float_denorm_mode_16_64 3
		.amdhsa_dx10_clamp 1
		.amdhsa_ieee_mode 1
		.amdhsa_fp16_overflow 0
		.amdhsa_workgroup_processor_mode 1
		.amdhsa_memory_ordered 1
		.amdhsa_forward_progress 0
		.amdhsa_shared_vgpr_count 0
		.amdhsa_exception_fp_ieee_invalid_op 0
		.amdhsa_exception_fp_denorm_src 0
		.amdhsa_exception_fp_ieee_div_zero 0
		.amdhsa_exception_fp_ieee_overflow 0
		.amdhsa_exception_fp_ieee_underflow 0
		.amdhsa_exception_fp_ieee_inexact 0
		.amdhsa_exception_int_div_zero 0
	.end_amdhsa_kernel
	.section	.text._Z26warp_exclusive_scan_kernelI12hip_bfloat16Lj32ELj4EENSt9enable_ifIXsr10test_utilsE35device_test_enabled_for_warp_size_vIXT1_EEEvE4typeEPT_S5_S4_,"axG",@progbits,_Z26warp_exclusive_scan_kernelI12hip_bfloat16Lj32ELj4EENSt9enable_ifIXsr10test_utilsE35device_test_enabled_for_warp_size_vIXT1_EEEvE4typeEPT_S5_S4_,comdat
.Lfunc_end137:
	.size	_Z26warp_exclusive_scan_kernelI12hip_bfloat16Lj32ELj4EENSt9enable_ifIXsr10test_utilsE35device_test_enabled_for_warp_size_vIXT1_EEEvE4typeEPT_S5_S4_, .Lfunc_end137-_Z26warp_exclusive_scan_kernelI12hip_bfloat16Lj32ELj4EENSt9enable_ifIXsr10test_utilsE35device_test_enabled_for_warp_size_vIXT1_EEEvE4typeEPT_S5_S4_
                                        ; -- End function
	.section	.AMDGPU.csdata,"",@progbits
; Kernel info:
; codeLenInByte = 620
; NumSgprs: 18
; NumVgprs: 8
; ScratchSize: 0
; MemoryBound: 0
; FloatMode: 240
; IeeeMode: 1
; LDSByteSize: 0 bytes/workgroup (compile time only)
; SGPRBlocks: 2
; VGPRBlocks: 0
; NumSGPRsForWavesPerEU: 18
; NumVGPRsForWavesPerEU: 8
; Occupancy: 16
; WaveLimiterHint : 0
; COMPUTE_PGM_RSRC2:SCRATCH_EN: 0
; COMPUTE_PGM_RSRC2:USER_SGPR: 15
; COMPUTE_PGM_RSRC2:TRAP_HANDLER: 0
; COMPUTE_PGM_RSRC2:TGID_X_EN: 1
; COMPUTE_PGM_RSRC2:TGID_Y_EN: 0
; COMPUTE_PGM_RSRC2:TGID_Z_EN: 0
; COMPUTE_PGM_RSRC2:TIDIG_COMP_CNT: 0
	.section	.text._Z26warp_exclusive_scan_kernelI12hip_bfloat16Lj64ELj4EENSt9enable_ifIXsr10test_utilsE35device_test_enabled_for_warp_size_vIXT1_EEEvE4typeEPT_S5_S4_,"axG",@progbits,_Z26warp_exclusive_scan_kernelI12hip_bfloat16Lj64ELj4EENSt9enable_ifIXsr10test_utilsE35device_test_enabled_for_warp_size_vIXT1_EEEvE4typeEPT_S5_S4_,comdat
	.protected	_Z26warp_exclusive_scan_kernelI12hip_bfloat16Lj64ELj4EENSt9enable_ifIXsr10test_utilsE35device_test_enabled_for_warp_size_vIXT1_EEEvE4typeEPT_S5_S4_ ; -- Begin function _Z26warp_exclusive_scan_kernelI12hip_bfloat16Lj64ELj4EENSt9enable_ifIXsr10test_utilsE35device_test_enabled_for_warp_size_vIXT1_EEEvE4typeEPT_S5_S4_
	.globl	_Z26warp_exclusive_scan_kernelI12hip_bfloat16Lj64ELj4EENSt9enable_ifIXsr10test_utilsE35device_test_enabled_for_warp_size_vIXT1_EEEvE4typeEPT_S5_S4_
	.p2align	8
	.type	_Z26warp_exclusive_scan_kernelI12hip_bfloat16Lj64ELj4EENSt9enable_ifIXsr10test_utilsE35device_test_enabled_for_warp_size_vIXT1_EEEvE4typeEPT_S5_S4_,@function
_Z26warp_exclusive_scan_kernelI12hip_bfloat16Lj64ELj4EENSt9enable_ifIXsr10test_utilsE35device_test_enabled_for_warp_size_vIXT1_EEEvE4typeEPT_S5_S4_: ; @_Z26warp_exclusive_scan_kernelI12hip_bfloat16Lj64ELj4EENSt9enable_ifIXsr10test_utilsE35device_test_enabled_for_warp_size_vIXT1_EEEvE4typeEPT_S5_S4_
; %bb.0:
	s_clause 0x1
	s_load_b32 s2, s[0:1], 0x24
	s_load_b128 s[4:7], s[0:1], 0x0
                                        ; implicit-def: $vgpr6
	s_waitcnt lgkmcnt(0)
	s_and_b32 s2, s2, 0xffff
	s_delay_alu instid0(SALU_CYCLE_1) | instskip(SKIP_2) | instid1(VALU_DEP_1)
	v_mad_u64_u32 v[1:2], null, s15, s2, v[0:1]
	v_mov_b32_e32 v2, 0
	s_mov_b32 s2, exec_lo
	v_lshlrev_b64 v[0:1], 1, v[1:2]
	s_delay_alu instid0(VALU_DEP_1) | instskip(NEXT) | instid1(VALU_DEP_2)
	v_add_co_u32 v2, vcc_lo, s4, v0
	v_add_co_ci_u32_e32 v3, vcc_lo, s5, v1, vcc_lo
	global_load_u16 v4, v[2:3], off
	s_waitcnt vmcnt(0)
	v_lshlrev_b32_e32 v5, 16, v4
	v_mov_b32_dpp v2, v4 row_shr:1 row_mask:0xf bank_mask:0xf
	s_delay_alu instid0(VALU_DEP_1) | instskip(NEXT) | instid1(VALU_DEP_1)
	v_lshlrev_b32_e32 v2, 16, v2
	v_add_f32_e32 v2, v5, v2
	s_delay_alu instid0(VALU_DEP_1) | instskip(NEXT) | instid1(VALU_DEP_1)
	v_and_b32_e32 v3, 0x7f800000, v2
	v_cmpx_ne_u32_e32 0x7f800000, v3
	s_xor_b32 s2, exec_lo, s2
; %bb.1:
	v_bfe_u32 v3, v2, 16, 1
	s_delay_alu instid0(VALU_DEP_1)
	v_add3_u32 v6, v2, v3, 0x7fff
                                        ; implicit-def: $vgpr2
; %bb.2:
	s_and_not1_saveexec_b32 s2, s2
; %bb.3:
	v_and_b32_e32 v3, 0xffff, v2
	v_or_b32_e32 v6, 0x10000, v2
	s_delay_alu instid0(VALU_DEP_2) | instskip(NEXT) | instid1(VALU_DEP_2)
	v_cmp_eq_u32_e32 vcc_lo, 0, v3
	v_cndmask_b32_e32 v6, v6, v2, vcc_lo
; %bb.4:
	s_or_b32 exec_lo, exec_lo, s2
	v_mbcnt_lo_u32_b32 v2, -1, 0
	s_delay_alu instid0(VALU_DEP_2) | instskip(SKIP_1) | instid1(VALU_DEP_3)
	v_and_b32_e32 v7, 0xffff0000, v6
	v_lshrrev_b32_e32 v6, 16, v6
	v_and_b32_e32 v3, 3, v2
	s_delay_alu instid0(VALU_DEP_1) | instskip(NEXT) | instid1(VALU_DEP_3)
	v_cmp_eq_u32_e32 vcc_lo, 0, v3
	v_cndmask_b32_e32 v4, v6, v4, vcc_lo
	s_delay_alu instid0(VALU_DEP_1) | instskip(NEXT) | instid1(VALU_DEP_1)
	v_mov_b32_dpp v6, v4 row_shr:2 row_mask:0xf bank_mask:0xf
	v_dual_cndmask_b32 v5, v7, v5 :: v_dual_lshlrev_b32 v6, 16, v6
	s_delay_alu instid0(VALU_DEP_1) | instskip(NEXT) | instid1(VALU_DEP_1)
	v_add_f32_e32 v5, v5, v6
	v_and_b32_e32 v6, 0x7f800000, v5
	s_delay_alu instid0(VALU_DEP_1) | instskip(NEXT) | instid1(VALU_DEP_1)
	v_cmp_ne_u32_e64 s2, 0x7f800000, v6
                                        ; implicit-def: $vgpr6
	s_and_saveexec_b32 s3, s2
	s_delay_alu instid0(SALU_CYCLE_1)
	s_xor_b32 s2, exec_lo, s3
; %bb.5:
	v_bfe_u32 v6, v5, 16, 1
	s_delay_alu instid0(VALU_DEP_1)
	v_add3_u32 v6, v5, v6, 0x7fff
                                        ; implicit-def: $vgpr5
; %bb.6:
	s_and_not1_saveexec_b32 s3, s2
; %bb.7:
	v_and_b32_e32 v6, 0xffff, v5
	v_or_b32_e32 v7, 0x10000, v5
	s_delay_alu instid0(VALU_DEP_2) | instskip(NEXT) | instid1(VALU_DEP_1)
	v_cmp_eq_u32_e64 s2, 0, v6
	v_cndmask_b32_e64 v6, v7, v5, s2
; %bb.8:
	s_or_b32 exec_lo, exec_lo, s3
	s_load_b32 s1, s[0:1], 0x10
	s_delay_alu instid0(VALU_DEP_1) | instskip(SKIP_1) | instid1(VALU_DEP_1)
	v_lshrrev_b32_e32 v5, 16, v6
	v_cmp_lt_u32_e64 s0, 1, v3
	v_cndmask_b32_e64 v3, v4, v5, s0
	s_delay_alu instid0(VALU_DEP_1)
	v_lshlrev_b32_e32 v3, 16, v3
	s_waitcnt lgkmcnt(0)
	s_lshl_b32 s0, s1, 16
	s_delay_alu instid0(VALU_DEP_1) | instid1(SALU_CYCLE_1)
	v_add_f32_e32 v4, s0, v3
	s_delay_alu instid0(VALU_DEP_1) | instskip(NEXT) | instid1(VALU_DEP_1)
	v_and_b32_e32 v3, 0x7f800000, v4
	v_cmp_ne_u32_e64 s0, 0x7f800000, v3
                                        ; implicit-def: $vgpr3
	s_delay_alu instid0(VALU_DEP_1) | instskip(NEXT) | instid1(SALU_CYCLE_1)
	s_and_saveexec_b32 s2, s0
	s_xor_b32 s0, exec_lo, s2
; %bb.9:
	v_bfe_u32 v3, v4, 16, 1
	s_delay_alu instid0(VALU_DEP_1)
	v_add3_u32 v3, v4, v3, 0x7fff
                                        ; implicit-def: $vgpr4
; %bb.10:
	s_and_not1_saveexec_b32 s2, s0
; %bb.11:
	v_and_b32_e32 v3, 0xffff, v4
	v_or_b32_e32 v5, 0x10000, v4
	s_delay_alu instid0(VALU_DEP_2) | instskip(NEXT) | instid1(VALU_DEP_1)
	v_cmp_eq_u32_e64 s0, 0, v3
	v_cndmask_b32_e64 v3, v5, v4, s0
; %bb.12:
	s_or_b32 exec_lo, exec_lo, s2
	v_add_nc_u32_e32 v4, -1, v2
	v_and_b32_e32 v5, 28, v2
	s_delay_alu instid0(VALU_DEP_3) | instskip(NEXT) | instid1(VALU_DEP_2)
	v_lshrrev_b32_e32 v3, 16, v3
	v_cmp_lt_i32_e64 s0, v4, v5
	s_delay_alu instid0(VALU_DEP_1) | instskip(NEXT) | instid1(VALU_DEP_1)
	v_cndmask_b32_e64 v2, v4, v2, s0
	v_lshlrev_b32_e32 v2, 2, v2
	ds_bpermute_b32 v2, v2, v3
	s_waitcnt lgkmcnt(0)
	v_cndmask_b32_e64 v2, v2, s1, vcc_lo
	v_add_co_u32 v0, vcc_lo, s6, v0
	v_add_co_ci_u32_e32 v1, vcc_lo, s7, v1, vcc_lo
	global_store_b16 v[0:1], v2, off
	s_nop 0
	s_sendmsg sendmsg(MSG_DEALLOC_VGPRS)
	s_endpgm
	.section	.rodata,"a",@progbits
	.p2align	6, 0x0
	.amdhsa_kernel _Z26warp_exclusive_scan_kernelI12hip_bfloat16Lj64ELj4EENSt9enable_ifIXsr10test_utilsE35device_test_enabled_for_warp_size_vIXT1_EEEvE4typeEPT_S5_S4_
		.amdhsa_group_segment_fixed_size 0
		.amdhsa_private_segment_fixed_size 0
		.amdhsa_kernarg_size 280
		.amdhsa_user_sgpr_count 15
		.amdhsa_user_sgpr_dispatch_ptr 0
		.amdhsa_user_sgpr_queue_ptr 0
		.amdhsa_user_sgpr_kernarg_segment_ptr 1
		.amdhsa_user_sgpr_dispatch_id 0
		.amdhsa_user_sgpr_private_segment_size 0
		.amdhsa_wavefront_size32 1
		.amdhsa_uses_dynamic_stack 0
		.amdhsa_enable_private_segment 0
		.amdhsa_system_sgpr_workgroup_id_x 1
		.amdhsa_system_sgpr_workgroup_id_y 0
		.amdhsa_system_sgpr_workgroup_id_z 0
		.amdhsa_system_sgpr_workgroup_info 0
		.amdhsa_system_vgpr_workitem_id 0
		.amdhsa_next_free_vgpr 8
		.amdhsa_next_free_sgpr 16
		.amdhsa_reserve_vcc 1
		.amdhsa_float_round_mode_32 0
		.amdhsa_float_round_mode_16_64 0
		.amdhsa_float_denorm_mode_32 3
		.amdhsa_float_denorm_mode_16_64 3
		.amdhsa_dx10_clamp 1
		.amdhsa_ieee_mode 1
		.amdhsa_fp16_overflow 0
		.amdhsa_workgroup_processor_mode 1
		.amdhsa_memory_ordered 1
		.amdhsa_forward_progress 0
		.amdhsa_shared_vgpr_count 0
		.amdhsa_exception_fp_ieee_invalid_op 0
		.amdhsa_exception_fp_denorm_src 0
		.amdhsa_exception_fp_ieee_div_zero 0
		.amdhsa_exception_fp_ieee_overflow 0
		.amdhsa_exception_fp_ieee_underflow 0
		.amdhsa_exception_fp_ieee_inexact 0
		.amdhsa_exception_int_div_zero 0
	.end_amdhsa_kernel
	.section	.text._Z26warp_exclusive_scan_kernelI12hip_bfloat16Lj64ELj4EENSt9enable_ifIXsr10test_utilsE35device_test_enabled_for_warp_size_vIXT1_EEEvE4typeEPT_S5_S4_,"axG",@progbits,_Z26warp_exclusive_scan_kernelI12hip_bfloat16Lj64ELj4EENSt9enable_ifIXsr10test_utilsE35device_test_enabled_for_warp_size_vIXT1_EEEvE4typeEPT_S5_S4_,comdat
.Lfunc_end138:
	.size	_Z26warp_exclusive_scan_kernelI12hip_bfloat16Lj64ELj4EENSt9enable_ifIXsr10test_utilsE35device_test_enabled_for_warp_size_vIXT1_EEEvE4typeEPT_S5_S4_, .Lfunc_end138-_Z26warp_exclusive_scan_kernelI12hip_bfloat16Lj64ELj4EENSt9enable_ifIXsr10test_utilsE35device_test_enabled_for_warp_size_vIXT1_EEEvE4typeEPT_S5_S4_
                                        ; -- End function
	.section	.AMDGPU.csdata,"",@progbits
; Kernel info:
; codeLenInByte = 620
; NumSgprs: 18
; NumVgprs: 8
; ScratchSize: 0
; MemoryBound: 0
; FloatMode: 240
; IeeeMode: 1
; LDSByteSize: 0 bytes/workgroup (compile time only)
; SGPRBlocks: 2
; VGPRBlocks: 0
; NumSGPRsForWavesPerEU: 18
; NumVGPRsForWavesPerEU: 8
; Occupancy: 16
; WaveLimiterHint : 0
; COMPUTE_PGM_RSRC2:SCRATCH_EN: 0
; COMPUTE_PGM_RSRC2:USER_SGPR: 15
; COMPUTE_PGM_RSRC2:TRAP_HANDLER: 0
; COMPUTE_PGM_RSRC2:TGID_X_EN: 1
; COMPUTE_PGM_RSRC2:TGID_Y_EN: 0
; COMPUTE_PGM_RSRC2:TGID_Z_EN: 0
; COMPUTE_PGM_RSRC2:TIDIG_COMP_CNT: 0
	.section	.text._Z26warp_exclusive_scan_kernelI12hip_bfloat16Lj32ELj2EENSt9enable_ifIXsr10test_utilsE35device_test_enabled_for_warp_size_vIXT1_EEEvE4typeEPT_S5_S4_,"axG",@progbits,_Z26warp_exclusive_scan_kernelI12hip_bfloat16Lj32ELj2EENSt9enable_ifIXsr10test_utilsE35device_test_enabled_for_warp_size_vIXT1_EEEvE4typeEPT_S5_S4_,comdat
	.protected	_Z26warp_exclusive_scan_kernelI12hip_bfloat16Lj32ELj2EENSt9enable_ifIXsr10test_utilsE35device_test_enabled_for_warp_size_vIXT1_EEEvE4typeEPT_S5_S4_ ; -- Begin function _Z26warp_exclusive_scan_kernelI12hip_bfloat16Lj32ELj2EENSt9enable_ifIXsr10test_utilsE35device_test_enabled_for_warp_size_vIXT1_EEEvE4typeEPT_S5_S4_
	.globl	_Z26warp_exclusive_scan_kernelI12hip_bfloat16Lj32ELj2EENSt9enable_ifIXsr10test_utilsE35device_test_enabled_for_warp_size_vIXT1_EEEvE4typeEPT_S5_S4_
	.p2align	8
	.type	_Z26warp_exclusive_scan_kernelI12hip_bfloat16Lj32ELj2EENSt9enable_ifIXsr10test_utilsE35device_test_enabled_for_warp_size_vIXT1_EEEvE4typeEPT_S5_S4_,@function
_Z26warp_exclusive_scan_kernelI12hip_bfloat16Lj32ELj2EENSt9enable_ifIXsr10test_utilsE35device_test_enabled_for_warp_size_vIXT1_EEEvE4typeEPT_S5_S4_: ; @_Z26warp_exclusive_scan_kernelI12hip_bfloat16Lj32ELj2EENSt9enable_ifIXsr10test_utilsE35device_test_enabled_for_warp_size_vIXT1_EEEvE4typeEPT_S5_S4_
; %bb.0:
	s_clause 0x1
	s_load_b32 s2, s[0:1], 0x24
	s_load_b128 s[4:7], s[0:1], 0x0
	s_waitcnt lgkmcnt(0)
	s_and_b32 s2, s2, 0xffff
	s_delay_alu instid0(SALU_CYCLE_1) | instskip(SKIP_1) | instid1(VALU_DEP_1)
	v_mad_u64_u32 v[1:2], null, s15, s2, v[0:1]
	v_mov_b32_e32 v2, 0
	v_lshlrev_b64 v[0:1], 1, v[1:2]
	s_delay_alu instid0(VALU_DEP_1) | instskip(NEXT) | instid1(VALU_DEP_2)
	v_add_co_u32 v2, vcc_lo, s4, v0
	v_add_co_ci_u32_e32 v3, vcc_lo, s5, v1, vcc_lo
	global_load_u16 v2, v[2:3], off
	s_waitcnt vmcnt(0)
	v_mov_b32_dpp v3, v2 row_shr:1 row_mask:0xf bank_mask:0xf
	s_delay_alu instid0(VALU_DEP_1) | instskip(SKIP_1) | instid1(VALU_DEP_1)
	v_lshlrev_b32_e32 v4, 16, v3
	v_lshlrev_b32_e32 v3, 16, v2
	v_add_f32_e32 v2, v3, v4
	s_delay_alu instid0(VALU_DEP_1) | instskip(NEXT) | instid1(VALU_DEP_1)
	v_and_b32_e32 v4, 0x7f800000, v2
	v_cmp_ne_u32_e32 vcc_lo, 0x7f800000, v4
                                        ; implicit-def: $vgpr4
	s_and_saveexec_b32 s2, vcc_lo
	s_delay_alu instid0(SALU_CYCLE_1)
	s_xor_b32 s2, exec_lo, s2
; %bb.1:
	v_bfe_u32 v4, v2, 16, 1
	s_delay_alu instid0(VALU_DEP_1)
	v_add3_u32 v4, v2, v4, 0x7fff
                                        ; implicit-def: $vgpr2
; %bb.2:
	s_and_not1_saveexec_b32 s2, s2
; %bb.3:
	v_and_b32_e32 v4, 0xffff, v2
	v_or_b32_e32 v5, 0x10000, v2
	s_delay_alu instid0(VALU_DEP_2) | instskip(NEXT) | instid1(VALU_DEP_2)
	v_cmp_eq_u32_e32 vcc_lo, 0, v4
	v_cndmask_b32_e32 v4, v5, v2, vcc_lo
; %bb.4:
	s_or_b32 exec_lo, exec_lo, s2
	s_load_b32 s1, s[0:1], 0x10
	v_mbcnt_lo_u32_b32 v2, -1, 0
	s_delay_alu instid0(VALU_DEP_2) | instskip(SKIP_2) | instid1(VALU_DEP_2)
	v_and_b32_e32 v4, 0xffff0000, v4
	s_waitcnt lgkmcnt(0)
	s_lshl_b32 s0, s1, 16
	v_and_b32_e32 v5, 1, v2
	s_delay_alu instid0(VALU_DEP_1) | instskip(SKIP_1) | instid1(VALU_DEP_1)
	v_cmp_eq_u32_e32 vcc_lo, 0, v5
	v_cndmask_b32_e32 v3, v4, v3, vcc_lo
	v_add_f32_e32 v4, s0, v3
	s_delay_alu instid0(VALU_DEP_1) | instskip(NEXT) | instid1(VALU_DEP_1)
	v_and_b32_e32 v3, 0x7f800000, v4
	v_cmp_ne_u32_e64 s0, 0x7f800000, v3
                                        ; implicit-def: $vgpr3
	s_delay_alu instid0(VALU_DEP_1) | instskip(NEXT) | instid1(SALU_CYCLE_1)
	s_and_saveexec_b32 s2, s0
	s_xor_b32 s0, exec_lo, s2
; %bb.5:
	v_bfe_u32 v3, v4, 16, 1
	s_delay_alu instid0(VALU_DEP_1)
	v_add3_u32 v3, v4, v3, 0x7fff
                                        ; implicit-def: $vgpr4
; %bb.6:
	s_and_not1_saveexec_b32 s2, s0
; %bb.7:
	v_and_b32_e32 v3, 0xffff, v4
	v_or_b32_e32 v5, 0x10000, v4
	s_delay_alu instid0(VALU_DEP_2) | instskip(NEXT) | instid1(VALU_DEP_1)
	v_cmp_eq_u32_e64 s0, 0, v3
	v_cndmask_b32_e64 v3, v5, v4, s0
; %bb.8:
	s_or_b32 exec_lo, exec_lo, s2
	v_add_nc_u32_e32 v4, -1, v2
	v_and_b32_e32 v5, 30, v2
	s_delay_alu instid0(VALU_DEP_3) | instskip(NEXT) | instid1(VALU_DEP_2)
	v_lshrrev_b32_e32 v3, 16, v3
	v_cmp_lt_i32_e64 s0, v4, v5
	s_delay_alu instid0(VALU_DEP_1) | instskip(NEXT) | instid1(VALU_DEP_1)
	v_cndmask_b32_e64 v2, v4, v2, s0
	v_lshlrev_b32_e32 v2, 2, v2
	ds_bpermute_b32 v2, v2, v3
	s_waitcnt lgkmcnt(0)
	v_cndmask_b32_e64 v2, v2, s1, vcc_lo
	v_add_co_u32 v0, vcc_lo, s6, v0
	v_add_co_ci_u32_e32 v1, vcc_lo, s7, v1, vcc_lo
	global_store_b16 v[0:1], v2, off
	s_nop 0
	s_sendmsg sendmsg(MSG_DEALLOC_VGPRS)
	s_endpgm
	.section	.rodata,"a",@progbits
	.p2align	6, 0x0
	.amdhsa_kernel _Z26warp_exclusive_scan_kernelI12hip_bfloat16Lj32ELj2EENSt9enable_ifIXsr10test_utilsE35device_test_enabled_for_warp_size_vIXT1_EEEvE4typeEPT_S5_S4_
		.amdhsa_group_segment_fixed_size 0
		.amdhsa_private_segment_fixed_size 0
		.amdhsa_kernarg_size 280
		.amdhsa_user_sgpr_count 15
		.amdhsa_user_sgpr_dispatch_ptr 0
		.amdhsa_user_sgpr_queue_ptr 0
		.amdhsa_user_sgpr_kernarg_segment_ptr 1
		.amdhsa_user_sgpr_dispatch_id 0
		.amdhsa_user_sgpr_private_segment_size 0
		.amdhsa_wavefront_size32 1
		.amdhsa_uses_dynamic_stack 0
		.amdhsa_enable_private_segment 0
		.amdhsa_system_sgpr_workgroup_id_x 1
		.amdhsa_system_sgpr_workgroup_id_y 0
		.amdhsa_system_sgpr_workgroup_id_z 0
		.amdhsa_system_sgpr_workgroup_info 0
		.amdhsa_system_vgpr_workitem_id 0
		.amdhsa_next_free_vgpr 6
		.amdhsa_next_free_sgpr 16
		.amdhsa_reserve_vcc 1
		.amdhsa_float_round_mode_32 0
		.amdhsa_float_round_mode_16_64 0
		.amdhsa_float_denorm_mode_32 3
		.amdhsa_float_denorm_mode_16_64 3
		.amdhsa_dx10_clamp 1
		.amdhsa_ieee_mode 1
		.amdhsa_fp16_overflow 0
		.amdhsa_workgroup_processor_mode 1
		.amdhsa_memory_ordered 1
		.amdhsa_forward_progress 0
		.amdhsa_shared_vgpr_count 0
		.amdhsa_exception_fp_ieee_invalid_op 0
		.amdhsa_exception_fp_denorm_src 0
		.amdhsa_exception_fp_ieee_div_zero 0
		.amdhsa_exception_fp_ieee_overflow 0
		.amdhsa_exception_fp_ieee_underflow 0
		.amdhsa_exception_fp_ieee_inexact 0
		.amdhsa_exception_int_div_zero 0
	.end_amdhsa_kernel
	.section	.text._Z26warp_exclusive_scan_kernelI12hip_bfloat16Lj32ELj2EENSt9enable_ifIXsr10test_utilsE35device_test_enabled_for_warp_size_vIXT1_EEEvE4typeEPT_S5_S4_,"axG",@progbits,_Z26warp_exclusive_scan_kernelI12hip_bfloat16Lj32ELj2EENSt9enable_ifIXsr10test_utilsE35device_test_enabled_for_warp_size_vIXT1_EEEvE4typeEPT_S5_S4_,comdat
.Lfunc_end139:
	.size	_Z26warp_exclusive_scan_kernelI12hip_bfloat16Lj32ELj2EENSt9enable_ifIXsr10test_utilsE35device_test_enabled_for_warp_size_vIXT1_EEEvE4typeEPT_S5_S4_, .Lfunc_end139-_Z26warp_exclusive_scan_kernelI12hip_bfloat16Lj32ELj2EENSt9enable_ifIXsr10test_utilsE35device_test_enabled_for_warp_size_vIXT1_EEEvE4typeEPT_S5_S4_
                                        ; -- End function
	.section	.AMDGPU.csdata,"",@progbits
; Kernel info:
; codeLenInByte = 452
; NumSgprs: 18
; NumVgprs: 6
; ScratchSize: 0
; MemoryBound: 0
; FloatMode: 240
; IeeeMode: 1
; LDSByteSize: 0 bytes/workgroup (compile time only)
; SGPRBlocks: 2
; VGPRBlocks: 0
; NumSGPRsForWavesPerEU: 18
; NumVGPRsForWavesPerEU: 6
; Occupancy: 16
; WaveLimiterHint : 0
; COMPUTE_PGM_RSRC2:SCRATCH_EN: 0
; COMPUTE_PGM_RSRC2:USER_SGPR: 15
; COMPUTE_PGM_RSRC2:TRAP_HANDLER: 0
; COMPUTE_PGM_RSRC2:TGID_X_EN: 1
; COMPUTE_PGM_RSRC2:TGID_Y_EN: 0
; COMPUTE_PGM_RSRC2:TGID_Z_EN: 0
; COMPUTE_PGM_RSRC2:TIDIG_COMP_CNT: 0
	.section	.text._Z26warp_exclusive_scan_kernelI12hip_bfloat16Lj64ELj2EENSt9enable_ifIXsr10test_utilsE35device_test_enabled_for_warp_size_vIXT1_EEEvE4typeEPT_S5_S4_,"axG",@progbits,_Z26warp_exclusive_scan_kernelI12hip_bfloat16Lj64ELj2EENSt9enable_ifIXsr10test_utilsE35device_test_enabled_for_warp_size_vIXT1_EEEvE4typeEPT_S5_S4_,comdat
	.protected	_Z26warp_exclusive_scan_kernelI12hip_bfloat16Lj64ELj2EENSt9enable_ifIXsr10test_utilsE35device_test_enabled_for_warp_size_vIXT1_EEEvE4typeEPT_S5_S4_ ; -- Begin function _Z26warp_exclusive_scan_kernelI12hip_bfloat16Lj64ELj2EENSt9enable_ifIXsr10test_utilsE35device_test_enabled_for_warp_size_vIXT1_EEEvE4typeEPT_S5_S4_
	.globl	_Z26warp_exclusive_scan_kernelI12hip_bfloat16Lj64ELj2EENSt9enable_ifIXsr10test_utilsE35device_test_enabled_for_warp_size_vIXT1_EEEvE4typeEPT_S5_S4_
	.p2align	8
	.type	_Z26warp_exclusive_scan_kernelI12hip_bfloat16Lj64ELj2EENSt9enable_ifIXsr10test_utilsE35device_test_enabled_for_warp_size_vIXT1_EEEvE4typeEPT_S5_S4_,@function
_Z26warp_exclusive_scan_kernelI12hip_bfloat16Lj64ELj2EENSt9enable_ifIXsr10test_utilsE35device_test_enabled_for_warp_size_vIXT1_EEEvE4typeEPT_S5_S4_: ; @_Z26warp_exclusive_scan_kernelI12hip_bfloat16Lj64ELj2EENSt9enable_ifIXsr10test_utilsE35device_test_enabled_for_warp_size_vIXT1_EEEvE4typeEPT_S5_S4_
; %bb.0:
	s_clause 0x1
	s_load_b32 s2, s[0:1], 0x24
	s_load_b128 s[4:7], s[0:1], 0x0
	s_waitcnt lgkmcnt(0)
	s_and_b32 s2, s2, 0xffff
	s_delay_alu instid0(SALU_CYCLE_1) | instskip(SKIP_1) | instid1(VALU_DEP_1)
	v_mad_u64_u32 v[1:2], null, s15, s2, v[0:1]
	v_mov_b32_e32 v2, 0
	v_lshlrev_b64 v[0:1], 1, v[1:2]
	s_delay_alu instid0(VALU_DEP_1) | instskip(NEXT) | instid1(VALU_DEP_2)
	v_add_co_u32 v2, vcc_lo, s4, v0
	v_add_co_ci_u32_e32 v3, vcc_lo, s5, v1, vcc_lo
	global_load_u16 v2, v[2:3], off
	s_waitcnt vmcnt(0)
	v_mov_b32_dpp v3, v2 row_shr:1 row_mask:0xf bank_mask:0xf
	s_delay_alu instid0(VALU_DEP_1) | instskip(SKIP_1) | instid1(VALU_DEP_1)
	v_lshlrev_b32_e32 v4, 16, v3
	v_lshlrev_b32_e32 v3, 16, v2
	v_add_f32_e32 v2, v3, v4
	s_delay_alu instid0(VALU_DEP_1) | instskip(NEXT) | instid1(VALU_DEP_1)
	v_and_b32_e32 v4, 0x7f800000, v2
	v_cmp_ne_u32_e32 vcc_lo, 0x7f800000, v4
                                        ; implicit-def: $vgpr4
	s_and_saveexec_b32 s2, vcc_lo
	s_delay_alu instid0(SALU_CYCLE_1)
	s_xor_b32 s2, exec_lo, s2
; %bb.1:
	v_bfe_u32 v4, v2, 16, 1
	s_delay_alu instid0(VALU_DEP_1)
	v_add3_u32 v4, v2, v4, 0x7fff
                                        ; implicit-def: $vgpr2
; %bb.2:
	s_and_not1_saveexec_b32 s2, s2
; %bb.3:
	v_and_b32_e32 v4, 0xffff, v2
	v_or_b32_e32 v5, 0x10000, v2
	s_delay_alu instid0(VALU_DEP_2) | instskip(NEXT) | instid1(VALU_DEP_2)
	v_cmp_eq_u32_e32 vcc_lo, 0, v4
	v_cndmask_b32_e32 v4, v5, v2, vcc_lo
; %bb.4:
	s_or_b32 exec_lo, exec_lo, s2
	s_load_b32 s1, s[0:1], 0x10
	v_mbcnt_lo_u32_b32 v2, -1, 0
	s_delay_alu instid0(VALU_DEP_2) | instskip(SKIP_2) | instid1(VALU_DEP_2)
	v_and_b32_e32 v4, 0xffff0000, v4
	s_waitcnt lgkmcnt(0)
	s_lshl_b32 s0, s1, 16
	v_and_b32_e32 v5, 1, v2
	s_delay_alu instid0(VALU_DEP_1) | instskip(SKIP_1) | instid1(VALU_DEP_1)
	v_cmp_eq_u32_e32 vcc_lo, 0, v5
	v_cndmask_b32_e32 v3, v4, v3, vcc_lo
	v_add_f32_e32 v4, s0, v3
	s_delay_alu instid0(VALU_DEP_1) | instskip(NEXT) | instid1(VALU_DEP_1)
	v_and_b32_e32 v3, 0x7f800000, v4
	v_cmp_ne_u32_e64 s0, 0x7f800000, v3
                                        ; implicit-def: $vgpr3
	s_delay_alu instid0(VALU_DEP_1) | instskip(NEXT) | instid1(SALU_CYCLE_1)
	s_and_saveexec_b32 s2, s0
	s_xor_b32 s0, exec_lo, s2
; %bb.5:
	v_bfe_u32 v3, v4, 16, 1
	s_delay_alu instid0(VALU_DEP_1)
	v_add3_u32 v3, v4, v3, 0x7fff
                                        ; implicit-def: $vgpr4
; %bb.6:
	s_and_not1_saveexec_b32 s2, s0
; %bb.7:
	v_and_b32_e32 v3, 0xffff, v4
	v_or_b32_e32 v5, 0x10000, v4
	s_delay_alu instid0(VALU_DEP_2) | instskip(NEXT) | instid1(VALU_DEP_1)
	v_cmp_eq_u32_e64 s0, 0, v3
	v_cndmask_b32_e64 v3, v5, v4, s0
; %bb.8:
	s_or_b32 exec_lo, exec_lo, s2
	v_add_nc_u32_e32 v4, -1, v2
	v_and_b32_e32 v5, 30, v2
	s_delay_alu instid0(VALU_DEP_3) | instskip(NEXT) | instid1(VALU_DEP_2)
	v_lshrrev_b32_e32 v3, 16, v3
	v_cmp_lt_i32_e64 s0, v4, v5
	s_delay_alu instid0(VALU_DEP_1) | instskip(NEXT) | instid1(VALU_DEP_1)
	v_cndmask_b32_e64 v2, v4, v2, s0
	v_lshlrev_b32_e32 v2, 2, v2
	ds_bpermute_b32 v2, v2, v3
	s_waitcnt lgkmcnt(0)
	v_cndmask_b32_e64 v2, v2, s1, vcc_lo
	v_add_co_u32 v0, vcc_lo, s6, v0
	v_add_co_ci_u32_e32 v1, vcc_lo, s7, v1, vcc_lo
	global_store_b16 v[0:1], v2, off
	s_nop 0
	s_sendmsg sendmsg(MSG_DEALLOC_VGPRS)
	s_endpgm
	.section	.rodata,"a",@progbits
	.p2align	6, 0x0
	.amdhsa_kernel _Z26warp_exclusive_scan_kernelI12hip_bfloat16Lj64ELj2EENSt9enable_ifIXsr10test_utilsE35device_test_enabled_for_warp_size_vIXT1_EEEvE4typeEPT_S5_S4_
		.amdhsa_group_segment_fixed_size 0
		.amdhsa_private_segment_fixed_size 0
		.amdhsa_kernarg_size 280
		.amdhsa_user_sgpr_count 15
		.amdhsa_user_sgpr_dispatch_ptr 0
		.amdhsa_user_sgpr_queue_ptr 0
		.amdhsa_user_sgpr_kernarg_segment_ptr 1
		.amdhsa_user_sgpr_dispatch_id 0
		.amdhsa_user_sgpr_private_segment_size 0
		.amdhsa_wavefront_size32 1
		.amdhsa_uses_dynamic_stack 0
		.amdhsa_enable_private_segment 0
		.amdhsa_system_sgpr_workgroup_id_x 1
		.amdhsa_system_sgpr_workgroup_id_y 0
		.amdhsa_system_sgpr_workgroup_id_z 0
		.amdhsa_system_sgpr_workgroup_info 0
		.amdhsa_system_vgpr_workitem_id 0
		.amdhsa_next_free_vgpr 6
		.amdhsa_next_free_sgpr 16
		.amdhsa_reserve_vcc 1
		.amdhsa_float_round_mode_32 0
		.amdhsa_float_round_mode_16_64 0
		.amdhsa_float_denorm_mode_32 3
		.amdhsa_float_denorm_mode_16_64 3
		.amdhsa_dx10_clamp 1
		.amdhsa_ieee_mode 1
		.amdhsa_fp16_overflow 0
		.amdhsa_workgroup_processor_mode 1
		.amdhsa_memory_ordered 1
		.amdhsa_forward_progress 0
		.amdhsa_shared_vgpr_count 0
		.amdhsa_exception_fp_ieee_invalid_op 0
		.amdhsa_exception_fp_denorm_src 0
		.amdhsa_exception_fp_ieee_div_zero 0
		.amdhsa_exception_fp_ieee_overflow 0
		.amdhsa_exception_fp_ieee_underflow 0
		.amdhsa_exception_fp_ieee_inexact 0
		.amdhsa_exception_int_div_zero 0
	.end_amdhsa_kernel
	.section	.text._Z26warp_exclusive_scan_kernelI12hip_bfloat16Lj64ELj2EENSt9enable_ifIXsr10test_utilsE35device_test_enabled_for_warp_size_vIXT1_EEEvE4typeEPT_S5_S4_,"axG",@progbits,_Z26warp_exclusive_scan_kernelI12hip_bfloat16Lj64ELj2EENSt9enable_ifIXsr10test_utilsE35device_test_enabled_for_warp_size_vIXT1_EEEvE4typeEPT_S5_S4_,comdat
.Lfunc_end140:
	.size	_Z26warp_exclusive_scan_kernelI12hip_bfloat16Lj64ELj2EENSt9enable_ifIXsr10test_utilsE35device_test_enabled_for_warp_size_vIXT1_EEEvE4typeEPT_S5_S4_, .Lfunc_end140-_Z26warp_exclusive_scan_kernelI12hip_bfloat16Lj64ELj2EENSt9enable_ifIXsr10test_utilsE35device_test_enabled_for_warp_size_vIXT1_EEEvE4typeEPT_S5_S4_
                                        ; -- End function
	.section	.AMDGPU.csdata,"",@progbits
; Kernel info:
; codeLenInByte = 452
; NumSgprs: 18
; NumVgprs: 6
; ScratchSize: 0
; MemoryBound: 0
; FloatMode: 240
; IeeeMode: 1
; LDSByteSize: 0 bytes/workgroup (compile time only)
; SGPRBlocks: 2
; VGPRBlocks: 0
; NumSGPRsForWavesPerEU: 18
; NumVGPRsForWavesPerEU: 6
; Occupancy: 16
; WaveLimiterHint : 0
; COMPUTE_PGM_RSRC2:SCRATCH_EN: 0
; COMPUTE_PGM_RSRC2:USER_SGPR: 15
; COMPUTE_PGM_RSRC2:TRAP_HANDLER: 0
; COMPUTE_PGM_RSRC2:TGID_X_EN: 1
; COMPUTE_PGM_RSRC2:TGID_Y_EN: 0
; COMPUTE_PGM_RSRC2:TGID_Z_EN: 0
; COMPUTE_PGM_RSRC2:TIDIG_COMP_CNT: 0
	.section	.text._Z26warp_exclusive_scan_kernelI6__halfLj256ELj64EENSt9enable_ifIXntsr10test_utilsE35device_test_enabled_for_warp_size_vIXT1_EEEvE4typeEPT_S5_S4_,"axG",@progbits,_Z26warp_exclusive_scan_kernelI6__halfLj256ELj64EENSt9enable_ifIXntsr10test_utilsE35device_test_enabled_for_warp_size_vIXT1_EEEvE4typeEPT_S5_S4_,comdat
	.protected	_Z26warp_exclusive_scan_kernelI6__halfLj256ELj64EENSt9enable_ifIXntsr10test_utilsE35device_test_enabled_for_warp_size_vIXT1_EEEvE4typeEPT_S5_S4_ ; -- Begin function _Z26warp_exclusive_scan_kernelI6__halfLj256ELj64EENSt9enable_ifIXntsr10test_utilsE35device_test_enabled_for_warp_size_vIXT1_EEEvE4typeEPT_S5_S4_
	.globl	_Z26warp_exclusive_scan_kernelI6__halfLj256ELj64EENSt9enable_ifIXntsr10test_utilsE35device_test_enabled_for_warp_size_vIXT1_EEEvE4typeEPT_S5_S4_
	.p2align	8
	.type	_Z26warp_exclusive_scan_kernelI6__halfLj256ELj64EENSt9enable_ifIXntsr10test_utilsE35device_test_enabled_for_warp_size_vIXT1_EEEvE4typeEPT_S5_S4_,@function
_Z26warp_exclusive_scan_kernelI6__halfLj256ELj64EENSt9enable_ifIXntsr10test_utilsE35device_test_enabled_for_warp_size_vIXT1_EEEvE4typeEPT_S5_S4_: ; @_Z26warp_exclusive_scan_kernelI6__halfLj256ELj64EENSt9enable_ifIXntsr10test_utilsE35device_test_enabled_for_warp_size_vIXT1_EEEvE4typeEPT_S5_S4_
; %bb.0:
	s_endpgm
	.section	.rodata,"a",@progbits
	.p2align	6, 0x0
	.amdhsa_kernel _Z26warp_exclusive_scan_kernelI6__halfLj256ELj64EENSt9enable_ifIXntsr10test_utilsE35device_test_enabled_for_warp_size_vIXT1_EEEvE4typeEPT_S5_S4_
		.amdhsa_group_segment_fixed_size 0
		.amdhsa_private_segment_fixed_size 0
		.amdhsa_kernarg_size 20
		.amdhsa_user_sgpr_count 15
		.amdhsa_user_sgpr_dispatch_ptr 0
		.amdhsa_user_sgpr_queue_ptr 0
		.amdhsa_user_sgpr_kernarg_segment_ptr 1
		.amdhsa_user_sgpr_dispatch_id 0
		.amdhsa_user_sgpr_private_segment_size 0
		.amdhsa_wavefront_size32 1
		.amdhsa_uses_dynamic_stack 0
		.amdhsa_enable_private_segment 0
		.amdhsa_system_sgpr_workgroup_id_x 1
		.amdhsa_system_sgpr_workgroup_id_y 0
		.amdhsa_system_sgpr_workgroup_id_z 0
		.amdhsa_system_sgpr_workgroup_info 0
		.amdhsa_system_vgpr_workitem_id 0
		.amdhsa_next_free_vgpr 1
		.amdhsa_next_free_sgpr 1
		.amdhsa_reserve_vcc 0
		.amdhsa_float_round_mode_32 0
		.amdhsa_float_round_mode_16_64 0
		.amdhsa_float_denorm_mode_32 3
		.amdhsa_float_denorm_mode_16_64 3
		.amdhsa_dx10_clamp 1
		.amdhsa_ieee_mode 1
		.amdhsa_fp16_overflow 0
		.amdhsa_workgroup_processor_mode 1
		.amdhsa_memory_ordered 1
		.amdhsa_forward_progress 0
		.amdhsa_shared_vgpr_count 0
		.amdhsa_exception_fp_ieee_invalid_op 0
		.amdhsa_exception_fp_denorm_src 0
		.amdhsa_exception_fp_ieee_div_zero 0
		.amdhsa_exception_fp_ieee_overflow 0
		.amdhsa_exception_fp_ieee_underflow 0
		.amdhsa_exception_fp_ieee_inexact 0
		.amdhsa_exception_int_div_zero 0
	.end_amdhsa_kernel
	.section	.text._Z26warp_exclusive_scan_kernelI6__halfLj256ELj64EENSt9enable_ifIXntsr10test_utilsE35device_test_enabled_for_warp_size_vIXT1_EEEvE4typeEPT_S5_S4_,"axG",@progbits,_Z26warp_exclusive_scan_kernelI6__halfLj256ELj64EENSt9enable_ifIXntsr10test_utilsE35device_test_enabled_for_warp_size_vIXT1_EEEvE4typeEPT_S5_S4_,comdat
.Lfunc_end141:
	.size	_Z26warp_exclusive_scan_kernelI6__halfLj256ELj64EENSt9enable_ifIXntsr10test_utilsE35device_test_enabled_for_warp_size_vIXT1_EEEvE4typeEPT_S5_S4_, .Lfunc_end141-_Z26warp_exclusive_scan_kernelI6__halfLj256ELj64EENSt9enable_ifIXntsr10test_utilsE35device_test_enabled_for_warp_size_vIXT1_EEEvE4typeEPT_S5_S4_
                                        ; -- End function
	.section	.AMDGPU.csdata,"",@progbits
; Kernel info:
; codeLenInByte = 4
; NumSgprs: 0
; NumVgprs: 0
; ScratchSize: 0
; MemoryBound: 0
; FloatMode: 240
; IeeeMode: 1
; LDSByteSize: 0 bytes/workgroup (compile time only)
; SGPRBlocks: 0
; VGPRBlocks: 0
; NumSGPRsForWavesPerEU: 1
; NumVGPRsForWavesPerEU: 1
; Occupancy: 16
; WaveLimiterHint : 0
; COMPUTE_PGM_RSRC2:SCRATCH_EN: 0
; COMPUTE_PGM_RSRC2:USER_SGPR: 15
; COMPUTE_PGM_RSRC2:TRAP_HANDLER: 0
; COMPUTE_PGM_RSRC2:TGID_X_EN: 1
; COMPUTE_PGM_RSRC2:TGID_Y_EN: 0
; COMPUTE_PGM_RSRC2:TGID_Z_EN: 0
; COMPUTE_PGM_RSRC2:TIDIG_COMP_CNT: 0
	.section	.text._Z26warp_exclusive_scan_kernelI6__halfLj128ELj32EENSt9enable_ifIXsr10test_utilsE35device_test_enabled_for_warp_size_vIXT1_EEEvE4typeEPT_S5_S4_,"axG",@progbits,_Z26warp_exclusive_scan_kernelI6__halfLj128ELj32EENSt9enable_ifIXsr10test_utilsE35device_test_enabled_for_warp_size_vIXT1_EEEvE4typeEPT_S5_S4_,comdat
	.protected	_Z26warp_exclusive_scan_kernelI6__halfLj128ELj32EENSt9enable_ifIXsr10test_utilsE35device_test_enabled_for_warp_size_vIXT1_EEEvE4typeEPT_S5_S4_ ; -- Begin function _Z26warp_exclusive_scan_kernelI6__halfLj128ELj32EENSt9enable_ifIXsr10test_utilsE35device_test_enabled_for_warp_size_vIXT1_EEEvE4typeEPT_S5_S4_
	.globl	_Z26warp_exclusive_scan_kernelI6__halfLj128ELj32EENSt9enable_ifIXsr10test_utilsE35device_test_enabled_for_warp_size_vIXT1_EEEvE4typeEPT_S5_S4_
	.p2align	8
	.type	_Z26warp_exclusive_scan_kernelI6__halfLj128ELj32EENSt9enable_ifIXsr10test_utilsE35device_test_enabled_for_warp_size_vIXT1_EEEvE4typeEPT_S5_S4_,@function
_Z26warp_exclusive_scan_kernelI6__halfLj128ELj32EENSt9enable_ifIXsr10test_utilsE35device_test_enabled_for_warp_size_vIXT1_EEEvE4typeEPT_S5_S4_: ; @_Z26warp_exclusive_scan_kernelI6__halfLj128ELj32EENSt9enable_ifIXsr10test_utilsE35device_test_enabled_for_warp_size_vIXT1_EEEvE4typeEPT_S5_S4_
; %bb.0:
	s_clause 0x1
	s_load_b32 s2, s[0:1], 0x24
	s_load_b128 s[4:7], s[0:1], 0x0
	v_mbcnt_lo_u32_b32 v4, -1, 0
	s_load_b32 s0, s[0:1], 0x10
	s_delay_alu instid0(VALU_DEP_1) | instskip(SKIP_3) | instid1(SALU_CYCLE_1)
	v_add_nc_u32_e32 v6, -1, v4
	v_and_b32_e32 v5, 15, v4
	s_waitcnt lgkmcnt(0)
	s_and_b32 s2, s2, 0xffff
	v_mad_u64_u32 v[1:2], null, s15, s2, v[0:1]
	v_mov_b32_e32 v2, 0
	s_delay_alu instid0(VALU_DEP_1) | instskip(NEXT) | instid1(VALU_DEP_1)
	v_lshlrev_b64 v[0:1], 1, v[1:2]
	v_add_co_u32 v2, vcc_lo, s4, v0
	s_delay_alu instid0(VALU_DEP_2) | instskip(SKIP_4) | instid1(VALU_DEP_1)
	v_add_co_ci_u32_e32 v3, vcc_lo, s5, v1, vcc_lo
	v_cmp_eq_u32_e32 vcc_lo, 0, v5
	global_load_u16 v2, v[2:3], off
	s_waitcnt vmcnt(0)
	v_and_b32_e32 v3, 0xffff, v2
	v_mov_b32_dpp v3, v3 row_shr:1 row_mask:0xf bank_mask:0xf
	s_delay_alu instid0(VALU_DEP_1) | instskip(NEXT) | instid1(VALU_DEP_1)
	v_add_f16_e32 v3, v2, v3
	v_cndmask_b32_e32 v2, v3, v2, vcc_lo
	v_cmp_lt_u32_e32 vcc_lo, 1, v5
	s_delay_alu instid0(VALU_DEP_2) | instskip(NEXT) | instid1(VALU_DEP_1)
	v_and_b32_e32 v3, 0xffff, v2
	v_mov_b32_dpp v3, v3 row_shr:2 row_mask:0xf bank_mask:0xf
	s_delay_alu instid0(VALU_DEP_1) | instskip(NEXT) | instid1(VALU_DEP_1)
	v_add_f16_e32 v3, v2, v3
	v_cndmask_b32_e32 v2, v2, v3, vcc_lo
	v_cmp_lt_u32_e32 vcc_lo, 3, v5
	s_delay_alu instid0(VALU_DEP_2) | instskip(NEXT) | instid1(VALU_DEP_1)
	v_and_b32_e32 v3, 0xffff, v2
	v_mov_b32_dpp v3, v3 row_shr:4 row_mask:0xf bank_mask:0xf
	s_delay_alu instid0(VALU_DEP_1) | instskip(NEXT) | instid1(VALU_DEP_1)
	v_add_f16_e32 v3, v2, v3
	v_cndmask_b32_e32 v2, v2, v3, vcc_lo
	v_cmp_lt_u32_e32 vcc_lo, 7, v5
	v_and_b32_e32 v5, 16, v4
	s_delay_alu instid0(VALU_DEP_3) | instskip(NEXT) | instid1(VALU_DEP_1)
	v_and_b32_e32 v3, 0xffff, v2
	v_mov_b32_dpp v3, v3 row_shr:8 row_mask:0xf bank_mask:0xf
	s_delay_alu instid0(VALU_DEP_1) | instskip(NEXT) | instid1(VALU_DEP_1)
	v_add_f16_e32 v3, v2, v3
	v_cndmask_b32_e32 v2, v2, v3, vcc_lo
	v_cmp_eq_u32_e32 vcc_lo, 0, v5
	s_delay_alu instid0(VALU_DEP_2) | instskip(SKIP_3) | instid1(VALU_DEP_1)
	v_and_b32_e32 v3, 0xffff, v2
	ds_swizzle_b32 v3, v3 offset:swizzle(BROADCAST,32,15)
	s_waitcnt lgkmcnt(0)
	v_add_f16_e32 v3, v2, v3
	v_cndmask_b32_e32 v2, v3, v2, vcc_lo
	v_cmp_gt_i32_e32 vcc_lo, 0, v6
	v_cndmask_b32_e32 v3, v6, v4, vcc_lo
	s_delay_alu instid0(VALU_DEP_3) | instskip(SKIP_1) | instid1(VALU_DEP_3)
	v_add_f16_e32 v2, s0, v2
	v_cmp_eq_u32_e32 vcc_lo, 0, v4
	v_lshlrev_b32_e32 v3, 2, v3
	s_delay_alu instid0(VALU_DEP_3)
	v_and_b32_e32 v2, 0xffff, v2
	ds_bpermute_b32 v2, v3, v2
	s_waitcnt lgkmcnt(0)
	v_cndmask_b32_e64 v2, v2, s0, vcc_lo
	v_add_co_u32 v0, vcc_lo, s6, v0
	v_add_co_ci_u32_e32 v1, vcc_lo, s7, v1, vcc_lo
	global_store_b16 v[0:1], v2, off
	s_nop 0
	s_sendmsg sendmsg(MSG_DEALLOC_VGPRS)
	s_endpgm
	.section	.rodata,"a",@progbits
	.p2align	6, 0x0
	.amdhsa_kernel _Z26warp_exclusive_scan_kernelI6__halfLj128ELj32EENSt9enable_ifIXsr10test_utilsE35device_test_enabled_for_warp_size_vIXT1_EEEvE4typeEPT_S5_S4_
		.amdhsa_group_segment_fixed_size 0
		.amdhsa_private_segment_fixed_size 0
		.amdhsa_kernarg_size 280
		.amdhsa_user_sgpr_count 15
		.amdhsa_user_sgpr_dispatch_ptr 0
		.amdhsa_user_sgpr_queue_ptr 0
		.amdhsa_user_sgpr_kernarg_segment_ptr 1
		.amdhsa_user_sgpr_dispatch_id 0
		.amdhsa_user_sgpr_private_segment_size 0
		.amdhsa_wavefront_size32 1
		.amdhsa_uses_dynamic_stack 0
		.amdhsa_enable_private_segment 0
		.amdhsa_system_sgpr_workgroup_id_x 1
		.amdhsa_system_sgpr_workgroup_id_y 0
		.amdhsa_system_sgpr_workgroup_id_z 0
		.amdhsa_system_sgpr_workgroup_info 0
		.amdhsa_system_vgpr_workitem_id 0
		.amdhsa_next_free_vgpr 7
		.amdhsa_next_free_sgpr 16
		.amdhsa_reserve_vcc 1
		.amdhsa_float_round_mode_32 0
		.amdhsa_float_round_mode_16_64 0
		.amdhsa_float_denorm_mode_32 3
		.amdhsa_float_denorm_mode_16_64 3
		.amdhsa_dx10_clamp 1
		.amdhsa_ieee_mode 1
		.amdhsa_fp16_overflow 0
		.amdhsa_workgroup_processor_mode 1
		.amdhsa_memory_ordered 1
		.amdhsa_forward_progress 0
		.amdhsa_shared_vgpr_count 0
		.amdhsa_exception_fp_ieee_invalid_op 0
		.amdhsa_exception_fp_denorm_src 0
		.amdhsa_exception_fp_ieee_div_zero 0
		.amdhsa_exception_fp_ieee_overflow 0
		.amdhsa_exception_fp_ieee_underflow 0
		.amdhsa_exception_fp_ieee_inexact 0
		.amdhsa_exception_int_div_zero 0
	.end_amdhsa_kernel
	.section	.text._Z26warp_exclusive_scan_kernelI6__halfLj128ELj32EENSt9enable_ifIXsr10test_utilsE35device_test_enabled_for_warp_size_vIXT1_EEEvE4typeEPT_S5_S4_,"axG",@progbits,_Z26warp_exclusive_scan_kernelI6__halfLj128ELj32EENSt9enable_ifIXsr10test_utilsE35device_test_enabled_for_warp_size_vIXT1_EEEvE4typeEPT_S5_S4_,comdat
.Lfunc_end142:
	.size	_Z26warp_exclusive_scan_kernelI6__halfLj128ELj32EENSt9enable_ifIXsr10test_utilsE35device_test_enabled_for_warp_size_vIXT1_EEEvE4typeEPT_S5_S4_, .Lfunc_end142-_Z26warp_exclusive_scan_kernelI6__halfLj128ELj32EENSt9enable_ifIXsr10test_utilsE35device_test_enabled_for_warp_size_vIXT1_EEEvE4typeEPT_S5_S4_
                                        ; -- End function
	.section	.AMDGPU.csdata,"",@progbits
; Kernel info:
; codeLenInByte = 380
; NumSgprs: 18
; NumVgprs: 7
; ScratchSize: 0
; MemoryBound: 0
; FloatMode: 240
; IeeeMode: 1
; LDSByteSize: 0 bytes/workgroup (compile time only)
; SGPRBlocks: 2
; VGPRBlocks: 0
; NumSGPRsForWavesPerEU: 18
; NumVGPRsForWavesPerEU: 7
; Occupancy: 16
; WaveLimiterHint : 0
; COMPUTE_PGM_RSRC2:SCRATCH_EN: 0
; COMPUTE_PGM_RSRC2:USER_SGPR: 15
; COMPUTE_PGM_RSRC2:TRAP_HANDLER: 0
; COMPUTE_PGM_RSRC2:TGID_X_EN: 1
; COMPUTE_PGM_RSRC2:TGID_Y_EN: 0
; COMPUTE_PGM_RSRC2:TGID_Z_EN: 0
; COMPUTE_PGM_RSRC2:TIDIG_COMP_CNT: 0
	.section	.text._Z26warp_exclusive_scan_kernelI6__halfLj64ELj16EENSt9enable_ifIXsr10test_utilsE35device_test_enabled_for_warp_size_vIXT1_EEEvE4typeEPT_S5_S4_,"axG",@progbits,_Z26warp_exclusive_scan_kernelI6__halfLj64ELj16EENSt9enable_ifIXsr10test_utilsE35device_test_enabled_for_warp_size_vIXT1_EEEvE4typeEPT_S5_S4_,comdat
	.protected	_Z26warp_exclusive_scan_kernelI6__halfLj64ELj16EENSt9enable_ifIXsr10test_utilsE35device_test_enabled_for_warp_size_vIXT1_EEEvE4typeEPT_S5_S4_ ; -- Begin function _Z26warp_exclusive_scan_kernelI6__halfLj64ELj16EENSt9enable_ifIXsr10test_utilsE35device_test_enabled_for_warp_size_vIXT1_EEEvE4typeEPT_S5_S4_
	.globl	_Z26warp_exclusive_scan_kernelI6__halfLj64ELj16EENSt9enable_ifIXsr10test_utilsE35device_test_enabled_for_warp_size_vIXT1_EEEvE4typeEPT_S5_S4_
	.p2align	8
	.type	_Z26warp_exclusive_scan_kernelI6__halfLj64ELj16EENSt9enable_ifIXsr10test_utilsE35device_test_enabled_for_warp_size_vIXT1_EEEvE4typeEPT_S5_S4_,@function
_Z26warp_exclusive_scan_kernelI6__halfLj64ELj16EENSt9enable_ifIXsr10test_utilsE35device_test_enabled_for_warp_size_vIXT1_EEEvE4typeEPT_S5_S4_: ; @_Z26warp_exclusive_scan_kernelI6__halfLj64ELj16EENSt9enable_ifIXsr10test_utilsE35device_test_enabled_for_warp_size_vIXT1_EEEvE4typeEPT_S5_S4_
; %bb.0:
	s_clause 0x1
	s_load_b32 s2, s[0:1], 0x24
	s_load_b128 s[4:7], s[0:1], 0x0
	v_mbcnt_lo_u32_b32 v4, -1, 0
	s_load_b32 s1, s[0:1], 0x10
	s_delay_alu instid0(VALU_DEP_1) | instskip(SKIP_2) | instid1(VALU_DEP_2)
	v_add_nc_u32_e32 v6, -1, v4
	v_and_b32_e32 v5, 15, v4
	v_and_b32_e32 v7, 16, v4
	v_cmp_lt_u32_e64 s0, 1, v5
	s_waitcnt lgkmcnt(0)
	s_and_b32 s2, s2, 0xffff
	s_delay_alu instid0(SALU_CYCLE_1) | instskip(SKIP_1) | instid1(VALU_DEP_1)
	v_mad_u64_u32 v[1:2], null, s15, s2, v[0:1]
	v_mov_b32_e32 v2, 0
	v_lshlrev_b64 v[0:1], 1, v[1:2]
	s_delay_alu instid0(VALU_DEP_1) | instskip(NEXT) | instid1(VALU_DEP_2)
	v_add_co_u32 v2, vcc_lo, s4, v0
	v_add_co_ci_u32_e32 v3, vcc_lo, s5, v1, vcc_lo
	v_cmp_eq_u32_e32 vcc_lo, 0, v5
	global_load_u16 v2, v[2:3], off
	s_waitcnt vmcnt(0)
	v_and_b32_e32 v3, 0xffff, v2
	s_delay_alu instid0(VALU_DEP_1) | instskip(NEXT) | instid1(VALU_DEP_1)
	v_mov_b32_dpp v3, v3 row_shr:1 row_mask:0xf bank_mask:0xf
	v_add_f16_e32 v3, v2, v3
	s_delay_alu instid0(VALU_DEP_1) | instskip(NEXT) | instid1(VALU_DEP_1)
	v_cndmask_b32_e32 v2, v3, v2, vcc_lo
	v_and_b32_e32 v3, 0xffff, v2
	s_delay_alu instid0(VALU_DEP_1) | instskip(NEXT) | instid1(VALU_DEP_1)
	v_mov_b32_dpp v3, v3 row_shr:2 row_mask:0xf bank_mask:0xf
	v_add_f16_e32 v3, v2, v3
	s_delay_alu instid0(VALU_DEP_1) | instskip(SKIP_1) | instid1(VALU_DEP_2)
	v_cndmask_b32_e64 v2, v2, v3, s0
	v_cmp_lt_u32_e64 s0, 3, v5
	v_and_b32_e32 v3, 0xffff, v2
	s_delay_alu instid0(VALU_DEP_1) | instskip(NEXT) | instid1(VALU_DEP_1)
	v_mov_b32_dpp v3, v3 row_shr:4 row_mask:0xf bank_mask:0xf
	v_add_f16_e32 v3, v2, v3
	s_delay_alu instid0(VALU_DEP_1) | instskip(SKIP_1) | instid1(VALU_DEP_2)
	v_cndmask_b32_e64 v2, v2, v3, s0
	v_cmp_lt_u32_e64 s0, 7, v5
	v_and_b32_e32 v3, 0xffff, v2
	s_delay_alu instid0(VALU_DEP_1) | instskip(NEXT) | instid1(VALU_DEP_1)
	v_mov_b32_dpp v3, v3 row_shr:8 row_mask:0xf bank_mask:0xf
	v_add_f16_e32 v3, v2, v3
	s_delay_alu instid0(VALU_DEP_1) | instskip(SKIP_1) | instid1(VALU_DEP_2)
	v_cndmask_b32_e64 v2, v2, v3, s0
	v_cmp_lt_i32_e64 s0, v6, v7
	v_add_f16_e32 v2, s1, v2
	s_delay_alu instid0(VALU_DEP_2) | instskip(NEXT) | instid1(VALU_DEP_2)
	v_cndmask_b32_e64 v3, v6, v4, s0
	v_and_b32_e32 v2, 0xffff, v2
	s_delay_alu instid0(VALU_DEP_2)
	v_lshlrev_b32_e32 v3, 2, v3
	ds_bpermute_b32 v2, v3, v2
	s_waitcnt lgkmcnt(0)
	v_cndmask_b32_e64 v2, v2, s1, vcc_lo
	v_add_co_u32 v0, vcc_lo, s6, v0
	v_add_co_ci_u32_e32 v1, vcc_lo, s7, v1, vcc_lo
	global_store_b16 v[0:1], v2, off
	s_nop 0
	s_sendmsg sendmsg(MSG_DEALLOC_VGPRS)
	s_endpgm
	.section	.rodata,"a",@progbits
	.p2align	6, 0x0
	.amdhsa_kernel _Z26warp_exclusive_scan_kernelI6__halfLj64ELj16EENSt9enable_ifIXsr10test_utilsE35device_test_enabled_for_warp_size_vIXT1_EEEvE4typeEPT_S5_S4_
		.amdhsa_group_segment_fixed_size 0
		.amdhsa_private_segment_fixed_size 0
		.amdhsa_kernarg_size 280
		.amdhsa_user_sgpr_count 15
		.amdhsa_user_sgpr_dispatch_ptr 0
		.amdhsa_user_sgpr_queue_ptr 0
		.amdhsa_user_sgpr_kernarg_segment_ptr 1
		.amdhsa_user_sgpr_dispatch_id 0
		.amdhsa_user_sgpr_private_segment_size 0
		.amdhsa_wavefront_size32 1
		.amdhsa_uses_dynamic_stack 0
		.amdhsa_enable_private_segment 0
		.amdhsa_system_sgpr_workgroup_id_x 1
		.amdhsa_system_sgpr_workgroup_id_y 0
		.amdhsa_system_sgpr_workgroup_id_z 0
		.amdhsa_system_sgpr_workgroup_info 0
		.amdhsa_system_vgpr_workitem_id 0
		.amdhsa_next_free_vgpr 8
		.amdhsa_next_free_sgpr 16
		.amdhsa_reserve_vcc 1
		.amdhsa_float_round_mode_32 0
		.amdhsa_float_round_mode_16_64 0
		.amdhsa_float_denorm_mode_32 3
		.amdhsa_float_denorm_mode_16_64 3
		.amdhsa_dx10_clamp 1
		.amdhsa_ieee_mode 1
		.amdhsa_fp16_overflow 0
		.amdhsa_workgroup_processor_mode 1
		.amdhsa_memory_ordered 1
		.amdhsa_forward_progress 0
		.amdhsa_shared_vgpr_count 0
		.amdhsa_exception_fp_ieee_invalid_op 0
		.amdhsa_exception_fp_denorm_src 0
		.amdhsa_exception_fp_ieee_div_zero 0
		.amdhsa_exception_fp_ieee_overflow 0
		.amdhsa_exception_fp_ieee_underflow 0
		.amdhsa_exception_fp_ieee_inexact 0
		.amdhsa_exception_int_div_zero 0
	.end_amdhsa_kernel
	.section	.text._Z26warp_exclusive_scan_kernelI6__halfLj64ELj16EENSt9enable_ifIXsr10test_utilsE35device_test_enabled_for_warp_size_vIXT1_EEEvE4typeEPT_S5_S4_,"axG",@progbits,_Z26warp_exclusive_scan_kernelI6__halfLj64ELj16EENSt9enable_ifIXsr10test_utilsE35device_test_enabled_for_warp_size_vIXT1_EEEvE4typeEPT_S5_S4_,comdat
.Lfunc_end143:
	.size	_Z26warp_exclusive_scan_kernelI6__halfLj64ELj16EENSt9enable_ifIXsr10test_utilsE35device_test_enabled_for_warp_size_vIXT1_EEEvE4typeEPT_S5_S4_, .Lfunc_end143-_Z26warp_exclusive_scan_kernelI6__halfLj64ELj16EENSt9enable_ifIXsr10test_utilsE35device_test_enabled_for_warp_size_vIXT1_EEEvE4typeEPT_S5_S4_
                                        ; -- End function
	.section	.AMDGPU.csdata,"",@progbits
; Kernel info:
; codeLenInByte = 376
; NumSgprs: 18
; NumVgprs: 8
; ScratchSize: 0
; MemoryBound: 0
; FloatMode: 240
; IeeeMode: 1
; LDSByteSize: 0 bytes/workgroup (compile time only)
; SGPRBlocks: 2
; VGPRBlocks: 0
; NumSGPRsForWavesPerEU: 18
; NumVGPRsForWavesPerEU: 8
; Occupancy: 16
; WaveLimiterHint : 0
; COMPUTE_PGM_RSRC2:SCRATCH_EN: 0
; COMPUTE_PGM_RSRC2:USER_SGPR: 15
; COMPUTE_PGM_RSRC2:TRAP_HANDLER: 0
; COMPUTE_PGM_RSRC2:TGID_X_EN: 1
; COMPUTE_PGM_RSRC2:TGID_Y_EN: 0
; COMPUTE_PGM_RSRC2:TGID_Z_EN: 0
; COMPUTE_PGM_RSRC2:TIDIG_COMP_CNT: 0
	.section	.text._Z26warp_exclusive_scan_kernelI6__halfLj32ELj8EENSt9enable_ifIXsr10test_utilsE35device_test_enabled_for_warp_size_vIXT1_EEEvE4typeEPT_S5_S4_,"axG",@progbits,_Z26warp_exclusive_scan_kernelI6__halfLj32ELj8EENSt9enable_ifIXsr10test_utilsE35device_test_enabled_for_warp_size_vIXT1_EEEvE4typeEPT_S5_S4_,comdat
	.protected	_Z26warp_exclusive_scan_kernelI6__halfLj32ELj8EENSt9enable_ifIXsr10test_utilsE35device_test_enabled_for_warp_size_vIXT1_EEEvE4typeEPT_S5_S4_ ; -- Begin function _Z26warp_exclusive_scan_kernelI6__halfLj32ELj8EENSt9enable_ifIXsr10test_utilsE35device_test_enabled_for_warp_size_vIXT1_EEEvE4typeEPT_S5_S4_
	.globl	_Z26warp_exclusive_scan_kernelI6__halfLj32ELj8EENSt9enable_ifIXsr10test_utilsE35device_test_enabled_for_warp_size_vIXT1_EEEvE4typeEPT_S5_S4_
	.p2align	8
	.type	_Z26warp_exclusive_scan_kernelI6__halfLj32ELj8EENSt9enable_ifIXsr10test_utilsE35device_test_enabled_for_warp_size_vIXT1_EEEvE4typeEPT_S5_S4_,@function
_Z26warp_exclusive_scan_kernelI6__halfLj32ELj8EENSt9enable_ifIXsr10test_utilsE35device_test_enabled_for_warp_size_vIXT1_EEEvE4typeEPT_S5_S4_: ; @_Z26warp_exclusive_scan_kernelI6__halfLj32ELj8EENSt9enable_ifIXsr10test_utilsE35device_test_enabled_for_warp_size_vIXT1_EEEvE4typeEPT_S5_S4_
; %bb.0:
	s_clause 0x1
	s_load_b32 s2, s[0:1], 0x24
	s_load_b128 s[4:7], s[0:1], 0x0
	v_mbcnt_lo_u32_b32 v4, -1, 0
	s_load_b32 s1, s[0:1], 0x10
	s_delay_alu instid0(VALU_DEP_1) | instskip(SKIP_2) | instid1(VALU_DEP_2)
	v_add_nc_u32_e32 v6, -1, v4
	v_and_b32_e32 v5, 7, v4
	v_and_b32_e32 v7, 24, v4
	v_cmp_lt_u32_e64 s0, 1, v5
	s_waitcnt lgkmcnt(0)
	s_and_b32 s2, s2, 0xffff
	s_delay_alu instid0(SALU_CYCLE_1) | instskip(SKIP_1) | instid1(VALU_DEP_1)
	v_mad_u64_u32 v[1:2], null, s15, s2, v[0:1]
	v_mov_b32_e32 v2, 0
	v_lshlrev_b64 v[0:1], 1, v[1:2]
	s_delay_alu instid0(VALU_DEP_1) | instskip(NEXT) | instid1(VALU_DEP_2)
	v_add_co_u32 v2, vcc_lo, s4, v0
	v_add_co_ci_u32_e32 v3, vcc_lo, s5, v1, vcc_lo
	v_cmp_eq_u32_e32 vcc_lo, 0, v5
	global_load_u16 v2, v[2:3], off
	s_waitcnt vmcnt(0)
	v_and_b32_e32 v3, 0xffff, v2
	s_delay_alu instid0(VALU_DEP_1) | instskip(NEXT) | instid1(VALU_DEP_1)
	v_mov_b32_dpp v3, v3 row_shr:1 row_mask:0xf bank_mask:0xf
	v_add_f16_e32 v3, v2, v3
	s_delay_alu instid0(VALU_DEP_1) | instskip(NEXT) | instid1(VALU_DEP_1)
	v_cndmask_b32_e32 v2, v3, v2, vcc_lo
	v_and_b32_e32 v3, 0xffff, v2
	s_delay_alu instid0(VALU_DEP_1) | instskip(NEXT) | instid1(VALU_DEP_1)
	v_mov_b32_dpp v3, v3 row_shr:2 row_mask:0xf bank_mask:0xf
	v_add_f16_e32 v3, v2, v3
	s_delay_alu instid0(VALU_DEP_1) | instskip(SKIP_1) | instid1(VALU_DEP_2)
	v_cndmask_b32_e64 v2, v2, v3, s0
	v_cmp_lt_u32_e64 s0, 3, v5
	v_and_b32_e32 v3, 0xffff, v2
	s_delay_alu instid0(VALU_DEP_1) | instskip(NEXT) | instid1(VALU_DEP_1)
	v_mov_b32_dpp v3, v3 row_shr:4 row_mask:0xf bank_mask:0xf
	v_add_f16_e32 v3, v2, v3
	s_delay_alu instid0(VALU_DEP_1) | instskip(SKIP_1) | instid1(VALU_DEP_2)
	v_cndmask_b32_e64 v2, v2, v3, s0
	v_cmp_lt_i32_e64 s0, v6, v7
	v_add_f16_e32 v2, s1, v2
	s_delay_alu instid0(VALU_DEP_2) | instskip(NEXT) | instid1(VALU_DEP_2)
	v_cndmask_b32_e64 v3, v6, v4, s0
	v_and_b32_e32 v2, 0xffff, v2
	s_delay_alu instid0(VALU_DEP_2)
	v_lshlrev_b32_e32 v3, 2, v3
	ds_bpermute_b32 v2, v3, v2
	s_waitcnt lgkmcnt(0)
	v_cndmask_b32_e64 v2, v2, s1, vcc_lo
	v_add_co_u32 v0, vcc_lo, s6, v0
	v_add_co_ci_u32_e32 v1, vcc_lo, s7, v1, vcc_lo
	global_store_b16 v[0:1], v2, off
	s_nop 0
	s_sendmsg sendmsg(MSG_DEALLOC_VGPRS)
	s_endpgm
	.section	.rodata,"a",@progbits
	.p2align	6, 0x0
	.amdhsa_kernel _Z26warp_exclusive_scan_kernelI6__halfLj32ELj8EENSt9enable_ifIXsr10test_utilsE35device_test_enabled_for_warp_size_vIXT1_EEEvE4typeEPT_S5_S4_
		.amdhsa_group_segment_fixed_size 0
		.amdhsa_private_segment_fixed_size 0
		.amdhsa_kernarg_size 280
		.amdhsa_user_sgpr_count 15
		.amdhsa_user_sgpr_dispatch_ptr 0
		.amdhsa_user_sgpr_queue_ptr 0
		.amdhsa_user_sgpr_kernarg_segment_ptr 1
		.amdhsa_user_sgpr_dispatch_id 0
		.amdhsa_user_sgpr_private_segment_size 0
		.amdhsa_wavefront_size32 1
		.amdhsa_uses_dynamic_stack 0
		.amdhsa_enable_private_segment 0
		.amdhsa_system_sgpr_workgroup_id_x 1
		.amdhsa_system_sgpr_workgroup_id_y 0
		.amdhsa_system_sgpr_workgroup_id_z 0
		.amdhsa_system_sgpr_workgroup_info 0
		.amdhsa_system_vgpr_workitem_id 0
		.amdhsa_next_free_vgpr 8
		.amdhsa_next_free_sgpr 16
		.amdhsa_reserve_vcc 1
		.amdhsa_float_round_mode_32 0
		.amdhsa_float_round_mode_16_64 0
		.amdhsa_float_denorm_mode_32 3
		.amdhsa_float_denorm_mode_16_64 3
		.amdhsa_dx10_clamp 1
		.amdhsa_ieee_mode 1
		.amdhsa_fp16_overflow 0
		.amdhsa_workgroup_processor_mode 1
		.amdhsa_memory_ordered 1
		.amdhsa_forward_progress 0
		.amdhsa_shared_vgpr_count 0
		.amdhsa_exception_fp_ieee_invalid_op 0
		.amdhsa_exception_fp_denorm_src 0
		.amdhsa_exception_fp_ieee_div_zero 0
		.amdhsa_exception_fp_ieee_overflow 0
		.amdhsa_exception_fp_ieee_underflow 0
		.amdhsa_exception_fp_ieee_inexact 0
		.amdhsa_exception_int_div_zero 0
	.end_amdhsa_kernel
	.section	.text._Z26warp_exclusive_scan_kernelI6__halfLj32ELj8EENSt9enable_ifIXsr10test_utilsE35device_test_enabled_for_warp_size_vIXT1_EEEvE4typeEPT_S5_S4_,"axG",@progbits,_Z26warp_exclusive_scan_kernelI6__halfLj32ELj8EENSt9enable_ifIXsr10test_utilsE35device_test_enabled_for_warp_size_vIXT1_EEEvE4typeEPT_S5_S4_,comdat
.Lfunc_end144:
	.size	_Z26warp_exclusive_scan_kernelI6__halfLj32ELj8EENSt9enable_ifIXsr10test_utilsE35device_test_enabled_for_warp_size_vIXT1_EEEvE4typeEPT_S5_S4_, .Lfunc_end144-_Z26warp_exclusive_scan_kernelI6__halfLj32ELj8EENSt9enable_ifIXsr10test_utilsE35device_test_enabled_for_warp_size_vIXT1_EEEvE4typeEPT_S5_S4_
                                        ; -- End function
	.section	.AMDGPU.csdata,"",@progbits
; Kernel info:
; codeLenInByte = 332
; NumSgprs: 18
; NumVgprs: 8
; ScratchSize: 0
; MemoryBound: 0
; FloatMode: 240
; IeeeMode: 1
; LDSByteSize: 0 bytes/workgroup (compile time only)
; SGPRBlocks: 2
; VGPRBlocks: 0
; NumSGPRsForWavesPerEU: 18
; NumVGPRsForWavesPerEU: 8
; Occupancy: 16
; WaveLimiterHint : 0
; COMPUTE_PGM_RSRC2:SCRATCH_EN: 0
; COMPUTE_PGM_RSRC2:USER_SGPR: 15
; COMPUTE_PGM_RSRC2:TRAP_HANDLER: 0
; COMPUTE_PGM_RSRC2:TGID_X_EN: 1
; COMPUTE_PGM_RSRC2:TGID_Y_EN: 0
; COMPUTE_PGM_RSRC2:TGID_Z_EN: 0
; COMPUTE_PGM_RSRC2:TIDIG_COMP_CNT: 0
	.section	.text._Z26warp_exclusive_scan_kernelI6__halfLj64ELj8EENSt9enable_ifIXsr10test_utilsE35device_test_enabled_for_warp_size_vIXT1_EEEvE4typeEPT_S5_S4_,"axG",@progbits,_Z26warp_exclusive_scan_kernelI6__halfLj64ELj8EENSt9enable_ifIXsr10test_utilsE35device_test_enabled_for_warp_size_vIXT1_EEEvE4typeEPT_S5_S4_,comdat
	.protected	_Z26warp_exclusive_scan_kernelI6__halfLj64ELj8EENSt9enable_ifIXsr10test_utilsE35device_test_enabled_for_warp_size_vIXT1_EEEvE4typeEPT_S5_S4_ ; -- Begin function _Z26warp_exclusive_scan_kernelI6__halfLj64ELj8EENSt9enable_ifIXsr10test_utilsE35device_test_enabled_for_warp_size_vIXT1_EEEvE4typeEPT_S5_S4_
	.globl	_Z26warp_exclusive_scan_kernelI6__halfLj64ELj8EENSt9enable_ifIXsr10test_utilsE35device_test_enabled_for_warp_size_vIXT1_EEEvE4typeEPT_S5_S4_
	.p2align	8
	.type	_Z26warp_exclusive_scan_kernelI6__halfLj64ELj8EENSt9enable_ifIXsr10test_utilsE35device_test_enabled_for_warp_size_vIXT1_EEEvE4typeEPT_S5_S4_,@function
_Z26warp_exclusive_scan_kernelI6__halfLj64ELj8EENSt9enable_ifIXsr10test_utilsE35device_test_enabled_for_warp_size_vIXT1_EEEvE4typeEPT_S5_S4_: ; @_Z26warp_exclusive_scan_kernelI6__halfLj64ELj8EENSt9enable_ifIXsr10test_utilsE35device_test_enabled_for_warp_size_vIXT1_EEEvE4typeEPT_S5_S4_
; %bb.0:
	s_clause 0x1
	s_load_b32 s2, s[0:1], 0x24
	s_load_b128 s[4:7], s[0:1], 0x0
	v_mbcnt_lo_u32_b32 v4, -1, 0
	s_load_b32 s1, s[0:1], 0x10
	s_delay_alu instid0(VALU_DEP_1) | instskip(SKIP_2) | instid1(VALU_DEP_2)
	v_add_nc_u32_e32 v6, -1, v4
	v_and_b32_e32 v5, 7, v4
	v_and_b32_e32 v7, 24, v4
	v_cmp_lt_u32_e64 s0, 1, v5
	s_waitcnt lgkmcnt(0)
	s_and_b32 s2, s2, 0xffff
	s_delay_alu instid0(SALU_CYCLE_1) | instskip(SKIP_1) | instid1(VALU_DEP_1)
	v_mad_u64_u32 v[1:2], null, s15, s2, v[0:1]
	v_mov_b32_e32 v2, 0
	v_lshlrev_b64 v[0:1], 1, v[1:2]
	s_delay_alu instid0(VALU_DEP_1) | instskip(NEXT) | instid1(VALU_DEP_2)
	v_add_co_u32 v2, vcc_lo, s4, v0
	v_add_co_ci_u32_e32 v3, vcc_lo, s5, v1, vcc_lo
	v_cmp_eq_u32_e32 vcc_lo, 0, v5
	global_load_u16 v2, v[2:3], off
	s_waitcnt vmcnt(0)
	v_and_b32_e32 v3, 0xffff, v2
	s_delay_alu instid0(VALU_DEP_1) | instskip(NEXT) | instid1(VALU_DEP_1)
	v_mov_b32_dpp v3, v3 row_shr:1 row_mask:0xf bank_mask:0xf
	v_add_f16_e32 v3, v2, v3
	s_delay_alu instid0(VALU_DEP_1) | instskip(NEXT) | instid1(VALU_DEP_1)
	v_cndmask_b32_e32 v2, v3, v2, vcc_lo
	v_and_b32_e32 v3, 0xffff, v2
	s_delay_alu instid0(VALU_DEP_1) | instskip(NEXT) | instid1(VALU_DEP_1)
	v_mov_b32_dpp v3, v3 row_shr:2 row_mask:0xf bank_mask:0xf
	v_add_f16_e32 v3, v2, v3
	s_delay_alu instid0(VALU_DEP_1) | instskip(SKIP_1) | instid1(VALU_DEP_2)
	v_cndmask_b32_e64 v2, v2, v3, s0
	v_cmp_lt_u32_e64 s0, 3, v5
	v_and_b32_e32 v3, 0xffff, v2
	s_delay_alu instid0(VALU_DEP_1) | instskip(NEXT) | instid1(VALU_DEP_1)
	v_mov_b32_dpp v3, v3 row_shr:4 row_mask:0xf bank_mask:0xf
	v_add_f16_e32 v3, v2, v3
	s_delay_alu instid0(VALU_DEP_1) | instskip(SKIP_1) | instid1(VALU_DEP_2)
	v_cndmask_b32_e64 v2, v2, v3, s0
	v_cmp_lt_i32_e64 s0, v6, v7
	v_add_f16_e32 v2, s1, v2
	s_delay_alu instid0(VALU_DEP_2) | instskip(NEXT) | instid1(VALU_DEP_2)
	v_cndmask_b32_e64 v3, v6, v4, s0
	v_and_b32_e32 v2, 0xffff, v2
	s_delay_alu instid0(VALU_DEP_2)
	v_lshlrev_b32_e32 v3, 2, v3
	ds_bpermute_b32 v2, v3, v2
	s_waitcnt lgkmcnt(0)
	v_cndmask_b32_e64 v2, v2, s1, vcc_lo
	v_add_co_u32 v0, vcc_lo, s6, v0
	v_add_co_ci_u32_e32 v1, vcc_lo, s7, v1, vcc_lo
	global_store_b16 v[0:1], v2, off
	s_nop 0
	s_sendmsg sendmsg(MSG_DEALLOC_VGPRS)
	s_endpgm
	.section	.rodata,"a",@progbits
	.p2align	6, 0x0
	.amdhsa_kernel _Z26warp_exclusive_scan_kernelI6__halfLj64ELj8EENSt9enable_ifIXsr10test_utilsE35device_test_enabled_for_warp_size_vIXT1_EEEvE4typeEPT_S5_S4_
		.amdhsa_group_segment_fixed_size 0
		.amdhsa_private_segment_fixed_size 0
		.amdhsa_kernarg_size 280
		.amdhsa_user_sgpr_count 15
		.amdhsa_user_sgpr_dispatch_ptr 0
		.amdhsa_user_sgpr_queue_ptr 0
		.amdhsa_user_sgpr_kernarg_segment_ptr 1
		.amdhsa_user_sgpr_dispatch_id 0
		.amdhsa_user_sgpr_private_segment_size 0
		.amdhsa_wavefront_size32 1
		.amdhsa_uses_dynamic_stack 0
		.amdhsa_enable_private_segment 0
		.amdhsa_system_sgpr_workgroup_id_x 1
		.amdhsa_system_sgpr_workgroup_id_y 0
		.amdhsa_system_sgpr_workgroup_id_z 0
		.amdhsa_system_sgpr_workgroup_info 0
		.amdhsa_system_vgpr_workitem_id 0
		.amdhsa_next_free_vgpr 8
		.amdhsa_next_free_sgpr 16
		.amdhsa_reserve_vcc 1
		.amdhsa_float_round_mode_32 0
		.amdhsa_float_round_mode_16_64 0
		.amdhsa_float_denorm_mode_32 3
		.amdhsa_float_denorm_mode_16_64 3
		.amdhsa_dx10_clamp 1
		.amdhsa_ieee_mode 1
		.amdhsa_fp16_overflow 0
		.amdhsa_workgroup_processor_mode 1
		.amdhsa_memory_ordered 1
		.amdhsa_forward_progress 0
		.amdhsa_shared_vgpr_count 0
		.amdhsa_exception_fp_ieee_invalid_op 0
		.amdhsa_exception_fp_denorm_src 0
		.amdhsa_exception_fp_ieee_div_zero 0
		.amdhsa_exception_fp_ieee_overflow 0
		.amdhsa_exception_fp_ieee_underflow 0
		.amdhsa_exception_fp_ieee_inexact 0
		.amdhsa_exception_int_div_zero 0
	.end_amdhsa_kernel
	.section	.text._Z26warp_exclusive_scan_kernelI6__halfLj64ELj8EENSt9enable_ifIXsr10test_utilsE35device_test_enabled_for_warp_size_vIXT1_EEEvE4typeEPT_S5_S4_,"axG",@progbits,_Z26warp_exclusive_scan_kernelI6__halfLj64ELj8EENSt9enable_ifIXsr10test_utilsE35device_test_enabled_for_warp_size_vIXT1_EEEvE4typeEPT_S5_S4_,comdat
.Lfunc_end145:
	.size	_Z26warp_exclusive_scan_kernelI6__halfLj64ELj8EENSt9enable_ifIXsr10test_utilsE35device_test_enabled_for_warp_size_vIXT1_EEEvE4typeEPT_S5_S4_, .Lfunc_end145-_Z26warp_exclusive_scan_kernelI6__halfLj64ELj8EENSt9enable_ifIXsr10test_utilsE35device_test_enabled_for_warp_size_vIXT1_EEEvE4typeEPT_S5_S4_
                                        ; -- End function
	.section	.AMDGPU.csdata,"",@progbits
; Kernel info:
; codeLenInByte = 332
; NumSgprs: 18
; NumVgprs: 8
; ScratchSize: 0
; MemoryBound: 0
; FloatMode: 240
; IeeeMode: 1
; LDSByteSize: 0 bytes/workgroup (compile time only)
; SGPRBlocks: 2
; VGPRBlocks: 0
; NumSGPRsForWavesPerEU: 18
; NumVGPRsForWavesPerEU: 8
; Occupancy: 16
; WaveLimiterHint : 0
; COMPUTE_PGM_RSRC2:SCRATCH_EN: 0
; COMPUTE_PGM_RSRC2:USER_SGPR: 15
; COMPUTE_PGM_RSRC2:TRAP_HANDLER: 0
; COMPUTE_PGM_RSRC2:TGID_X_EN: 1
; COMPUTE_PGM_RSRC2:TGID_Y_EN: 0
; COMPUTE_PGM_RSRC2:TGID_Z_EN: 0
; COMPUTE_PGM_RSRC2:TIDIG_COMP_CNT: 0
	.section	.text._Z26warp_exclusive_scan_kernelI6__halfLj32ELj4EENSt9enable_ifIXsr10test_utilsE35device_test_enabled_for_warp_size_vIXT1_EEEvE4typeEPT_S5_S4_,"axG",@progbits,_Z26warp_exclusive_scan_kernelI6__halfLj32ELj4EENSt9enable_ifIXsr10test_utilsE35device_test_enabled_for_warp_size_vIXT1_EEEvE4typeEPT_S5_S4_,comdat
	.protected	_Z26warp_exclusive_scan_kernelI6__halfLj32ELj4EENSt9enable_ifIXsr10test_utilsE35device_test_enabled_for_warp_size_vIXT1_EEEvE4typeEPT_S5_S4_ ; -- Begin function _Z26warp_exclusive_scan_kernelI6__halfLj32ELj4EENSt9enable_ifIXsr10test_utilsE35device_test_enabled_for_warp_size_vIXT1_EEEvE4typeEPT_S5_S4_
	.globl	_Z26warp_exclusive_scan_kernelI6__halfLj32ELj4EENSt9enable_ifIXsr10test_utilsE35device_test_enabled_for_warp_size_vIXT1_EEEvE4typeEPT_S5_S4_
	.p2align	8
	.type	_Z26warp_exclusive_scan_kernelI6__halfLj32ELj4EENSt9enable_ifIXsr10test_utilsE35device_test_enabled_for_warp_size_vIXT1_EEEvE4typeEPT_S5_S4_,@function
_Z26warp_exclusive_scan_kernelI6__halfLj32ELj4EENSt9enable_ifIXsr10test_utilsE35device_test_enabled_for_warp_size_vIXT1_EEEvE4typeEPT_S5_S4_: ; @_Z26warp_exclusive_scan_kernelI6__halfLj32ELj4EENSt9enable_ifIXsr10test_utilsE35device_test_enabled_for_warp_size_vIXT1_EEEvE4typeEPT_S5_S4_
; %bb.0:
	s_clause 0x1
	s_load_b32 s2, s[0:1], 0x24
	s_load_b128 s[4:7], s[0:1], 0x0
	v_mbcnt_lo_u32_b32 v4, -1, 0
	s_load_b32 s1, s[0:1], 0x10
	s_delay_alu instid0(VALU_DEP_1) | instskip(SKIP_2) | instid1(VALU_DEP_2)
	v_add_nc_u32_e32 v6, -1, v4
	v_and_b32_e32 v5, 3, v4
	v_and_b32_e32 v7, 28, v4
	v_cmp_lt_u32_e64 s0, 1, v5
	s_waitcnt lgkmcnt(0)
	s_and_b32 s2, s2, 0xffff
	s_delay_alu instid0(SALU_CYCLE_1) | instskip(SKIP_1) | instid1(VALU_DEP_1)
	v_mad_u64_u32 v[1:2], null, s15, s2, v[0:1]
	v_mov_b32_e32 v2, 0
	v_lshlrev_b64 v[0:1], 1, v[1:2]
	s_delay_alu instid0(VALU_DEP_1) | instskip(NEXT) | instid1(VALU_DEP_2)
	v_add_co_u32 v2, vcc_lo, s4, v0
	v_add_co_ci_u32_e32 v3, vcc_lo, s5, v1, vcc_lo
	v_cmp_eq_u32_e32 vcc_lo, 0, v5
	global_load_u16 v2, v[2:3], off
	s_waitcnt vmcnt(0)
	v_and_b32_e32 v3, 0xffff, v2
	s_delay_alu instid0(VALU_DEP_1) | instskip(NEXT) | instid1(VALU_DEP_1)
	v_mov_b32_dpp v3, v3 row_shr:1 row_mask:0xf bank_mask:0xf
	v_add_f16_e32 v3, v2, v3
	s_delay_alu instid0(VALU_DEP_1) | instskip(NEXT) | instid1(VALU_DEP_1)
	v_cndmask_b32_e32 v2, v3, v2, vcc_lo
	v_and_b32_e32 v3, 0xffff, v2
	s_delay_alu instid0(VALU_DEP_1) | instskip(NEXT) | instid1(VALU_DEP_1)
	v_mov_b32_dpp v3, v3 row_shr:2 row_mask:0xf bank_mask:0xf
	v_add_f16_e32 v3, v2, v3
	s_delay_alu instid0(VALU_DEP_1) | instskip(SKIP_1) | instid1(VALU_DEP_2)
	v_cndmask_b32_e64 v2, v2, v3, s0
	v_cmp_lt_i32_e64 s0, v6, v7
	v_add_f16_e32 v2, s1, v2
	s_delay_alu instid0(VALU_DEP_2) | instskip(NEXT) | instid1(VALU_DEP_2)
	v_cndmask_b32_e64 v3, v6, v4, s0
	v_and_b32_e32 v2, 0xffff, v2
	s_delay_alu instid0(VALU_DEP_2)
	v_lshlrev_b32_e32 v3, 2, v3
	ds_bpermute_b32 v2, v3, v2
	s_waitcnt lgkmcnt(0)
	v_cndmask_b32_e64 v2, v2, s1, vcc_lo
	v_add_co_u32 v0, vcc_lo, s6, v0
	v_add_co_ci_u32_e32 v1, vcc_lo, s7, v1, vcc_lo
	global_store_b16 v[0:1], v2, off
	s_nop 0
	s_sendmsg sendmsg(MSG_DEALLOC_VGPRS)
	s_endpgm
	.section	.rodata,"a",@progbits
	.p2align	6, 0x0
	.amdhsa_kernel _Z26warp_exclusive_scan_kernelI6__halfLj32ELj4EENSt9enable_ifIXsr10test_utilsE35device_test_enabled_for_warp_size_vIXT1_EEEvE4typeEPT_S5_S4_
		.amdhsa_group_segment_fixed_size 0
		.amdhsa_private_segment_fixed_size 0
		.amdhsa_kernarg_size 280
		.amdhsa_user_sgpr_count 15
		.amdhsa_user_sgpr_dispatch_ptr 0
		.amdhsa_user_sgpr_queue_ptr 0
		.amdhsa_user_sgpr_kernarg_segment_ptr 1
		.amdhsa_user_sgpr_dispatch_id 0
		.amdhsa_user_sgpr_private_segment_size 0
		.amdhsa_wavefront_size32 1
		.amdhsa_uses_dynamic_stack 0
		.amdhsa_enable_private_segment 0
		.amdhsa_system_sgpr_workgroup_id_x 1
		.amdhsa_system_sgpr_workgroup_id_y 0
		.amdhsa_system_sgpr_workgroup_id_z 0
		.amdhsa_system_sgpr_workgroup_info 0
		.amdhsa_system_vgpr_workitem_id 0
		.amdhsa_next_free_vgpr 8
		.amdhsa_next_free_sgpr 16
		.amdhsa_reserve_vcc 1
		.amdhsa_float_round_mode_32 0
		.amdhsa_float_round_mode_16_64 0
		.amdhsa_float_denorm_mode_32 3
		.amdhsa_float_denorm_mode_16_64 3
		.amdhsa_dx10_clamp 1
		.amdhsa_ieee_mode 1
		.amdhsa_fp16_overflow 0
		.amdhsa_workgroup_processor_mode 1
		.amdhsa_memory_ordered 1
		.amdhsa_forward_progress 0
		.amdhsa_shared_vgpr_count 0
		.amdhsa_exception_fp_ieee_invalid_op 0
		.amdhsa_exception_fp_denorm_src 0
		.amdhsa_exception_fp_ieee_div_zero 0
		.amdhsa_exception_fp_ieee_overflow 0
		.amdhsa_exception_fp_ieee_underflow 0
		.amdhsa_exception_fp_ieee_inexact 0
		.amdhsa_exception_int_div_zero 0
	.end_amdhsa_kernel
	.section	.text._Z26warp_exclusive_scan_kernelI6__halfLj32ELj4EENSt9enable_ifIXsr10test_utilsE35device_test_enabled_for_warp_size_vIXT1_EEEvE4typeEPT_S5_S4_,"axG",@progbits,_Z26warp_exclusive_scan_kernelI6__halfLj32ELj4EENSt9enable_ifIXsr10test_utilsE35device_test_enabled_for_warp_size_vIXT1_EEEvE4typeEPT_S5_S4_,comdat
.Lfunc_end146:
	.size	_Z26warp_exclusive_scan_kernelI6__halfLj32ELj4EENSt9enable_ifIXsr10test_utilsE35device_test_enabled_for_warp_size_vIXT1_EEEvE4typeEPT_S5_S4_, .Lfunc_end146-_Z26warp_exclusive_scan_kernelI6__halfLj32ELj4EENSt9enable_ifIXsr10test_utilsE35device_test_enabled_for_warp_size_vIXT1_EEEvE4typeEPT_S5_S4_
                                        ; -- End function
	.section	.AMDGPU.csdata,"",@progbits
; Kernel info:
; codeLenInByte = 288
; NumSgprs: 18
; NumVgprs: 8
; ScratchSize: 0
; MemoryBound: 0
; FloatMode: 240
; IeeeMode: 1
; LDSByteSize: 0 bytes/workgroup (compile time only)
; SGPRBlocks: 2
; VGPRBlocks: 0
; NumSGPRsForWavesPerEU: 18
; NumVGPRsForWavesPerEU: 8
; Occupancy: 16
; WaveLimiterHint : 0
; COMPUTE_PGM_RSRC2:SCRATCH_EN: 0
; COMPUTE_PGM_RSRC2:USER_SGPR: 15
; COMPUTE_PGM_RSRC2:TRAP_HANDLER: 0
; COMPUTE_PGM_RSRC2:TGID_X_EN: 1
; COMPUTE_PGM_RSRC2:TGID_Y_EN: 0
; COMPUTE_PGM_RSRC2:TGID_Z_EN: 0
; COMPUTE_PGM_RSRC2:TIDIG_COMP_CNT: 0
	.section	.text._Z26warp_exclusive_scan_kernelI6__halfLj64ELj4EENSt9enable_ifIXsr10test_utilsE35device_test_enabled_for_warp_size_vIXT1_EEEvE4typeEPT_S5_S4_,"axG",@progbits,_Z26warp_exclusive_scan_kernelI6__halfLj64ELj4EENSt9enable_ifIXsr10test_utilsE35device_test_enabled_for_warp_size_vIXT1_EEEvE4typeEPT_S5_S4_,comdat
	.protected	_Z26warp_exclusive_scan_kernelI6__halfLj64ELj4EENSt9enable_ifIXsr10test_utilsE35device_test_enabled_for_warp_size_vIXT1_EEEvE4typeEPT_S5_S4_ ; -- Begin function _Z26warp_exclusive_scan_kernelI6__halfLj64ELj4EENSt9enable_ifIXsr10test_utilsE35device_test_enabled_for_warp_size_vIXT1_EEEvE4typeEPT_S5_S4_
	.globl	_Z26warp_exclusive_scan_kernelI6__halfLj64ELj4EENSt9enable_ifIXsr10test_utilsE35device_test_enabled_for_warp_size_vIXT1_EEEvE4typeEPT_S5_S4_
	.p2align	8
	.type	_Z26warp_exclusive_scan_kernelI6__halfLj64ELj4EENSt9enable_ifIXsr10test_utilsE35device_test_enabled_for_warp_size_vIXT1_EEEvE4typeEPT_S5_S4_,@function
_Z26warp_exclusive_scan_kernelI6__halfLj64ELj4EENSt9enable_ifIXsr10test_utilsE35device_test_enabled_for_warp_size_vIXT1_EEEvE4typeEPT_S5_S4_: ; @_Z26warp_exclusive_scan_kernelI6__halfLj64ELj4EENSt9enable_ifIXsr10test_utilsE35device_test_enabled_for_warp_size_vIXT1_EEEvE4typeEPT_S5_S4_
; %bb.0:
	s_clause 0x1
	s_load_b32 s2, s[0:1], 0x24
	s_load_b128 s[4:7], s[0:1], 0x0
	v_mbcnt_lo_u32_b32 v4, -1, 0
	s_load_b32 s1, s[0:1], 0x10
	s_delay_alu instid0(VALU_DEP_1) | instskip(SKIP_2) | instid1(VALU_DEP_2)
	v_add_nc_u32_e32 v6, -1, v4
	v_and_b32_e32 v5, 3, v4
	v_and_b32_e32 v7, 28, v4
	v_cmp_lt_u32_e64 s0, 1, v5
	s_waitcnt lgkmcnt(0)
	s_and_b32 s2, s2, 0xffff
	s_delay_alu instid0(SALU_CYCLE_1) | instskip(SKIP_1) | instid1(VALU_DEP_1)
	v_mad_u64_u32 v[1:2], null, s15, s2, v[0:1]
	v_mov_b32_e32 v2, 0
	v_lshlrev_b64 v[0:1], 1, v[1:2]
	s_delay_alu instid0(VALU_DEP_1) | instskip(NEXT) | instid1(VALU_DEP_2)
	v_add_co_u32 v2, vcc_lo, s4, v0
	v_add_co_ci_u32_e32 v3, vcc_lo, s5, v1, vcc_lo
	v_cmp_eq_u32_e32 vcc_lo, 0, v5
	global_load_u16 v2, v[2:3], off
	s_waitcnt vmcnt(0)
	v_and_b32_e32 v3, 0xffff, v2
	s_delay_alu instid0(VALU_DEP_1) | instskip(NEXT) | instid1(VALU_DEP_1)
	v_mov_b32_dpp v3, v3 row_shr:1 row_mask:0xf bank_mask:0xf
	v_add_f16_e32 v3, v2, v3
	s_delay_alu instid0(VALU_DEP_1) | instskip(NEXT) | instid1(VALU_DEP_1)
	v_cndmask_b32_e32 v2, v3, v2, vcc_lo
	v_and_b32_e32 v3, 0xffff, v2
	s_delay_alu instid0(VALU_DEP_1) | instskip(NEXT) | instid1(VALU_DEP_1)
	v_mov_b32_dpp v3, v3 row_shr:2 row_mask:0xf bank_mask:0xf
	v_add_f16_e32 v3, v2, v3
	s_delay_alu instid0(VALU_DEP_1) | instskip(SKIP_1) | instid1(VALU_DEP_2)
	v_cndmask_b32_e64 v2, v2, v3, s0
	v_cmp_lt_i32_e64 s0, v6, v7
	v_add_f16_e32 v2, s1, v2
	s_delay_alu instid0(VALU_DEP_2) | instskip(NEXT) | instid1(VALU_DEP_2)
	v_cndmask_b32_e64 v3, v6, v4, s0
	v_and_b32_e32 v2, 0xffff, v2
	s_delay_alu instid0(VALU_DEP_2)
	v_lshlrev_b32_e32 v3, 2, v3
	ds_bpermute_b32 v2, v3, v2
	s_waitcnt lgkmcnt(0)
	v_cndmask_b32_e64 v2, v2, s1, vcc_lo
	v_add_co_u32 v0, vcc_lo, s6, v0
	v_add_co_ci_u32_e32 v1, vcc_lo, s7, v1, vcc_lo
	global_store_b16 v[0:1], v2, off
	s_nop 0
	s_sendmsg sendmsg(MSG_DEALLOC_VGPRS)
	s_endpgm
	.section	.rodata,"a",@progbits
	.p2align	6, 0x0
	.amdhsa_kernel _Z26warp_exclusive_scan_kernelI6__halfLj64ELj4EENSt9enable_ifIXsr10test_utilsE35device_test_enabled_for_warp_size_vIXT1_EEEvE4typeEPT_S5_S4_
		.amdhsa_group_segment_fixed_size 0
		.amdhsa_private_segment_fixed_size 0
		.amdhsa_kernarg_size 280
		.amdhsa_user_sgpr_count 15
		.amdhsa_user_sgpr_dispatch_ptr 0
		.amdhsa_user_sgpr_queue_ptr 0
		.amdhsa_user_sgpr_kernarg_segment_ptr 1
		.amdhsa_user_sgpr_dispatch_id 0
		.amdhsa_user_sgpr_private_segment_size 0
		.amdhsa_wavefront_size32 1
		.amdhsa_uses_dynamic_stack 0
		.amdhsa_enable_private_segment 0
		.amdhsa_system_sgpr_workgroup_id_x 1
		.amdhsa_system_sgpr_workgroup_id_y 0
		.amdhsa_system_sgpr_workgroup_id_z 0
		.amdhsa_system_sgpr_workgroup_info 0
		.amdhsa_system_vgpr_workitem_id 0
		.amdhsa_next_free_vgpr 8
		.amdhsa_next_free_sgpr 16
		.amdhsa_reserve_vcc 1
		.amdhsa_float_round_mode_32 0
		.amdhsa_float_round_mode_16_64 0
		.amdhsa_float_denorm_mode_32 3
		.amdhsa_float_denorm_mode_16_64 3
		.amdhsa_dx10_clamp 1
		.amdhsa_ieee_mode 1
		.amdhsa_fp16_overflow 0
		.amdhsa_workgroup_processor_mode 1
		.amdhsa_memory_ordered 1
		.amdhsa_forward_progress 0
		.amdhsa_shared_vgpr_count 0
		.amdhsa_exception_fp_ieee_invalid_op 0
		.amdhsa_exception_fp_denorm_src 0
		.amdhsa_exception_fp_ieee_div_zero 0
		.amdhsa_exception_fp_ieee_overflow 0
		.amdhsa_exception_fp_ieee_underflow 0
		.amdhsa_exception_fp_ieee_inexact 0
		.amdhsa_exception_int_div_zero 0
	.end_amdhsa_kernel
	.section	.text._Z26warp_exclusive_scan_kernelI6__halfLj64ELj4EENSt9enable_ifIXsr10test_utilsE35device_test_enabled_for_warp_size_vIXT1_EEEvE4typeEPT_S5_S4_,"axG",@progbits,_Z26warp_exclusive_scan_kernelI6__halfLj64ELj4EENSt9enable_ifIXsr10test_utilsE35device_test_enabled_for_warp_size_vIXT1_EEEvE4typeEPT_S5_S4_,comdat
.Lfunc_end147:
	.size	_Z26warp_exclusive_scan_kernelI6__halfLj64ELj4EENSt9enable_ifIXsr10test_utilsE35device_test_enabled_for_warp_size_vIXT1_EEEvE4typeEPT_S5_S4_, .Lfunc_end147-_Z26warp_exclusive_scan_kernelI6__halfLj64ELj4EENSt9enable_ifIXsr10test_utilsE35device_test_enabled_for_warp_size_vIXT1_EEEvE4typeEPT_S5_S4_
                                        ; -- End function
	.section	.AMDGPU.csdata,"",@progbits
; Kernel info:
; codeLenInByte = 288
; NumSgprs: 18
; NumVgprs: 8
; ScratchSize: 0
; MemoryBound: 0
; FloatMode: 240
; IeeeMode: 1
; LDSByteSize: 0 bytes/workgroup (compile time only)
; SGPRBlocks: 2
; VGPRBlocks: 0
; NumSGPRsForWavesPerEU: 18
; NumVGPRsForWavesPerEU: 8
; Occupancy: 16
; WaveLimiterHint : 0
; COMPUTE_PGM_RSRC2:SCRATCH_EN: 0
; COMPUTE_PGM_RSRC2:USER_SGPR: 15
; COMPUTE_PGM_RSRC2:TRAP_HANDLER: 0
; COMPUTE_PGM_RSRC2:TGID_X_EN: 1
; COMPUTE_PGM_RSRC2:TGID_Y_EN: 0
; COMPUTE_PGM_RSRC2:TGID_Z_EN: 0
; COMPUTE_PGM_RSRC2:TIDIG_COMP_CNT: 0
	.section	.text._Z26warp_exclusive_scan_kernelI6__halfLj32ELj2EENSt9enable_ifIXsr10test_utilsE35device_test_enabled_for_warp_size_vIXT1_EEEvE4typeEPT_S5_S4_,"axG",@progbits,_Z26warp_exclusive_scan_kernelI6__halfLj32ELj2EENSt9enable_ifIXsr10test_utilsE35device_test_enabled_for_warp_size_vIXT1_EEEvE4typeEPT_S5_S4_,comdat
	.protected	_Z26warp_exclusive_scan_kernelI6__halfLj32ELj2EENSt9enable_ifIXsr10test_utilsE35device_test_enabled_for_warp_size_vIXT1_EEEvE4typeEPT_S5_S4_ ; -- Begin function _Z26warp_exclusive_scan_kernelI6__halfLj32ELj2EENSt9enable_ifIXsr10test_utilsE35device_test_enabled_for_warp_size_vIXT1_EEEvE4typeEPT_S5_S4_
	.globl	_Z26warp_exclusive_scan_kernelI6__halfLj32ELj2EENSt9enable_ifIXsr10test_utilsE35device_test_enabled_for_warp_size_vIXT1_EEEvE4typeEPT_S5_S4_
	.p2align	8
	.type	_Z26warp_exclusive_scan_kernelI6__halfLj32ELj2EENSt9enable_ifIXsr10test_utilsE35device_test_enabled_for_warp_size_vIXT1_EEEvE4typeEPT_S5_S4_,@function
_Z26warp_exclusive_scan_kernelI6__halfLj32ELj2EENSt9enable_ifIXsr10test_utilsE35device_test_enabled_for_warp_size_vIXT1_EEEvE4typeEPT_S5_S4_: ; @_Z26warp_exclusive_scan_kernelI6__halfLj32ELj2EENSt9enable_ifIXsr10test_utilsE35device_test_enabled_for_warp_size_vIXT1_EEEvE4typeEPT_S5_S4_
; %bb.0:
	s_clause 0x1
	s_load_b32 s2, s[0:1], 0x24
	s_load_b128 s[4:7], s[0:1], 0x0
	v_mbcnt_lo_u32_b32 v4, -1, 0
	s_load_b32 s1, s[0:1], 0x10
	s_delay_alu instid0(VALU_DEP_1) | instskip(SKIP_3) | instid1(SALU_CYCLE_1)
	v_add_nc_u32_e32 v6, -1, v4
	v_and_b32_e32 v5, 1, v4
	s_waitcnt lgkmcnt(0)
	s_and_b32 s2, s2, 0xffff
	v_mad_u64_u32 v[1:2], null, s15, s2, v[0:1]
	v_mov_b32_e32 v2, 0
	s_delay_alu instid0(VALU_DEP_1) | instskip(NEXT) | instid1(VALU_DEP_1)
	v_lshlrev_b64 v[0:1], 1, v[1:2]
	v_add_co_u32 v2, vcc_lo, s4, v0
	s_delay_alu instid0(VALU_DEP_2) | instskip(SKIP_4) | instid1(VALU_DEP_1)
	v_add_co_ci_u32_e32 v3, vcc_lo, s5, v1, vcc_lo
	v_cmp_eq_u32_e32 vcc_lo, 0, v5
	global_load_u16 v2, v[2:3], off
	s_waitcnt vmcnt(0)
	v_and_b32_e32 v3, 0xffff, v2
	v_mov_b32_dpp v3, v3 row_shr:1 row_mask:0xf bank_mask:0xf
	s_delay_alu instid0(VALU_DEP_1) | instskip(NEXT) | instid1(VALU_DEP_1)
	v_add_f16_e32 v3, v2, v3
	v_dual_cndmask_b32 v2, v3, v2 :: v_dual_and_b32 v7, 30, v4
	s_delay_alu instid0(VALU_DEP_1) | instskip(NEXT) | instid1(VALU_DEP_2)
	v_cmp_lt_i32_e64 s0, v6, v7
	v_add_f16_e32 v2, s1, v2
	s_delay_alu instid0(VALU_DEP_2) | instskip(NEXT) | instid1(VALU_DEP_2)
	v_cndmask_b32_e64 v3, v6, v4, s0
	v_and_b32_e32 v2, 0xffff, v2
	s_delay_alu instid0(VALU_DEP_2)
	v_lshlrev_b32_e32 v3, 2, v3
	ds_bpermute_b32 v2, v3, v2
	s_waitcnt lgkmcnt(0)
	v_cndmask_b32_e64 v2, v2, s1, vcc_lo
	v_add_co_u32 v0, vcc_lo, s6, v0
	v_add_co_ci_u32_e32 v1, vcc_lo, s7, v1, vcc_lo
	global_store_b16 v[0:1], v2, off
	s_nop 0
	s_sendmsg sendmsg(MSG_DEALLOC_VGPRS)
	s_endpgm
	.section	.rodata,"a",@progbits
	.p2align	6, 0x0
	.amdhsa_kernel _Z26warp_exclusive_scan_kernelI6__halfLj32ELj2EENSt9enable_ifIXsr10test_utilsE35device_test_enabled_for_warp_size_vIXT1_EEEvE4typeEPT_S5_S4_
		.amdhsa_group_segment_fixed_size 0
		.amdhsa_private_segment_fixed_size 0
		.amdhsa_kernarg_size 280
		.amdhsa_user_sgpr_count 15
		.amdhsa_user_sgpr_dispatch_ptr 0
		.amdhsa_user_sgpr_queue_ptr 0
		.amdhsa_user_sgpr_kernarg_segment_ptr 1
		.amdhsa_user_sgpr_dispatch_id 0
		.amdhsa_user_sgpr_private_segment_size 0
		.amdhsa_wavefront_size32 1
		.amdhsa_uses_dynamic_stack 0
		.amdhsa_enable_private_segment 0
		.amdhsa_system_sgpr_workgroup_id_x 1
		.amdhsa_system_sgpr_workgroup_id_y 0
		.amdhsa_system_sgpr_workgroup_id_z 0
		.amdhsa_system_sgpr_workgroup_info 0
		.amdhsa_system_vgpr_workitem_id 0
		.amdhsa_next_free_vgpr 8
		.amdhsa_next_free_sgpr 16
		.amdhsa_reserve_vcc 1
		.amdhsa_float_round_mode_32 0
		.amdhsa_float_round_mode_16_64 0
		.amdhsa_float_denorm_mode_32 3
		.amdhsa_float_denorm_mode_16_64 3
		.amdhsa_dx10_clamp 1
		.amdhsa_ieee_mode 1
		.amdhsa_fp16_overflow 0
		.amdhsa_workgroup_processor_mode 1
		.amdhsa_memory_ordered 1
		.amdhsa_forward_progress 0
		.amdhsa_shared_vgpr_count 0
		.amdhsa_exception_fp_ieee_invalid_op 0
		.amdhsa_exception_fp_denorm_src 0
		.amdhsa_exception_fp_ieee_div_zero 0
		.amdhsa_exception_fp_ieee_overflow 0
		.amdhsa_exception_fp_ieee_underflow 0
		.amdhsa_exception_fp_ieee_inexact 0
		.amdhsa_exception_int_div_zero 0
	.end_amdhsa_kernel
	.section	.text._Z26warp_exclusive_scan_kernelI6__halfLj32ELj2EENSt9enable_ifIXsr10test_utilsE35device_test_enabled_for_warp_size_vIXT1_EEEvE4typeEPT_S5_S4_,"axG",@progbits,_Z26warp_exclusive_scan_kernelI6__halfLj32ELj2EENSt9enable_ifIXsr10test_utilsE35device_test_enabled_for_warp_size_vIXT1_EEEvE4typeEPT_S5_S4_,comdat
.Lfunc_end148:
	.size	_Z26warp_exclusive_scan_kernelI6__halfLj32ELj2EENSt9enable_ifIXsr10test_utilsE35device_test_enabled_for_warp_size_vIXT1_EEEvE4typeEPT_S5_S4_, .Lfunc_end148-_Z26warp_exclusive_scan_kernelI6__halfLj32ELj2EENSt9enable_ifIXsr10test_utilsE35device_test_enabled_for_warp_size_vIXT1_EEEvE4typeEPT_S5_S4_
                                        ; -- End function
	.section	.AMDGPU.csdata,"",@progbits
; Kernel info:
; codeLenInByte = 244
; NumSgprs: 18
; NumVgprs: 8
; ScratchSize: 0
; MemoryBound: 0
; FloatMode: 240
; IeeeMode: 1
; LDSByteSize: 0 bytes/workgroup (compile time only)
; SGPRBlocks: 2
; VGPRBlocks: 0
; NumSGPRsForWavesPerEU: 18
; NumVGPRsForWavesPerEU: 8
; Occupancy: 16
; WaveLimiterHint : 0
; COMPUTE_PGM_RSRC2:SCRATCH_EN: 0
; COMPUTE_PGM_RSRC2:USER_SGPR: 15
; COMPUTE_PGM_RSRC2:TRAP_HANDLER: 0
; COMPUTE_PGM_RSRC2:TGID_X_EN: 1
; COMPUTE_PGM_RSRC2:TGID_Y_EN: 0
; COMPUTE_PGM_RSRC2:TGID_Z_EN: 0
; COMPUTE_PGM_RSRC2:TIDIG_COMP_CNT: 0
	.section	.text._Z26warp_exclusive_scan_kernelI6__halfLj64ELj2EENSt9enable_ifIXsr10test_utilsE35device_test_enabled_for_warp_size_vIXT1_EEEvE4typeEPT_S5_S4_,"axG",@progbits,_Z26warp_exclusive_scan_kernelI6__halfLj64ELj2EENSt9enable_ifIXsr10test_utilsE35device_test_enabled_for_warp_size_vIXT1_EEEvE4typeEPT_S5_S4_,comdat
	.protected	_Z26warp_exclusive_scan_kernelI6__halfLj64ELj2EENSt9enable_ifIXsr10test_utilsE35device_test_enabled_for_warp_size_vIXT1_EEEvE4typeEPT_S5_S4_ ; -- Begin function _Z26warp_exclusive_scan_kernelI6__halfLj64ELj2EENSt9enable_ifIXsr10test_utilsE35device_test_enabled_for_warp_size_vIXT1_EEEvE4typeEPT_S5_S4_
	.globl	_Z26warp_exclusive_scan_kernelI6__halfLj64ELj2EENSt9enable_ifIXsr10test_utilsE35device_test_enabled_for_warp_size_vIXT1_EEEvE4typeEPT_S5_S4_
	.p2align	8
	.type	_Z26warp_exclusive_scan_kernelI6__halfLj64ELj2EENSt9enable_ifIXsr10test_utilsE35device_test_enabled_for_warp_size_vIXT1_EEEvE4typeEPT_S5_S4_,@function
_Z26warp_exclusive_scan_kernelI6__halfLj64ELj2EENSt9enable_ifIXsr10test_utilsE35device_test_enabled_for_warp_size_vIXT1_EEEvE4typeEPT_S5_S4_: ; @_Z26warp_exclusive_scan_kernelI6__halfLj64ELj2EENSt9enable_ifIXsr10test_utilsE35device_test_enabled_for_warp_size_vIXT1_EEEvE4typeEPT_S5_S4_
; %bb.0:
	s_clause 0x1
	s_load_b32 s2, s[0:1], 0x24
	s_load_b128 s[4:7], s[0:1], 0x0
	v_mbcnt_lo_u32_b32 v4, -1, 0
	s_load_b32 s1, s[0:1], 0x10
	s_delay_alu instid0(VALU_DEP_1) | instskip(SKIP_3) | instid1(SALU_CYCLE_1)
	v_add_nc_u32_e32 v6, -1, v4
	v_and_b32_e32 v5, 1, v4
	s_waitcnt lgkmcnt(0)
	s_and_b32 s2, s2, 0xffff
	v_mad_u64_u32 v[1:2], null, s15, s2, v[0:1]
	v_mov_b32_e32 v2, 0
	s_delay_alu instid0(VALU_DEP_1) | instskip(NEXT) | instid1(VALU_DEP_1)
	v_lshlrev_b64 v[0:1], 1, v[1:2]
	v_add_co_u32 v2, vcc_lo, s4, v0
	s_delay_alu instid0(VALU_DEP_2) | instskip(SKIP_4) | instid1(VALU_DEP_1)
	v_add_co_ci_u32_e32 v3, vcc_lo, s5, v1, vcc_lo
	v_cmp_eq_u32_e32 vcc_lo, 0, v5
	global_load_u16 v2, v[2:3], off
	s_waitcnt vmcnt(0)
	v_and_b32_e32 v3, 0xffff, v2
	v_mov_b32_dpp v3, v3 row_shr:1 row_mask:0xf bank_mask:0xf
	s_delay_alu instid0(VALU_DEP_1) | instskip(NEXT) | instid1(VALU_DEP_1)
	v_add_f16_e32 v3, v2, v3
	v_dual_cndmask_b32 v2, v3, v2 :: v_dual_and_b32 v7, 30, v4
	s_delay_alu instid0(VALU_DEP_1) | instskip(NEXT) | instid1(VALU_DEP_2)
	v_cmp_lt_i32_e64 s0, v6, v7
	v_add_f16_e32 v2, s1, v2
	s_delay_alu instid0(VALU_DEP_2) | instskip(NEXT) | instid1(VALU_DEP_2)
	v_cndmask_b32_e64 v3, v6, v4, s0
	v_and_b32_e32 v2, 0xffff, v2
	s_delay_alu instid0(VALU_DEP_2)
	v_lshlrev_b32_e32 v3, 2, v3
	ds_bpermute_b32 v2, v3, v2
	s_waitcnt lgkmcnt(0)
	v_cndmask_b32_e64 v2, v2, s1, vcc_lo
	v_add_co_u32 v0, vcc_lo, s6, v0
	v_add_co_ci_u32_e32 v1, vcc_lo, s7, v1, vcc_lo
	global_store_b16 v[0:1], v2, off
	s_nop 0
	s_sendmsg sendmsg(MSG_DEALLOC_VGPRS)
	s_endpgm
	.section	.rodata,"a",@progbits
	.p2align	6, 0x0
	.amdhsa_kernel _Z26warp_exclusive_scan_kernelI6__halfLj64ELj2EENSt9enable_ifIXsr10test_utilsE35device_test_enabled_for_warp_size_vIXT1_EEEvE4typeEPT_S5_S4_
		.amdhsa_group_segment_fixed_size 0
		.amdhsa_private_segment_fixed_size 0
		.amdhsa_kernarg_size 280
		.amdhsa_user_sgpr_count 15
		.amdhsa_user_sgpr_dispatch_ptr 0
		.amdhsa_user_sgpr_queue_ptr 0
		.amdhsa_user_sgpr_kernarg_segment_ptr 1
		.amdhsa_user_sgpr_dispatch_id 0
		.amdhsa_user_sgpr_private_segment_size 0
		.amdhsa_wavefront_size32 1
		.amdhsa_uses_dynamic_stack 0
		.amdhsa_enable_private_segment 0
		.amdhsa_system_sgpr_workgroup_id_x 1
		.amdhsa_system_sgpr_workgroup_id_y 0
		.amdhsa_system_sgpr_workgroup_id_z 0
		.amdhsa_system_sgpr_workgroup_info 0
		.amdhsa_system_vgpr_workitem_id 0
		.amdhsa_next_free_vgpr 8
		.amdhsa_next_free_sgpr 16
		.amdhsa_reserve_vcc 1
		.amdhsa_float_round_mode_32 0
		.amdhsa_float_round_mode_16_64 0
		.amdhsa_float_denorm_mode_32 3
		.amdhsa_float_denorm_mode_16_64 3
		.amdhsa_dx10_clamp 1
		.amdhsa_ieee_mode 1
		.amdhsa_fp16_overflow 0
		.amdhsa_workgroup_processor_mode 1
		.amdhsa_memory_ordered 1
		.amdhsa_forward_progress 0
		.amdhsa_shared_vgpr_count 0
		.amdhsa_exception_fp_ieee_invalid_op 0
		.amdhsa_exception_fp_denorm_src 0
		.amdhsa_exception_fp_ieee_div_zero 0
		.amdhsa_exception_fp_ieee_overflow 0
		.amdhsa_exception_fp_ieee_underflow 0
		.amdhsa_exception_fp_ieee_inexact 0
		.amdhsa_exception_int_div_zero 0
	.end_amdhsa_kernel
	.section	.text._Z26warp_exclusive_scan_kernelI6__halfLj64ELj2EENSt9enable_ifIXsr10test_utilsE35device_test_enabled_for_warp_size_vIXT1_EEEvE4typeEPT_S5_S4_,"axG",@progbits,_Z26warp_exclusive_scan_kernelI6__halfLj64ELj2EENSt9enable_ifIXsr10test_utilsE35device_test_enabled_for_warp_size_vIXT1_EEEvE4typeEPT_S5_S4_,comdat
.Lfunc_end149:
	.size	_Z26warp_exclusive_scan_kernelI6__halfLj64ELj2EENSt9enable_ifIXsr10test_utilsE35device_test_enabled_for_warp_size_vIXT1_EEEvE4typeEPT_S5_S4_, .Lfunc_end149-_Z26warp_exclusive_scan_kernelI6__halfLj64ELj2EENSt9enable_ifIXsr10test_utilsE35device_test_enabled_for_warp_size_vIXT1_EEEvE4typeEPT_S5_S4_
                                        ; -- End function
	.section	.AMDGPU.csdata,"",@progbits
; Kernel info:
; codeLenInByte = 244
; NumSgprs: 18
; NumVgprs: 8
; ScratchSize: 0
; MemoryBound: 0
; FloatMode: 240
; IeeeMode: 1
; LDSByteSize: 0 bytes/workgroup (compile time only)
; SGPRBlocks: 2
; VGPRBlocks: 0
; NumSGPRsForWavesPerEU: 18
; NumVGPRsForWavesPerEU: 8
; Occupancy: 16
; WaveLimiterHint : 0
; COMPUTE_PGM_RSRC2:SCRATCH_EN: 0
; COMPUTE_PGM_RSRC2:USER_SGPR: 15
; COMPUTE_PGM_RSRC2:TRAP_HANDLER: 0
; COMPUTE_PGM_RSRC2:TGID_X_EN: 1
; COMPUTE_PGM_RSRC2:TGID_Y_EN: 0
; COMPUTE_PGM_RSRC2:TGID_Z_EN: 0
; COMPUTE_PGM_RSRC2:TIDIG_COMP_CNT: 0
	.section	.text._Z26warp_exclusive_scan_kernelIfLj256ELj64EENSt9enable_ifIXntsr10test_utilsE35device_test_enabled_for_warp_size_vIXT1_EEEvE4typeEPT_S4_S3_,"axG",@progbits,_Z26warp_exclusive_scan_kernelIfLj256ELj64EENSt9enable_ifIXntsr10test_utilsE35device_test_enabled_for_warp_size_vIXT1_EEEvE4typeEPT_S4_S3_,comdat
	.protected	_Z26warp_exclusive_scan_kernelIfLj256ELj64EENSt9enable_ifIXntsr10test_utilsE35device_test_enabled_for_warp_size_vIXT1_EEEvE4typeEPT_S4_S3_ ; -- Begin function _Z26warp_exclusive_scan_kernelIfLj256ELj64EENSt9enable_ifIXntsr10test_utilsE35device_test_enabled_for_warp_size_vIXT1_EEEvE4typeEPT_S4_S3_
	.globl	_Z26warp_exclusive_scan_kernelIfLj256ELj64EENSt9enable_ifIXntsr10test_utilsE35device_test_enabled_for_warp_size_vIXT1_EEEvE4typeEPT_S4_S3_
	.p2align	8
	.type	_Z26warp_exclusive_scan_kernelIfLj256ELj64EENSt9enable_ifIXntsr10test_utilsE35device_test_enabled_for_warp_size_vIXT1_EEEvE4typeEPT_S4_S3_,@function
_Z26warp_exclusive_scan_kernelIfLj256ELj64EENSt9enable_ifIXntsr10test_utilsE35device_test_enabled_for_warp_size_vIXT1_EEEvE4typeEPT_S4_S3_: ; @_Z26warp_exclusive_scan_kernelIfLj256ELj64EENSt9enable_ifIXntsr10test_utilsE35device_test_enabled_for_warp_size_vIXT1_EEEvE4typeEPT_S4_S3_
; %bb.0:
	s_endpgm
	.section	.rodata,"a",@progbits
	.p2align	6, 0x0
	.amdhsa_kernel _Z26warp_exclusive_scan_kernelIfLj256ELj64EENSt9enable_ifIXntsr10test_utilsE35device_test_enabled_for_warp_size_vIXT1_EEEvE4typeEPT_S4_S3_
		.amdhsa_group_segment_fixed_size 0
		.amdhsa_private_segment_fixed_size 0
		.amdhsa_kernarg_size 20
		.amdhsa_user_sgpr_count 15
		.amdhsa_user_sgpr_dispatch_ptr 0
		.amdhsa_user_sgpr_queue_ptr 0
		.amdhsa_user_sgpr_kernarg_segment_ptr 1
		.amdhsa_user_sgpr_dispatch_id 0
		.amdhsa_user_sgpr_private_segment_size 0
		.amdhsa_wavefront_size32 1
		.amdhsa_uses_dynamic_stack 0
		.amdhsa_enable_private_segment 0
		.amdhsa_system_sgpr_workgroup_id_x 1
		.amdhsa_system_sgpr_workgroup_id_y 0
		.amdhsa_system_sgpr_workgroup_id_z 0
		.amdhsa_system_sgpr_workgroup_info 0
		.amdhsa_system_vgpr_workitem_id 0
		.amdhsa_next_free_vgpr 1
		.amdhsa_next_free_sgpr 1
		.amdhsa_reserve_vcc 0
		.amdhsa_float_round_mode_32 0
		.amdhsa_float_round_mode_16_64 0
		.amdhsa_float_denorm_mode_32 3
		.amdhsa_float_denorm_mode_16_64 3
		.amdhsa_dx10_clamp 1
		.amdhsa_ieee_mode 1
		.amdhsa_fp16_overflow 0
		.amdhsa_workgroup_processor_mode 1
		.amdhsa_memory_ordered 1
		.amdhsa_forward_progress 0
		.amdhsa_shared_vgpr_count 0
		.amdhsa_exception_fp_ieee_invalid_op 0
		.amdhsa_exception_fp_denorm_src 0
		.amdhsa_exception_fp_ieee_div_zero 0
		.amdhsa_exception_fp_ieee_overflow 0
		.amdhsa_exception_fp_ieee_underflow 0
		.amdhsa_exception_fp_ieee_inexact 0
		.amdhsa_exception_int_div_zero 0
	.end_amdhsa_kernel
	.section	.text._Z26warp_exclusive_scan_kernelIfLj256ELj64EENSt9enable_ifIXntsr10test_utilsE35device_test_enabled_for_warp_size_vIXT1_EEEvE4typeEPT_S4_S3_,"axG",@progbits,_Z26warp_exclusive_scan_kernelIfLj256ELj64EENSt9enable_ifIXntsr10test_utilsE35device_test_enabled_for_warp_size_vIXT1_EEEvE4typeEPT_S4_S3_,comdat
.Lfunc_end150:
	.size	_Z26warp_exclusive_scan_kernelIfLj256ELj64EENSt9enable_ifIXntsr10test_utilsE35device_test_enabled_for_warp_size_vIXT1_EEEvE4typeEPT_S4_S3_, .Lfunc_end150-_Z26warp_exclusive_scan_kernelIfLj256ELj64EENSt9enable_ifIXntsr10test_utilsE35device_test_enabled_for_warp_size_vIXT1_EEEvE4typeEPT_S4_S3_
                                        ; -- End function
	.section	.AMDGPU.csdata,"",@progbits
; Kernel info:
; codeLenInByte = 4
; NumSgprs: 0
; NumVgprs: 0
; ScratchSize: 0
; MemoryBound: 0
; FloatMode: 240
; IeeeMode: 1
; LDSByteSize: 0 bytes/workgroup (compile time only)
; SGPRBlocks: 0
; VGPRBlocks: 0
; NumSGPRsForWavesPerEU: 1
; NumVGPRsForWavesPerEU: 1
; Occupancy: 16
; WaveLimiterHint : 0
; COMPUTE_PGM_RSRC2:SCRATCH_EN: 0
; COMPUTE_PGM_RSRC2:USER_SGPR: 15
; COMPUTE_PGM_RSRC2:TRAP_HANDLER: 0
; COMPUTE_PGM_RSRC2:TGID_X_EN: 1
; COMPUTE_PGM_RSRC2:TGID_Y_EN: 0
; COMPUTE_PGM_RSRC2:TGID_Z_EN: 0
; COMPUTE_PGM_RSRC2:TIDIG_COMP_CNT: 0
	.section	.text._Z26warp_exclusive_scan_kernelIfLj128ELj32EENSt9enable_ifIXsr10test_utilsE35device_test_enabled_for_warp_size_vIXT1_EEEvE4typeEPT_S4_S3_,"axG",@progbits,_Z26warp_exclusive_scan_kernelIfLj128ELj32EENSt9enable_ifIXsr10test_utilsE35device_test_enabled_for_warp_size_vIXT1_EEEvE4typeEPT_S4_S3_,comdat
	.protected	_Z26warp_exclusive_scan_kernelIfLj128ELj32EENSt9enable_ifIXsr10test_utilsE35device_test_enabled_for_warp_size_vIXT1_EEEvE4typeEPT_S4_S3_ ; -- Begin function _Z26warp_exclusive_scan_kernelIfLj128ELj32EENSt9enable_ifIXsr10test_utilsE35device_test_enabled_for_warp_size_vIXT1_EEEvE4typeEPT_S4_S3_
	.globl	_Z26warp_exclusive_scan_kernelIfLj128ELj32EENSt9enable_ifIXsr10test_utilsE35device_test_enabled_for_warp_size_vIXT1_EEEvE4typeEPT_S4_S3_
	.p2align	8
	.type	_Z26warp_exclusive_scan_kernelIfLj128ELj32EENSt9enable_ifIXsr10test_utilsE35device_test_enabled_for_warp_size_vIXT1_EEEvE4typeEPT_S4_S3_,@function
_Z26warp_exclusive_scan_kernelIfLj128ELj32EENSt9enable_ifIXsr10test_utilsE35device_test_enabled_for_warp_size_vIXT1_EEEvE4typeEPT_S4_S3_: ; @_Z26warp_exclusive_scan_kernelIfLj128ELj32EENSt9enable_ifIXsr10test_utilsE35device_test_enabled_for_warp_size_vIXT1_EEEvE4typeEPT_S4_S3_
; %bb.0:
	s_clause 0x2
	s_load_b32 s2, s[0:1], 0x24
	s_load_b128 s[4:7], s[0:1], 0x0
	s_load_b32 s0, s[0:1], 0x10
	s_waitcnt lgkmcnt(0)
	s_and_b32 s2, s2, 0xffff
	s_delay_alu instid0(SALU_CYCLE_1) | instskip(SKIP_1) | instid1(VALU_DEP_1)
	v_mad_u64_u32 v[1:2], null, s15, s2, v[0:1]
	v_mov_b32_e32 v2, 0
	v_lshlrev_b64 v[0:1], 2, v[1:2]
	s_delay_alu instid0(VALU_DEP_1) | instskip(NEXT) | instid1(VALU_DEP_2)
	v_add_co_u32 v2, vcc_lo, s4, v0
	v_add_co_ci_u32_e32 v3, vcc_lo, s5, v1, vcc_lo
	global_load_b32 v2, v[2:3], off
	v_mbcnt_lo_u32_b32 v3, -1, 0
	s_delay_alu instid0(VALU_DEP_1) | instskip(SKIP_1) | instid1(VALU_DEP_2)
	v_and_b32_e32 v5, 15, v3
	v_and_b32_e32 v6, 16, v3
	v_cmp_eq_u32_e32 vcc_lo, 0, v5
	s_waitcnt vmcnt(0)
	v_mov_b32_dpp v4, v2 row_shr:1 row_mask:0xf bank_mask:0xf
	s_delay_alu instid0(VALU_DEP_1) | instskip(NEXT) | instid1(VALU_DEP_1)
	v_add_f32_e32 v4, v2, v4
	v_cndmask_b32_e32 v2, v4, v2, vcc_lo
	v_cmp_lt_u32_e32 vcc_lo, 1, v5
	s_delay_alu instid0(VALU_DEP_2) | instskip(NEXT) | instid1(VALU_DEP_1)
	v_mov_b32_dpp v4, v2 row_shr:2 row_mask:0xf bank_mask:0xf
	v_add_f32_e32 v4, v2, v4
	s_delay_alu instid0(VALU_DEP_1) | instskip(SKIP_1) | instid1(VALU_DEP_2)
	v_cndmask_b32_e32 v2, v2, v4, vcc_lo
	v_cmp_lt_u32_e32 vcc_lo, 3, v5
	v_mov_b32_dpp v4, v2 row_shr:4 row_mask:0xf bank_mask:0xf
	s_delay_alu instid0(VALU_DEP_1) | instskip(NEXT) | instid1(VALU_DEP_1)
	v_add_f32_e32 v4, v2, v4
	v_cndmask_b32_e32 v2, v2, v4, vcc_lo
	v_cmp_lt_u32_e32 vcc_lo, 7, v5
	v_add_nc_u32_e32 v5, -1, v3
	s_delay_alu instid0(VALU_DEP_3) | instskip(NEXT) | instid1(VALU_DEP_1)
	v_mov_b32_dpp v4, v2 row_shr:8 row_mask:0xf bank_mask:0xf
	v_add_f32_e32 v4, v2, v4
	s_delay_alu instid0(VALU_DEP_1) | instskip(NEXT) | instid1(VALU_DEP_4)
	v_cndmask_b32_e32 v2, v2, v4, vcc_lo
	v_cmp_gt_i32_e32 vcc_lo, 0, v5
	ds_swizzle_b32 v4, v2 offset:swizzle(BROADCAST,32,15)
	v_cndmask_b32_e32 v5, v5, v3, vcc_lo
	v_cmp_eq_u32_e32 vcc_lo, 0, v6
	s_waitcnt lgkmcnt(0)
	v_add_f32_e32 v4, v2, v4
	s_delay_alu instid0(VALU_DEP_1) | instskip(SKIP_2) | instid1(VALU_DEP_3)
	v_cndmask_b32_e32 v2, v4, v2, vcc_lo
	v_lshlrev_b32_e32 v4, 2, v5
	v_cmp_eq_u32_e32 vcc_lo, 0, v3
	v_add_f32_e32 v2, s0, v2
	ds_bpermute_b32 v2, v4, v2
	s_waitcnt lgkmcnt(0)
	v_cndmask_b32_e64 v2, v2, s0, vcc_lo
	v_add_co_u32 v0, vcc_lo, s6, v0
	v_add_co_ci_u32_e32 v1, vcc_lo, s7, v1, vcc_lo
	global_store_b32 v[0:1], v2, off
	s_nop 0
	s_sendmsg sendmsg(MSG_DEALLOC_VGPRS)
	s_endpgm
	.section	.rodata,"a",@progbits
	.p2align	6, 0x0
	.amdhsa_kernel _Z26warp_exclusive_scan_kernelIfLj128ELj32EENSt9enable_ifIXsr10test_utilsE35device_test_enabled_for_warp_size_vIXT1_EEEvE4typeEPT_S4_S3_
		.amdhsa_group_segment_fixed_size 0
		.amdhsa_private_segment_fixed_size 0
		.amdhsa_kernarg_size 280
		.amdhsa_user_sgpr_count 15
		.amdhsa_user_sgpr_dispatch_ptr 0
		.amdhsa_user_sgpr_queue_ptr 0
		.amdhsa_user_sgpr_kernarg_segment_ptr 1
		.amdhsa_user_sgpr_dispatch_id 0
		.amdhsa_user_sgpr_private_segment_size 0
		.amdhsa_wavefront_size32 1
		.amdhsa_uses_dynamic_stack 0
		.amdhsa_enable_private_segment 0
		.amdhsa_system_sgpr_workgroup_id_x 1
		.amdhsa_system_sgpr_workgroup_id_y 0
		.amdhsa_system_sgpr_workgroup_id_z 0
		.amdhsa_system_sgpr_workgroup_info 0
		.amdhsa_system_vgpr_workitem_id 0
		.amdhsa_next_free_vgpr 7
		.amdhsa_next_free_sgpr 16
		.amdhsa_reserve_vcc 1
		.amdhsa_float_round_mode_32 0
		.amdhsa_float_round_mode_16_64 0
		.amdhsa_float_denorm_mode_32 3
		.amdhsa_float_denorm_mode_16_64 3
		.amdhsa_dx10_clamp 1
		.amdhsa_ieee_mode 1
		.amdhsa_fp16_overflow 0
		.amdhsa_workgroup_processor_mode 1
		.amdhsa_memory_ordered 1
		.amdhsa_forward_progress 0
		.amdhsa_shared_vgpr_count 0
		.amdhsa_exception_fp_ieee_invalid_op 0
		.amdhsa_exception_fp_denorm_src 0
		.amdhsa_exception_fp_ieee_div_zero 0
		.amdhsa_exception_fp_ieee_overflow 0
		.amdhsa_exception_fp_ieee_underflow 0
		.amdhsa_exception_fp_ieee_inexact 0
		.amdhsa_exception_int_div_zero 0
	.end_amdhsa_kernel
	.section	.text._Z26warp_exclusive_scan_kernelIfLj128ELj32EENSt9enable_ifIXsr10test_utilsE35device_test_enabled_for_warp_size_vIXT1_EEEvE4typeEPT_S4_S3_,"axG",@progbits,_Z26warp_exclusive_scan_kernelIfLj128ELj32EENSt9enable_ifIXsr10test_utilsE35device_test_enabled_for_warp_size_vIXT1_EEEvE4typeEPT_S4_S3_,comdat
.Lfunc_end151:
	.size	_Z26warp_exclusive_scan_kernelIfLj128ELj32EENSt9enable_ifIXsr10test_utilsE35device_test_enabled_for_warp_size_vIXT1_EEEvE4typeEPT_S4_S3_, .Lfunc_end151-_Z26warp_exclusive_scan_kernelIfLj128ELj32EENSt9enable_ifIXsr10test_utilsE35device_test_enabled_for_warp_size_vIXT1_EEEvE4typeEPT_S4_S3_
                                        ; -- End function
	.section	.AMDGPU.csdata,"",@progbits
; Kernel info:
; codeLenInByte = 320
; NumSgprs: 18
; NumVgprs: 7
; ScratchSize: 0
; MemoryBound: 0
; FloatMode: 240
; IeeeMode: 1
; LDSByteSize: 0 bytes/workgroup (compile time only)
; SGPRBlocks: 2
; VGPRBlocks: 0
; NumSGPRsForWavesPerEU: 18
; NumVGPRsForWavesPerEU: 7
; Occupancy: 16
; WaveLimiterHint : 0
; COMPUTE_PGM_RSRC2:SCRATCH_EN: 0
; COMPUTE_PGM_RSRC2:USER_SGPR: 15
; COMPUTE_PGM_RSRC2:TRAP_HANDLER: 0
; COMPUTE_PGM_RSRC2:TGID_X_EN: 1
; COMPUTE_PGM_RSRC2:TGID_Y_EN: 0
; COMPUTE_PGM_RSRC2:TGID_Z_EN: 0
; COMPUTE_PGM_RSRC2:TIDIG_COMP_CNT: 0
	.section	.text._Z26warp_exclusive_scan_kernelIfLj64ELj16EENSt9enable_ifIXsr10test_utilsE35device_test_enabled_for_warp_size_vIXT1_EEEvE4typeEPT_S4_S3_,"axG",@progbits,_Z26warp_exclusive_scan_kernelIfLj64ELj16EENSt9enable_ifIXsr10test_utilsE35device_test_enabled_for_warp_size_vIXT1_EEEvE4typeEPT_S4_S3_,comdat
	.protected	_Z26warp_exclusive_scan_kernelIfLj64ELj16EENSt9enable_ifIXsr10test_utilsE35device_test_enabled_for_warp_size_vIXT1_EEEvE4typeEPT_S4_S3_ ; -- Begin function _Z26warp_exclusive_scan_kernelIfLj64ELj16EENSt9enable_ifIXsr10test_utilsE35device_test_enabled_for_warp_size_vIXT1_EEEvE4typeEPT_S4_S3_
	.globl	_Z26warp_exclusive_scan_kernelIfLj64ELj16EENSt9enable_ifIXsr10test_utilsE35device_test_enabled_for_warp_size_vIXT1_EEEvE4typeEPT_S4_S3_
	.p2align	8
	.type	_Z26warp_exclusive_scan_kernelIfLj64ELj16EENSt9enable_ifIXsr10test_utilsE35device_test_enabled_for_warp_size_vIXT1_EEEvE4typeEPT_S4_S3_,@function
_Z26warp_exclusive_scan_kernelIfLj64ELj16EENSt9enable_ifIXsr10test_utilsE35device_test_enabled_for_warp_size_vIXT1_EEEvE4typeEPT_S4_S3_: ; @_Z26warp_exclusive_scan_kernelIfLj64ELj16EENSt9enable_ifIXsr10test_utilsE35device_test_enabled_for_warp_size_vIXT1_EEEvE4typeEPT_S4_S3_
; %bb.0:
	s_clause 0x2
	s_load_b32 s2, s[0:1], 0x24
	s_load_b128 s[4:7], s[0:1], 0x0
	s_load_b32 s1, s[0:1], 0x10
	s_waitcnt lgkmcnt(0)
	s_and_b32 s2, s2, 0xffff
	s_delay_alu instid0(SALU_CYCLE_1) | instskip(SKIP_1) | instid1(VALU_DEP_1)
	v_mad_u64_u32 v[1:2], null, s15, s2, v[0:1]
	v_mov_b32_e32 v2, 0
	v_lshlrev_b64 v[0:1], 2, v[1:2]
	s_delay_alu instid0(VALU_DEP_1) | instskip(NEXT) | instid1(VALU_DEP_2)
	v_add_co_u32 v2, vcc_lo, s4, v0
	v_add_co_ci_u32_e32 v3, vcc_lo, s5, v1, vcc_lo
	global_load_b32 v2, v[2:3], off
	v_mbcnt_lo_u32_b32 v3, -1, 0
	s_delay_alu instid0(VALU_DEP_1) | instskip(SKIP_2) | instid1(VALU_DEP_3)
	v_and_b32_e32 v5, 15, v3
	v_add_nc_u32_e32 v6, -1, v3
	v_and_b32_e32 v7, 16, v3
	v_cmp_eq_u32_e32 vcc_lo, 0, v5
	v_cmp_lt_u32_e64 s0, 1, v5
	s_waitcnt vmcnt(0)
	v_mov_b32_dpp v4, v2 row_shr:1 row_mask:0xf bank_mask:0xf
	s_delay_alu instid0(VALU_DEP_1) | instskip(NEXT) | instid1(VALU_DEP_1)
	v_add_f32_e32 v4, v2, v4
	v_cndmask_b32_e32 v2, v4, v2, vcc_lo
	s_delay_alu instid0(VALU_DEP_1) | instskip(NEXT) | instid1(VALU_DEP_1)
	v_mov_b32_dpp v4, v2 row_shr:2 row_mask:0xf bank_mask:0xf
	v_add_f32_e32 v4, v2, v4
	s_delay_alu instid0(VALU_DEP_1) | instskip(SKIP_1) | instid1(VALU_DEP_2)
	v_cndmask_b32_e64 v2, v2, v4, s0
	v_cmp_lt_u32_e64 s0, 3, v5
	v_mov_b32_dpp v4, v2 row_shr:4 row_mask:0xf bank_mask:0xf
	s_delay_alu instid0(VALU_DEP_1) | instskip(NEXT) | instid1(VALU_DEP_1)
	v_add_f32_e32 v4, v2, v4
	v_cndmask_b32_e64 v2, v2, v4, s0
	v_cmp_lt_i32_e64 s0, v6, v7
	s_delay_alu instid0(VALU_DEP_2) | instskip(NEXT) | instid1(VALU_DEP_2)
	v_mov_b32_dpp v4, v2 row_shr:8 row_mask:0xf bank_mask:0xf
	v_cndmask_b32_e64 v3, v6, v3, s0
	v_cmp_lt_u32_e64 s0, 7, v5
	s_delay_alu instid0(VALU_DEP_2) | instskip(NEXT) | instid1(VALU_DEP_1)
	v_dual_add_f32 v4, v2, v4 :: v_dual_lshlrev_b32 v3, 2, v3
	v_cndmask_b32_e64 v2, v2, v4, s0
	s_delay_alu instid0(VALU_DEP_1)
	v_add_f32_e32 v2, s1, v2
	ds_bpermute_b32 v2, v3, v2
	s_waitcnt lgkmcnt(0)
	v_cndmask_b32_e64 v2, v2, s1, vcc_lo
	v_add_co_u32 v0, vcc_lo, s6, v0
	v_add_co_ci_u32_e32 v1, vcc_lo, s7, v1, vcc_lo
	global_store_b32 v[0:1], v2, off
	s_nop 0
	s_sendmsg sendmsg(MSG_DEALLOC_VGPRS)
	s_endpgm
	.section	.rodata,"a",@progbits
	.p2align	6, 0x0
	.amdhsa_kernel _Z26warp_exclusive_scan_kernelIfLj64ELj16EENSt9enable_ifIXsr10test_utilsE35device_test_enabled_for_warp_size_vIXT1_EEEvE4typeEPT_S4_S3_
		.amdhsa_group_segment_fixed_size 0
		.amdhsa_private_segment_fixed_size 0
		.amdhsa_kernarg_size 280
		.amdhsa_user_sgpr_count 15
		.amdhsa_user_sgpr_dispatch_ptr 0
		.amdhsa_user_sgpr_queue_ptr 0
		.amdhsa_user_sgpr_kernarg_segment_ptr 1
		.amdhsa_user_sgpr_dispatch_id 0
		.amdhsa_user_sgpr_private_segment_size 0
		.amdhsa_wavefront_size32 1
		.amdhsa_uses_dynamic_stack 0
		.amdhsa_enable_private_segment 0
		.amdhsa_system_sgpr_workgroup_id_x 1
		.amdhsa_system_sgpr_workgroup_id_y 0
		.amdhsa_system_sgpr_workgroup_id_z 0
		.amdhsa_system_sgpr_workgroup_info 0
		.amdhsa_system_vgpr_workitem_id 0
		.amdhsa_next_free_vgpr 8
		.amdhsa_next_free_sgpr 16
		.amdhsa_reserve_vcc 1
		.amdhsa_float_round_mode_32 0
		.amdhsa_float_round_mode_16_64 0
		.amdhsa_float_denorm_mode_32 3
		.amdhsa_float_denorm_mode_16_64 3
		.amdhsa_dx10_clamp 1
		.amdhsa_ieee_mode 1
		.amdhsa_fp16_overflow 0
		.amdhsa_workgroup_processor_mode 1
		.amdhsa_memory_ordered 1
		.amdhsa_forward_progress 0
		.amdhsa_shared_vgpr_count 0
		.amdhsa_exception_fp_ieee_invalid_op 0
		.amdhsa_exception_fp_denorm_src 0
		.amdhsa_exception_fp_ieee_div_zero 0
		.amdhsa_exception_fp_ieee_overflow 0
		.amdhsa_exception_fp_ieee_underflow 0
		.amdhsa_exception_fp_ieee_inexact 0
		.amdhsa_exception_int_div_zero 0
	.end_amdhsa_kernel
	.section	.text._Z26warp_exclusive_scan_kernelIfLj64ELj16EENSt9enable_ifIXsr10test_utilsE35device_test_enabled_for_warp_size_vIXT1_EEEvE4typeEPT_S4_S3_,"axG",@progbits,_Z26warp_exclusive_scan_kernelIfLj64ELj16EENSt9enable_ifIXsr10test_utilsE35device_test_enabled_for_warp_size_vIXT1_EEEvE4typeEPT_S4_S3_,comdat
.Lfunc_end152:
	.size	_Z26warp_exclusive_scan_kernelIfLj64ELj16EENSt9enable_ifIXsr10test_utilsE35device_test_enabled_for_warp_size_vIXT1_EEEvE4typeEPT_S4_S3_, .Lfunc_end152-_Z26warp_exclusive_scan_kernelIfLj64ELj16EENSt9enable_ifIXsr10test_utilsE35device_test_enabled_for_warp_size_vIXT1_EEEvE4typeEPT_S4_S3_
                                        ; -- End function
	.section	.AMDGPU.csdata,"",@progbits
; Kernel info:
; codeLenInByte = 324
; NumSgprs: 18
; NumVgprs: 8
; ScratchSize: 0
; MemoryBound: 0
; FloatMode: 240
; IeeeMode: 1
; LDSByteSize: 0 bytes/workgroup (compile time only)
; SGPRBlocks: 2
; VGPRBlocks: 0
; NumSGPRsForWavesPerEU: 18
; NumVGPRsForWavesPerEU: 8
; Occupancy: 16
; WaveLimiterHint : 0
; COMPUTE_PGM_RSRC2:SCRATCH_EN: 0
; COMPUTE_PGM_RSRC2:USER_SGPR: 15
; COMPUTE_PGM_RSRC2:TRAP_HANDLER: 0
; COMPUTE_PGM_RSRC2:TGID_X_EN: 1
; COMPUTE_PGM_RSRC2:TGID_Y_EN: 0
; COMPUTE_PGM_RSRC2:TGID_Z_EN: 0
; COMPUTE_PGM_RSRC2:TIDIG_COMP_CNT: 0
	.section	.text._Z26warp_exclusive_scan_kernelIfLj32ELj8EENSt9enable_ifIXsr10test_utilsE35device_test_enabled_for_warp_size_vIXT1_EEEvE4typeEPT_S4_S3_,"axG",@progbits,_Z26warp_exclusive_scan_kernelIfLj32ELj8EENSt9enable_ifIXsr10test_utilsE35device_test_enabled_for_warp_size_vIXT1_EEEvE4typeEPT_S4_S3_,comdat
	.protected	_Z26warp_exclusive_scan_kernelIfLj32ELj8EENSt9enable_ifIXsr10test_utilsE35device_test_enabled_for_warp_size_vIXT1_EEEvE4typeEPT_S4_S3_ ; -- Begin function _Z26warp_exclusive_scan_kernelIfLj32ELj8EENSt9enable_ifIXsr10test_utilsE35device_test_enabled_for_warp_size_vIXT1_EEEvE4typeEPT_S4_S3_
	.globl	_Z26warp_exclusive_scan_kernelIfLj32ELj8EENSt9enable_ifIXsr10test_utilsE35device_test_enabled_for_warp_size_vIXT1_EEEvE4typeEPT_S4_S3_
	.p2align	8
	.type	_Z26warp_exclusive_scan_kernelIfLj32ELj8EENSt9enable_ifIXsr10test_utilsE35device_test_enabled_for_warp_size_vIXT1_EEEvE4typeEPT_S4_S3_,@function
_Z26warp_exclusive_scan_kernelIfLj32ELj8EENSt9enable_ifIXsr10test_utilsE35device_test_enabled_for_warp_size_vIXT1_EEEvE4typeEPT_S4_S3_: ; @_Z26warp_exclusive_scan_kernelIfLj32ELj8EENSt9enable_ifIXsr10test_utilsE35device_test_enabled_for_warp_size_vIXT1_EEEvE4typeEPT_S4_S3_
; %bb.0:
	s_clause 0x2
	s_load_b32 s2, s[0:1], 0x24
	s_load_b128 s[4:7], s[0:1], 0x0
	s_load_b32 s1, s[0:1], 0x10
	s_waitcnt lgkmcnt(0)
	s_and_b32 s2, s2, 0xffff
	s_delay_alu instid0(SALU_CYCLE_1) | instskip(SKIP_1) | instid1(VALU_DEP_1)
	v_mad_u64_u32 v[1:2], null, s15, s2, v[0:1]
	v_mov_b32_e32 v2, 0
	v_lshlrev_b64 v[0:1], 2, v[1:2]
	s_delay_alu instid0(VALU_DEP_1) | instskip(NEXT) | instid1(VALU_DEP_2)
	v_add_co_u32 v2, vcc_lo, s4, v0
	v_add_co_ci_u32_e32 v3, vcc_lo, s5, v1, vcc_lo
	global_load_b32 v2, v[2:3], off
	v_mbcnt_lo_u32_b32 v3, -1, 0
	s_delay_alu instid0(VALU_DEP_1) | instskip(SKIP_2) | instid1(VALU_DEP_3)
	v_and_b32_e32 v5, 7, v3
	v_add_nc_u32_e32 v6, -1, v3
	v_and_b32_e32 v7, 24, v3
	v_cmp_eq_u32_e32 vcc_lo, 0, v5
	v_cmp_lt_u32_e64 s0, 1, v5
	s_waitcnt vmcnt(0)
	v_mov_b32_dpp v4, v2 row_shr:1 row_mask:0xf bank_mask:0xf
	s_delay_alu instid0(VALU_DEP_1) | instskip(NEXT) | instid1(VALU_DEP_1)
	v_add_f32_e32 v4, v2, v4
	v_cndmask_b32_e32 v2, v4, v2, vcc_lo
	s_delay_alu instid0(VALU_DEP_1) | instskip(NEXT) | instid1(VALU_DEP_1)
	v_mov_b32_dpp v4, v2 row_shr:2 row_mask:0xf bank_mask:0xf
	v_add_f32_e32 v4, v2, v4
	s_delay_alu instid0(VALU_DEP_1) | instskip(SKIP_1) | instid1(VALU_DEP_2)
	v_cndmask_b32_e64 v2, v2, v4, s0
	v_cmp_lt_i32_e64 s0, v6, v7
	v_mov_b32_dpp v4, v2 row_shr:4 row_mask:0xf bank_mask:0xf
	s_delay_alu instid0(VALU_DEP_2) | instskip(SKIP_1) | instid1(VALU_DEP_2)
	v_cndmask_b32_e64 v3, v6, v3, s0
	v_cmp_lt_u32_e64 s0, 3, v5
	v_dual_add_f32 v4, v2, v4 :: v_dual_lshlrev_b32 v3, 2, v3
	s_delay_alu instid0(VALU_DEP_1) | instskip(NEXT) | instid1(VALU_DEP_1)
	v_cndmask_b32_e64 v2, v2, v4, s0
	v_add_f32_e32 v2, s1, v2
	ds_bpermute_b32 v2, v3, v2
	s_waitcnt lgkmcnt(0)
	v_cndmask_b32_e64 v2, v2, s1, vcc_lo
	v_add_co_u32 v0, vcc_lo, s6, v0
	v_add_co_ci_u32_e32 v1, vcc_lo, s7, v1, vcc_lo
	global_store_b32 v[0:1], v2, off
	s_nop 0
	s_sendmsg sendmsg(MSG_DEALLOC_VGPRS)
	s_endpgm
	.section	.rodata,"a",@progbits
	.p2align	6, 0x0
	.amdhsa_kernel _Z26warp_exclusive_scan_kernelIfLj32ELj8EENSt9enable_ifIXsr10test_utilsE35device_test_enabled_for_warp_size_vIXT1_EEEvE4typeEPT_S4_S3_
		.amdhsa_group_segment_fixed_size 0
		.amdhsa_private_segment_fixed_size 0
		.amdhsa_kernarg_size 280
		.amdhsa_user_sgpr_count 15
		.amdhsa_user_sgpr_dispatch_ptr 0
		.amdhsa_user_sgpr_queue_ptr 0
		.amdhsa_user_sgpr_kernarg_segment_ptr 1
		.amdhsa_user_sgpr_dispatch_id 0
		.amdhsa_user_sgpr_private_segment_size 0
		.amdhsa_wavefront_size32 1
		.amdhsa_uses_dynamic_stack 0
		.amdhsa_enable_private_segment 0
		.amdhsa_system_sgpr_workgroup_id_x 1
		.amdhsa_system_sgpr_workgroup_id_y 0
		.amdhsa_system_sgpr_workgroup_id_z 0
		.amdhsa_system_sgpr_workgroup_info 0
		.amdhsa_system_vgpr_workitem_id 0
		.amdhsa_next_free_vgpr 8
		.amdhsa_next_free_sgpr 16
		.amdhsa_reserve_vcc 1
		.amdhsa_float_round_mode_32 0
		.amdhsa_float_round_mode_16_64 0
		.amdhsa_float_denorm_mode_32 3
		.amdhsa_float_denorm_mode_16_64 3
		.amdhsa_dx10_clamp 1
		.amdhsa_ieee_mode 1
		.amdhsa_fp16_overflow 0
		.amdhsa_workgroup_processor_mode 1
		.amdhsa_memory_ordered 1
		.amdhsa_forward_progress 0
		.amdhsa_shared_vgpr_count 0
		.amdhsa_exception_fp_ieee_invalid_op 0
		.amdhsa_exception_fp_denorm_src 0
		.amdhsa_exception_fp_ieee_div_zero 0
		.amdhsa_exception_fp_ieee_overflow 0
		.amdhsa_exception_fp_ieee_underflow 0
		.amdhsa_exception_fp_ieee_inexact 0
		.amdhsa_exception_int_div_zero 0
	.end_amdhsa_kernel
	.section	.text._Z26warp_exclusive_scan_kernelIfLj32ELj8EENSt9enable_ifIXsr10test_utilsE35device_test_enabled_for_warp_size_vIXT1_EEEvE4typeEPT_S4_S3_,"axG",@progbits,_Z26warp_exclusive_scan_kernelIfLj32ELj8EENSt9enable_ifIXsr10test_utilsE35device_test_enabled_for_warp_size_vIXT1_EEEvE4typeEPT_S4_S3_,comdat
.Lfunc_end153:
	.size	_Z26warp_exclusive_scan_kernelIfLj32ELj8EENSt9enable_ifIXsr10test_utilsE35device_test_enabled_for_warp_size_vIXT1_EEEvE4typeEPT_S4_S3_, .Lfunc_end153-_Z26warp_exclusive_scan_kernelIfLj32ELj8EENSt9enable_ifIXsr10test_utilsE35device_test_enabled_for_warp_size_vIXT1_EEEvE4typeEPT_S4_S3_
                                        ; -- End function
	.section	.AMDGPU.csdata,"",@progbits
; Kernel info:
; codeLenInByte = 288
; NumSgprs: 18
; NumVgprs: 8
; ScratchSize: 0
; MemoryBound: 0
; FloatMode: 240
; IeeeMode: 1
; LDSByteSize: 0 bytes/workgroup (compile time only)
; SGPRBlocks: 2
; VGPRBlocks: 0
; NumSGPRsForWavesPerEU: 18
; NumVGPRsForWavesPerEU: 8
; Occupancy: 16
; WaveLimiterHint : 0
; COMPUTE_PGM_RSRC2:SCRATCH_EN: 0
; COMPUTE_PGM_RSRC2:USER_SGPR: 15
; COMPUTE_PGM_RSRC2:TRAP_HANDLER: 0
; COMPUTE_PGM_RSRC2:TGID_X_EN: 1
; COMPUTE_PGM_RSRC2:TGID_Y_EN: 0
; COMPUTE_PGM_RSRC2:TGID_Z_EN: 0
; COMPUTE_PGM_RSRC2:TIDIG_COMP_CNT: 0
	.section	.text._Z26warp_exclusive_scan_kernelIfLj64ELj8EENSt9enable_ifIXsr10test_utilsE35device_test_enabled_for_warp_size_vIXT1_EEEvE4typeEPT_S4_S3_,"axG",@progbits,_Z26warp_exclusive_scan_kernelIfLj64ELj8EENSt9enable_ifIXsr10test_utilsE35device_test_enabled_for_warp_size_vIXT1_EEEvE4typeEPT_S4_S3_,comdat
	.protected	_Z26warp_exclusive_scan_kernelIfLj64ELj8EENSt9enable_ifIXsr10test_utilsE35device_test_enabled_for_warp_size_vIXT1_EEEvE4typeEPT_S4_S3_ ; -- Begin function _Z26warp_exclusive_scan_kernelIfLj64ELj8EENSt9enable_ifIXsr10test_utilsE35device_test_enabled_for_warp_size_vIXT1_EEEvE4typeEPT_S4_S3_
	.globl	_Z26warp_exclusive_scan_kernelIfLj64ELj8EENSt9enable_ifIXsr10test_utilsE35device_test_enabled_for_warp_size_vIXT1_EEEvE4typeEPT_S4_S3_
	.p2align	8
	.type	_Z26warp_exclusive_scan_kernelIfLj64ELj8EENSt9enable_ifIXsr10test_utilsE35device_test_enabled_for_warp_size_vIXT1_EEEvE4typeEPT_S4_S3_,@function
_Z26warp_exclusive_scan_kernelIfLj64ELj8EENSt9enable_ifIXsr10test_utilsE35device_test_enabled_for_warp_size_vIXT1_EEEvE4typeEPT_S4_S3_: ; @_Z26warp_exclusive_scan_kernelIfLj64ELj8EENSt9enable_ifIXsr10test_utilsE35device_test_enabled_for_warp_size_vIXT1_EEEvE4typeEPT_S4_S3_
; %bb.0:
	s_clause 0x2
	s_load_b32 s2, s[0:1], 0x24
	s_load_b128 s[4:7], s[0:1], 0x0
	s_load_b32 s1, s[0:1], 0x10
	s_waitcnt lgkmcnt(0)
	s_and_b32 s2, s2, 0xffff
	s_delay_alu instid0(SALU_CYCLE_1) | instskip(SKIP_1) | instid1(VALU_DEP_1)
	v_mad_u64_u32 v[1:2], null, s15, s2, v[0:1]
	v_mov_b32_e32 v2, 0
	v_lshlrev_b64 v[0:1], 2, v[1:2]
	s_delay_alu instid0(VALU_DEP_1) | instskip(NEXT) | instid1(VALU_DEP_2)
	v_add_co_u32 v2, vcc_lo, s4, v0
	v_add_co_ci_u32_e32 v3, vcc_lo, s5, v1, vcc_lo
	global_load_b32 v2, v[2:3], off
	v_mbcnt_lo_u32_b32 v3, -1, 0
	s_delay_alu instid0(VALU_DEP_1) | instskip(SKIP_2) | instid1(VALU_DEP_3)
	v_and_b32_e32 v5, 7, v3
	v_add_nc_u32_e32 v6, -1, v3
	v_and_b32_e32 v7, 24, v3
	v_cmp_eq_u32_e32 vcc_lo, 0, v5
	v_cmp_lt_u32_e64 s0, 1, v5
	s_waitcnt vmcnt(0)
	v_mov_b32_dpp v4, v2 row_shr:1 row_mask:0xf bank_mask:0xf
	s_delay_alu instid0(VALU_DEP_1) | instskip(NEXT) | instid1(VALU_DEP_1)
	v_add_f32_e32 v4, v2, v4
	v_cndmask_b32_e32 v2, v4, v2, vcc_lo
	s_delay_alu instid0(VALU_DEP_1) | instskip(NEXT) | instid1(VALU_DEP_1)
	v_mov_b32_dpp v4, v2 row_shr:2 row_mask:0xf bank_mask:0xf
	v_add_f32_e32 v4, v2, v4
	s_delay_alu instid0(VALU_DEP_1) | instskip(SKIP_1) | instid1(VALU_DEP_2)
	v_cndmask_b32_e64 v2, v2, v4, s0
	v_cmp_lt_i32_e64 s0, v6, v7
	v_mov_b32_dpp v4, v2 row_shr:4 row_mask:0xf bank_mask:0xf
	s_delay_alu instid0(VALU_DEP_2) | instskip(SKIP_1) | instid1(VALU_DEP_2)
	v_cndmask_b32_e64 v3, v6, v3, s0
	v_cmp_lt_u32_e64 s0, 3, v5
	v_dual_add_f32 v4, v2, v4 :: v_dual_lshlrev_b32 v3, 2, v3
	s_delay_alu instid0(VALU_DEP_1) | instskip(NEXT) | instid1(VALU_DEP_1)
	v_cndmask_b32_e64 v2, v2, v4, s0
	v_add_f32_e32 v2, s1, v2
	ds_bpermute_b32 v2, v3, v2
	s_waitcnt lgkmcnt(0)
	v_cndmask_b32_e64 v2, v2, s1, vcc_lo
	v_add_co_u32 v0, vcc_lo, s6, v0
	v_add_co_ci_u32_e32 v1, vcc_lo, s7, v1, vcc_lo
	global_store_b32 v[0:1], v2, off
	s_nop 0
	s_sendmsg sendmsg(MSG_DEALLOC_VGPRS)
	s_endpgm
	.section	.rodata,"a",@progbits
	.p2align	6, 0x0
	.amdhsa_kernel _Z26warp_exclusive_scan_kernelIfLj64ELj8EENSt9enable_ifIXsr10test_utilsE35device_test_enabled_for_warp_size_vIXT1_EEEvE4typeEPT_S4_S3_
		.amdhsa_group_segment_fixed_size 0
		.amdhsa_private_segment_fixed_size 0
		.amdhsa_kernarg_size 280
		.amdhsa_user_sgpr_count 15
		.amdhsa_user_sgpr_dispatch_ptr 0
		.amdhsa_user_sgpr_queue_ptr 0
		.amdhsa_user_sgpr_kernarg_segment_ptr 1
		.amdhsa_user_sgpr_dispatch_id 0
		.amdhsa_user_sgpr_private_segment_size 0
		.amdhsa_wavefront_size32 1
		.amdhsa_uses_dynamic_stack 0
		.amdhsa_enable_private_segment 0
		.amdhsa_system_sgpr_workgroup_id_x 1
		.amdhsa_system_sgpr_workgroup_id_y 0
		.amdhsa_system_sgpr_workgroup_id_z 0
		.amdhsa_system_sgpr_workgroup_info 0
		.amdhsa_system_vgpr_workitem_id 0
		.amdhsa_next_free_vgpr 8
		.amdhsa_next_free_sgpr 16
		.amdhsa_reserve_vcc 1
		.amdhsa_float_round_mode_32 0
		.amdhsa_float_round_mode_16_64 0
		.amdhsa_float_denorm_mode_32 3
		.amdhsa_float_denorm_mode_16_64 3
		.amdhsa_dx10_clamp 1
		.amdhsa_ieee_mode 1
		.amdhsa_fp16_overflow 0
		.amdhsa_workgroup_processor_mode 1
		.amdhsa_memory_ordered 1
		.amdhsa_forward_progress 0
		.amdhsa_shared_vgpr_count 0
		.amdhsa_exception_fp_ieee_invalid_op 0
		.amdhsa_exception_fp_denorm_src 0
		.amdhsa_exception_fp_ieee_div_zero 0
		.amdhsa_exception_fp_ieee_overflow 0
		.amdhsa_exception_fp_ieee_underflow 0
		.amdhsa_exception_fp_ieee_inexact 0
		.amdhsa_exception_int_div_zero 0
	.end_amdhsa_kernel
	.section	.text._Z26warp_exclusive_scan_kernelIfLj64ELj8EENSt9enable_ifIXsr10test_utilsE35device_test_enabled_for_warp_size_vIXT1_EEEvE4typeEPT_S4_S3_,"axG",@progbits,_Z26warp_exclusive_scan_kernelIfLj64ELj8EENSt9enable_ifIXsr10test_utilsE35device_test_enabled_for_warp_size_vIXT1_EEEvE4typeEPT_S4_S3_,comdat
.Lfunc_end154:
	.size	_Z26warp_exclusive_scan_kernelIfLj64ELj8EENSt9enable_ifIXsr10test_utilsE35device_test_enabled_for_warp_size_vIXT1_EEEvE4typeEPT_S4_S3_, .Lfunc_end154-_Z26warp_exclusive_scan_kernelIfLj64ELj8EENSt9enable_ifIXsr10test_utilsE35device_test_enabled_for_warp_size_vIXT1_EEEvE4typeEPT_S4_S3_
                                        ; -- End function
	.section	.AMDGPU.csdata,"",@progbits
; Kernel info:
; codeLenInByte = 288
; NumSgprs: 18
; NumVgprs: 8
; ScratchSize: 0
; MemoryBound: 0
; FloatMode: 240
; IeeeMode: 1
; LDSByteSize: 0 bytes/workgroup (compile time only)
; SGPRBlocks: 2
; VGPRBlocks: 0
; NumSGPRsForWavesPerEU: 18
; NumVGPRsForWavesPerEU: 8
; Occupancy: 16
; WaveLimiterHint : 0
; COMPUTE_PGM_RSRC2:SCRATCH_EN: 0
; COMPUTE_PGM_RSRC2:USER_SGPR: 15
; COMPUTE_PGM_RSRC2:TRAP_HANDLER: 0
; COMPUTE_PGM_RSRC2:TGID_X_EN: 1
; COMPUTE_PGM_RSRC2:TGID_Y_EN: 0
; COMPUTE_PGM_RSRC2:TGID_Z_EN: 0
; COMPUTE_PGM_RSRC2:TIDIG_COMP_CNT: 0
	.section	.text._Z26warp_exclusive_scan_kernelIfLj32ELj4EENSt9enable_ifIXsr10test_utilsE35device_test_enabled_for_warp_size_vIXT1_EEEvE4typeEPT_S4_S3_,"axG",@progbits,_Z26warp_exclusive_scan_kernelIfLj32ELj4EENSt9enable_ifIXsr10test_utilsE35device_test_enabled_for_warp_size_vIXT1_EEEvE4typeEPT_S4_S3_,comdat
	.protected	_Z26warp_exclusive_scan_kernelIfLj32ELj4EENSt9enable_ifIXsr10test_utilsE35device_test_enabled_for_warp_size_vIXT1_EEEvE4typeEPT_S4_S3_ ; -- Begin function _Z26warp_exclusive_scan_kernelIfLj32ELj4EENSt9enable_ifIXsr10test_utilsE35device_test_enabled_for_warp_size_vIXT1_EEEvE4typeEPT_S4_S3_
	.globl	_Z26warp_exclusive_scan_kernelIfLj32ELj4EENSt9enable_ifIXsr10test_utilsE35device_test_enabled_for_warp_size_vIXT1_EEEvE4typeEPT_S4_S3_
	.p2align	8
	.type	_Z26warp_exclusive_scan_kernelIfLj32ELj4EENSt9enable_ifIXsr10test_utilsE35device_test_enabled_for_warp_size_vIXT1_EEEvE4typeEPT_S4_S3_,@function
_Z26warp_exclusive_scan_kernelIfLj32ELj4EENSt9enable_ifIXsr10test_utilsE35device_test_enabled_for_warp_size_vIXT1_EEEvE4typeEPT_S4_S3_: ; @_Z26warp_exclusive_scan_kernelIfLj32ELj4EENSt9enable_ifIXsr10test_utilsE35device_test_enabled_for_warp_size_vIXT1_EEEvE4typeEPT_S4_S3_
; %bb.0:
	s_clause 0x2
	s_load_b32 s2, s[0:1], 0x24
	s_load_b128 s[4:7], s[0:1], 0x0
	s_load_b32 s1, s[0:1], 0x10
	s_waitcnt lgkmcnt(0)
	s_and_b32 s2, s2, 0xffff
	s_delay_alu instid0(SALU_CYCLE_1) | instskip(SKIP_1) | instid1(VALU_DEP_1)
	v_mad_u64_u32 v[1:2], null, s15, s2, v[0:1]
	v_mov_b32_e32 v2, 0
	v_lshlrev_b64 v[0:1], 2, v[1:2]
	s_delay_alu instid0(VALU_DEP_1) | instskip(NEXT) | instid1(VALU_DEP_2)
	v_add_co_u32 v2, vcc_lo, s4, v0
	v_add_co_ci_u32_e32 v3, vcc_lo, s5, v1, vcc_lo
	global_load_b32 v2, v[2:3], off
	v_mbcnt_lo_u32_b32 v3, -1, 0
	s_delay_alu instid0(VALU_DEP_1) | instskip(SKIP_2) | instid1(VALU_DEP_3)
	v_and_b32_e32 v5, 3, v3
	v_add_nc_u32_e32 v6, -1, v3
	v_and_b32_e32 v7, 28, v3
	v_cmp_eq_u32_e32 vcc_lo, 0, v5
	s_delay_alu instid0(VALU_DEP_2) | instskip(NEXT) | instid1(VALU_DEP_1)
	v_cmp_lt_i32_e64 s0, v6, v7
	v_cndmask_b32_e64 v3, v6, v3, s0
	v_cmp_lt_u32_e64 s0, 1, v5
	s_delay_alu instid0(VALU_DEP_2) | instskip(SKIP_2) | instid1(VALU_DEP_1)
	v_lshlrev_b32_e32 v3, 2, v3
	s_waitcnt vmcnt(0)
	v_mov_b32_dpp v4, v2 row_shr:1 row_mask:0xf bank_mask:0xf
	v_add_f32_e32 v4, v2, v4
	s_delay_alu instid0(VALU_DEP_1) | instskip(NEXT) | instid1(VALU_DEP_1)
	v_cndmask_b32_e32 v2, v4, v2, vcc_lo
	v_mov_b32_dpp v4, v2 row_shr:2 row_mask:0xf bank_mask:0xf
	s_delay_alu instid0(VALU_DEP_1) | instskip(NEXT) | instid1(VALU_DEP_1)
	v_add_f32_e32 v4, v2, v4
	v_cndmask_b32_e64 v2, v2, v4, s0
	s_delay_alu instid0(VALU_DEP_1)
	v_add_f32_e32 v2, s1, v2
	ds_bpermute_b32 v2, v3, v2
	s_waitcnt lgkmcnt(0)
	v_cndmask_b32_e64 v2, v2, s1, vcc_lo
	v_add_co_u32 v0, vcc_lo, s6, v0
	v_add_co_ci_u32_e32 v1, vcc_lo, s7, v1, vcc_lo
	global_store_b32 v[0:1], v2, off
	s_nop 0
	s_sendmsg sendmsg(MSG_DEALLOC_VGPRS)
	s_endpgm
	.section	.rodata,"a",@progbits
	.p2align	6, 0x0
	.amdhsa_kernel _Z26warp_exclusive_scan_kernelIfLj32ELj4EENSt9enable_ifIXsr10test_utilsE35device_test_enabled_for_warp_size_vIXT1_EEEvE4typeEPT_S4_S3_
		.amdhsa_group_segment_fixed_size 0
		.amdhsa_private_segment_fixed_size 0
		.amdhsa_kernarg_size 280
		.amdhsa_user_sgpr_count 15
		.amdhsa_user_sgpr_dispatch_ptr 0
		.amdhsa_user_sgpr_queue_ptr 0
		.amdhsa_user_sgpr_kernarg_segment_ptr 1
		.amdhsa_user_sgpr_dispatch_id 0
		.amdhsa_user_sgpr_private_segment_size 0
		.amdhsa_wavefront_size32 1
		.amdhsa_uses_dynamic_stack 0
		.amdhsa_enable_private_segment 0
		.amdhsa_system_sgpr_workgroup_id_x 1
		.amdhsa_system_sgpr_workgroup_id_y 0
		.amdhsa_system_sgpr_workgroup_id_z 0
		.amdhsa_system_sgpr_workgroup_info 0
		.amdhsa_system_vgpr_workitem_id 0
		.amdhsa_next_free_vgpr 8
		.amdhsa_next_free_sgpr 16
		.amdhsa_reserve_vcc 1
		.amdhsa_float_round_mode_32 0
		.amdhsa_float_round_mode_16_64 0
		.amdhsa_float_denorm_mode_32 3
		.amdhsa_float_denorm_mode_16_64 3
		.amdhsa_dx10_clamp 1
		.amdhsa_ieee_mode 1
		.amdhsa_fp16_overflow 0
		.amdhsa_workgroup_processor_mode 1
		.amdhsa_memory_ordered 1
		.amdhsa_forward_progress 0
		.amdhsa_shared_vgpr_count 0
		.amdhsa_exception_fp_ieee_invalid_op 0
		.amdhsa_exception_fp_denorm_src 0
		.amdhsa_exception_fp_ieee_div_zero 0
		.amdhsa_exception_fp_ieee_overflow 0
		.amdhsa_exception_fp_ieee_underflow 0
		.amdhsa_exception_fp_ieee_inexact 0
		.amdhsa_exception_int_div_zero 0
	.end_amdhsa_kernel
	.section	.text._Z26warp_exclusive_scan_kernelIfLj32ELj4EENSt9enable_ifIXsr10test_utilsE35device_test_enabled_for_warp_size_vIXT1_EEEvE4typeEPT_S4_S3_,"axG",@progbits,_Z26warp_exclusive_scan_kernelIfLj32ELj4EENSt9enable_ifIXsr10test_utilsE35device_test_enabled_for_warp_size_vIXT1_EEEvE4typeEPT_S4_S3_,comdat
.Lfunc_end155:
	.size	_Z26warp_exclusive_scan_kernelIfLj32ELj4EENSt9enable_ifIXsr10test_utilsE35device_test_enabled_for_warp_size_vIXT1_EEEvE4typeEPT_S4_S3_, .Lfunc_end155-_Z26warp_exclusive_scan_kernelIfLj32ELj4EENSt9enable_ifIXsr10test_utilsE35device_test_enabled_for_warp_size_vIXT1_EEEvE4typeEPT_S4_S3_
                                        ; -- End function
	.section	.AMDGPU.csdata,"",@progbits
; Kernel info:
; codeLenInByte = 260
; NumSgprs: 18
; NumVgprs: 8
; ScratchSize: 0
; MemoryBound: 0
; FloatMode: 240
; IeeeMode: 1
; LDSByteSize: 0 bytes/workgroup (compile time only)
; SGPRBlocks: 2
; VGPRBlocks: 0
; NumSGPRsForWavesPerEU: 18
; NumVGPRsForWavesPerEU: 8
; Occupancy: 16
; WaveLimiterHint : 0
; COMPUTE_PGM_RSRC2:SCRATCH_EN: 0
; COMPUTE_PGM_RSRC2:USER_SGPR: 15
; COMPUTE_PGM_RSRC2:TRAP_HANDLER: 0
; COMPUTE_PGM_RSRC2:TGID_X_EN: 1
; COMPUTE_PGM_RSRC2:TGID_Y_EN: 0
; COMPUTE_PGM_RSRC2:TGID_Z_EN: 0
; COMPUTE_PGM_RSRC2:TIDIG_COMP_CNT: 0
	.section	.text._Z26warp_exclusive_scan_kernelIfLj64ELj4EENSt9enable_ifIXsr10test_utilsE35device_test_enabled_for_warp_size_vIXT1_EEEvE4typeEPT_S4_S3_,"axG",@progbits,_Z26warp_exclusive_scan_kernelIfLj64ELj4EENSt9enable_ifIXsr10test_utilsE35device_test_enabled_for_warp_size_vIXT1_EEEvE4typeEPT_S4_S3_,comdat
	.protected	_Z26warp_exclusive_scan_kernelIfLj64ELj4EENSt9enable_ifIXsr10test_utilsE35device_test_enabled_for_warp_size_vIXT1_EEEvE4typeEPT_S4_S3_ ; -- Begin function _Z26warp_exclusive_scan_kernelIfLj64ELj4EENSt9enable_ifIXsr10test_utilsE35device_test_enabled_for_warp_size_vIXT1_EEEvE4typeEPT_S4_S3_
	.globl	_Z26warp_exclusive_scan_kernelIfLj64ELj4EENSt9enable_ifIXsr10test_utilsE35device_test_enabled_for_warp_size_vIXT1_EEEvE4typeEPT_S4_S3_
	.p2align	8
	.type	_Z26warp_exclusive_scan_kernelIfLj64ELj4EENSt9enable_ifIXsr10test_utilsE35device_test_enabled_for_warp_size_vIXT1_EEEvE4typeEPT_S4_S3_,@function
_Z26warp_exclusive_scan_kernelIfLj64ELj4EENSt9enable_ifIXsr10test_utilsE35device_test_enabled_for_warp_size_vIXT1_EEEvE4typeEPT_S4_S3_: ; @_Z26warp_exclusive_scan_kernelIfLj64ELj4EENSt9enable_ifIXsr10test_utilsE35device_test_enabled_for_warp_size_vIXT1_EEEvE4typeEPT_S4_S3_
; %bb.0:
	s_clause 0x2
	s_load_b32 s2, s[0:1], 0x24
	s_load_b128 s[4:7], s[0:1], 0x0
	s_load_b32 s1, s[0:1], 0x10
	s_waitcnt lgkmcnt(0)
	s_and_b32 s2, s2, 0xffff
	s_delay_alu instid0(SALU_CYCLE_1) | instskip(SKIP_1) | instid1(VALU_DEP_1)
	v_mad_u64_u32 v[1:2], null, s15, s2, v[0:1]
	v_mov_b32_e32 v2, 0
	v_lshlrev_b64 v[0:1], 2, v[1:2]
	s_delay_alu instid0(VALU_DEP_1) | instskip(NEXT) | instid1(VALU_DEP_2)
	v_add_co_u32 v2, vcc_lo, s4, v0
	v_add_co_ci_u32_e32 v3, vcc_lo, s5, v1, vcc_lo
	global_load_b32 v2, v[2:3], off
	v_mbcnt_lo_u32_b32 v3, -1, 0
	s_delay_alu instid0(VALU_DEP_1) | instskip(SKIP_2) | instid1(VALU_DEP_3)
	v_and_b32_e32 v5, 3, v3
	v_add_nc_u32_e32 v6, -1, v3
	v_and_b32_e32 v7, 28, v3
	v_cmp_eq_u32_e32 vcc_lo, 0, v5
	s_delay_alu instid0(VALU_DEP_2) | instskip(NEXT) | instid1(VALU_DEP_1)
	v_cmp_lt_i32_e64 s0, v6, v7
	v_cndmask_b32_e64 v3, v6, v3, s0
	v_cmp_lt_u32_e64 s0, 1, v5
	s_delay_alu instid0(VALU_DEP_2) | instskip(SKIP_2) | instid1(VALU_DEP_1)
	v_lshlrev_b32_e32 v3, 2, v3
	s_waitcnt vmcnt(0)
	v_mov_b32_dpp v4, v2 row_shr:1 row_mask:0xf bank_mask:0xf
	v_add_f32_e32 v4, v2, v4
	s_delay_alu instid0(VALU_DEP_1) | instskip(NEXT) | instid1(VALU_DEP_1)
	v_cndmask_b32_e32 v2, v4, v2, vcc_lo
	v_mov_b32_dpp v4, v2 row_shr:2 row_mask:0xf bank_mask:0xf
	s_delay_alu instid0(VALU_DEP_1) | instskip(NEXT) | instid1(VALU_DEP_1)
	v_add_f32_e32 v4, v2, v4
	v_cndmask_b32_e64 v2, v2, v4, s0
	s_delay_alu instid0(VALU_DEP_1)
	v_add_f32_e32 v2, s1, v2
	ds_bpermute_b32 v2, v3, v2
	s_waitcnt lgkmcnt(0)
	v_cndmask_b32_e64 v2, v2, s1, vcc_lo
	v_add_co_u32 v0, vcc_lo, s6, v0
	v_add_co_ci_u32_e32 v1, vcc_lo, s7, v1, vcc_lo
	global_store_b32 v[0:1], v2, off
	s_nop 0
	s_sendmsg sendmsg(MSG_DEALLOC_VGPRS)
	s_endpgm
	.section	.rodata,"a",@progbits
	.p2align	6, 0x0
	.amdhsa_kernel _Z26warp_exclusive_scan_kernelIfLj64ELj4EENSt9enable_ifIXsr10test_utilsE35device_test_enabled_for_warp_size_vIXT1_EEEvE4typeEPT_S4_S3_
		.amdhsa_group_segment_fixed_size 0
		.amdhsa_private_segment_fixed_size 0
		.amdhsa_kernarg_size 280
		.amdhsa_user_sgpr_count 15
		.amdhsa_user_sgpr_dispatch_ptr 0
		.amdhsa_user_sgpr_queue_ptr 0
		.amdhsa_user_sgpr_kernarg_segment_ptr 1
		.amdhsa_user_sgpr_dispatch_id 0
		.amdhsa_user_sgpr_private_segment_size 0
		.amdhsa_wavefront_size32 1
		.amdhsa_uses_dynamic_stack 0
		.amdhsa_enable_private_segment 0
		.amdhsa_system_sgpr_workgroup_id_x 1
		.amdhsa_system_sgpr_workgroup_id_y 0
		.amdhsa_system_sgpr_workgroup_id_z 0
		.amdhsa_system_sgpr_workgroup_info 0
		.amdhsa_system_vgpr_workitem_id 0
		.amdhsa_next_free_vgpr 8
		.amdhsa_next_free_sgpr 16
		.amdhsa_reserve_vcc 1
		.amdhsa_float_round_mode_32 0
		.amdhsa_float_round_mode_16_64 0
		.amdhsa_float_denorm_mode_32 3
		.amdhsa_float_denorm_mode_16_64 3
		.amdhsa_dx10_clamp 1
		.amdhsa_ieee_mode 1
		.amdhsa_fp16_overflow 0
		.amdhsa_workgroup_processor_mode 1
		.amdhsa_memory_ordered 1
		.amdhsa_forward_progress 0
		.amdhsa_shared_vgpr_count 0
		.amdhsa_exception_fp_ieee_invalid_op 0
		.amdhsa_exception_fp_denorm_src 0
		.amdhsa_exception_fp_ieee_div_zero 0
		.amdhsa_exception_fp_ieee_overflow 0
		.amdhsa_exception_fp_ieee_underflow 0
		.amdhsa_exception_fp_ieee_inexact 0
		.amdhsa_exception_int_div_zero 0
	.end_amdhsa_kernel
	.section	.text._Z26warp_exclusive_scan_kernelIfLj64ELj4EENSt9enable_ifIXsr10test_utilsE35device_test_enabled_for_warp_size_vIXT1_EEEvE4typeEPT_S4_S3_,"axG",@progbits,_Z26warp_exclusive_scan_kernelIfLj64ELj4EENSt9enable_ifIXsr10test_utilsE35device_test_enabled_for_warp_size_vIXT1_EEEvE4typeEPT_S4_S3_,comdat
.Lfunc_end156:
	.size	_Z26warp_exclusive_scan_kernelIfLj64ELj4EENSt9enable_ifIXsr10test_utilsE35device_test_enabled_for_warp_size_vIXT1_EEEvE4typeEPT_S4_S3_, .Lfunc_end156-_Z26warp_exclusive_scan_kernelIfLj64ELj4EENSt9enable_ifIXsr10test_utilsE35device_test_enabled_for_warp_size_vIXT1_EEEvE4typeEPT_S4_S3_
                                        ; -- End function
	.section	.AMDGPU.csdata,"",@progbits
; Kernel info:
; codeLenInByte = 260
; NumSgprs: 18
; NumVgprs: 8
; ScratchSize: 0
; MemoryBound: 0
; FloatMode: 240
; IeeeMode: 1
; LDSByteSize: 0 bytes/workgroup (compile time only)
; SGPRBlocks: 2
; VGPRBlocks: 0
; NumSGPRsForWavesPerEU: 18
; NumVGPRsForWavesPerEU: 8
; Occupancy: 16
; WaveLimiterHint : 0
; COMPUTE_PGM_RSRC2:SCRATCH_EN: 0
; COMPUTE_PGM_RSRC2:USER_SGPR: 15
; COMPUTE_PGM_RSRC2:TRAP_HANDLER: 0
; COMPUTE_PGM_RSRC2:TGID_X_EN: 1
; COMPUTE_PGM_RSRC2:TGID_Y_EN: 0
; COMPUTE_PGM_RSRC2:TGID_Z_EN: 0
; COMPUTE_PGM_RSRC2:TIDIG_COMP_CNT: 0
	.section	.text._Z26warp_exclusive_scan_kernelIfLj32ELj2EENSt9enable_ifIXsr10test_utilsE35device_test_enabled_for_warp_size_vIXT1_EEEvE4typeEPT_S4_S3_,"axG",@progbits,_Z26warp_exclusive_scan_kernelIfLj32ELj2EENSt9enable_ifIXsr10test_utilsE35device_test_enabled_for_warp_size_vIXT1_EEEvE4typeEPT_S4_S3_,comdat
	.protected	_Z26warp_exclusive_scan_kernelIfLj32ELj2EENSt9enable_ifIXsr10test_utilsE35device_test_enabled_for_warp_size_vIXT1_EEEvE4typeEPT_S4_S3_ ; -- Begin function _Z26warp_exclusive_scan_kernelIfLj32ELj2EENSt9enable_ifIXsr10test_utilsE35device_test_enabled_for_warp_size_vIXT1_EEEvE4typeEPT_S4_S3_
	.globl	_Z26warp_exclusive_scan_kernelIfLj32ELj2EENSt9enable_ifIXsr10test_utilsE35device_test_enabled_for_warp_size_vIXT1_EEEvE4typeEPT_S4_S3_
	.p2align	8
	.type	_Z26warp_exclusive_scan_kernelIfLj32ELj2EENSt9enable_ifIXsr10test_utilsE35device_test_enabled_for_warp_size_vIXT1_EEEvE4typeEPT_S4_S3_,@function
_Z26warp_exclusive_scan_kernelIfLj32ELj2EENSt9enable_ifIXsr10test_utilsE35device_test_enabled_for_warp_size_vIXT1_EEEvE4typeEPT_S4_S3_: ; @_Z26warp_exclusive_scan_kernelIfLj32ELj2EENSt9enable_ifIXsr10test_utilsE35device_test_enabled_for_warp_size_vIXT1_EEEvE4typeEPT_S4_S3_
; %bb.0:
	s_clause 0x2
	s_load_b32 s2, s[0:1], 0x24
	s_load_b128 s[4:7], s[0:1], 0x0
	s_load_b32 s0, s[0:1], 0x10
	s_waitcnt lgkmcnt(0)
	s_and_b32 s2, s2, 0xffff
	s_delay_alu instid0(SALU_CYCLE_1) | instskip(SKIP_1) | instid1(VALU_DEP_1)
	v_mad_u64_u32 v[1:2], null, s15, s2, v[0:1]
	v_mov_b32_e32 v2, 0
	v_lshlrev_b64 v[0:1], 2, v[1:2]
	s_delay_alu instid0(VALU_DEP_1) | instskip(NEXT) | instid1(VALU_DEP_2)
	v_add_co_u32 v2, vcc_lo, s4, v0
	v_add_co_ci_u32_e32 v3, vcc_lo, s5, v1, vcc_lo
	global_load_b32 v2, v[2:3], off
	v_mbcnt_lo_u32_b32 v3, -1, 0
	s_delay_alu instid0(VALU_DEP_1) | instskip(SKIP_1) | instid1(VALU_DEP_1)
	v_add_nc_u32_e32 v5, -1, v3
	v_and_b32_e32 v6, 30, v3
	v_cmp_lt_i32_e32 vcc_lo, v5, v6
	s_waitcnt vmcnt(0)
	v_mov_b32_dpp v4, v2 row_shr:1 row_mask:0xf bank_mask:0xf
	s_delay_alu instid0(VALU_DEP_1) | instskip(SKIP_1) | instid1(VALU_DEP_2)
	v_dual_add_f32 v4, v2, v4 :: v_dual_and_b32 v7, 1, v3
	v_cndmask_b32_e32 v3, v5, v3, vcc_lo
	v_cmp_eq_u32_e32 vcc_lo, 0, v7
	s_delay_alu instid0(VALU_DEP_2) | instskip(NEXT) | instid1(VALU_DEP_1)
	v_dual_cndmask_b32 v2, v4, v2 :: v_dual_lshlrev_b32 v3, 2, v3
	v_add_f32_e32 v2, s0, v2
	ds_bpermute_b32 v2, v3, v2
	s_waitcnt lgkmcnt(0)
	v_cndmask_b32_e64 v2, v2, s0, vcc_lo
	v_add_co_u32 v0, vcc_lo, s6, v0
	v_add_co_ci_u32_e32 v1, vcc_lo, s7, v1, vcc_lo
	global_store_b32 v[0:1], v2, off
	s_nop 0
	s_sendmsg sendmsg(MSG_DEALLOC_VGPRS)
	s_endpgm
	.section	.rodata,"a",@progbits
	.p2align	6, 0x0
	.amdhsa_kernel _Z26warp_exclusive_scan_kernelIfLj32ELj2EENSt9enable_ifIXsr10test_utilsE35device_test_enabled_for_warp_size_vIXT1_EEEvE4typeEPT_S4_S3_
		.amdhsa_group_segment_fixed_size 0
		.amdhsa_private_segment_fixed_size 0
		.amdhsa_kernarg_size 280
		.amdhsa_user_sgpr_count 15
		.amdhsa_user_sgpr_dispatch_ptr 0
		.amdhsa_user_sgpr_queue_ptr 0
		.amdhsa_user_sgpr_kernarg_segment_ptr 1
		.amdhsa_user_sgpr_dispatch_id 0
		.amdhsa_user_sgpr_private_segment_size 0
		.amdhsa_wavefront_size32 1
		.amdhsa_uses_dynamic_stack 0
		.amdhsa_enable_private_segment 0
		.amdhsa_system_sgpr_workgroup_id_x 1
		.amdhsa_system_sgpr_workgroup_id_y 0
		.amdhsa_system_sgpr_workgroup_id_z 0
		.amdhsa_system_sgpr_workgroup_info 0
		.amdhsa_system_vgpr_workitem_id 0
		.amdhsa_next_free_vgpr 8
		.amdhsa_next_free_sgpr 16
		.amdhsa_reserve_vcc 1
		.amdhsa_float_round_mode_32 0
		.amdhsa_float_round_mode_16_64 0
		.amdhsa_float_denorm_mode_32 3
		.amdhsa_float_denorm_mode_16_64 3
		.amdhsa_dx10_clamp 1
		.amdhsa_ieee_mode 1
		.amdhsa_fp16_overflow 0
		.amdhsa_workgroup_processor_mode 1
		.amdhsa_memory_ordered 1
		.amdhsa_forward_progress 0
		.amdhsa_shared_vgpr_count 0
		.amdhsa_exception_fp_ieee_invalid_op 0
		.amdhsa_exception_fp_denorm_src 0
		.amdhsa_exception_fp_ieee_div_zero 0
		.amdhsa_exception_fp_ieee_overflow 0
		.amdhsa_exception_fp_ieee_underflow 0
		.amdhsa_exception_fp_ieee_inexact 0
		.amdhsa_exception_int_div_zero 0
	.end_amdhsa_kernel
	.section	.text._Z26warp_exclusive_scan_kernelIfLj32ELj2EENSt9enable_ifIXsr10test_utilsE35device_test_enabled_for_warp_size_vIXT1_EEEvE4typeEPT_S4_S3_,"axG",@progbits,_Z26warp_exclusive_scan_kernelIfLj32ELj2EENSt9enable_ifIXsr10test_utilsE35device_test_enabled_for_warp_size_vIXT1_EEEvE4typeEPT_S4_S3_,comdat
.Lfunc_end157:
	.size	_Z26warp_exclusive_scan_kernelIfLj32ELj2EENSt9enable_ifIXsr10test_utilsE35device_test_enabled_for_warp_size_vIXT1_EEEvE4typeEPT_S4_S3_, .Lfunc_end157-_Z26warp_exclusive_scan_kernelIfLj32ELj2EENSt9enable_ifIXsr10test_utilsE35device_test_enabled_for_warp_size_vIXT1_EEEvE4typeEPT_S4_S3_
                                        ; -- End function
	.section	.AMDGPU.csdata,"",@progbits
; Kernel info:
; codeLenInByte = 212
; NumSgprs: 18
; NumVgprs: 8
; ScratchSize: 0
; MemoryBound: 0
; FloatMode: 240
; IeeeMode: 1
; LDSByteSize: 0 bytes/workgroup (compile time only)
; SGPRBlocks: 2
; VGPRBlocks: 0
; NumSGPRsForWavesPerEU: 18
; NumVGPRsForWavesPerEU: 8
; Occupancy: 16
; WaveLimiterHint : 0
; COMPUTE_PGM_RSRC2:SCRATCH_EN: 0
; COMPUTE_PGM_RSRC2:USER_SGPR: 15
; COMPUTE_PGM_RSRC2:TRAP_HANDLER: 0
; COMPUTE_PGM_RSRC2:TGID_X_EN: 1
; COMPUTE_PGM_RSRC2:TGID_Y_EN: 0
; COMPUTE_PGM_RSRC2:TGID_Z_EN: 0
; COMPUTE_PGM_RSRC2:TIDIG_COMP_CNT: 0
	.section	.text._Z26warp_exclusive_scan_kernelIfLj64ELj2EENSt9enable_ifIXsr10test_utilsE35device_test_enabled_for_warp_size_vIXT1_EEEvE4typeEPT_S4_S3_,"axG",@progbits,_Z26warp_exclusive_scan_kernelIfLj64ELj2EENSt9enable_ifIXsr10test_utilsE35device_test_enabled_for_warp_size_vIXT1_EEEvE4typeEPT_S4_S3_,comdat
	.protected	_Z26warp_exclusive_scan_kernelIfLj64ELj2EENSt9enable_ifIXsr10test_utilsE35device_test_enabled_for_warp_size_vIXT1_EEEvE4typeEPT_S4_S3_ ; -- Begin function _Z26warp_exclusive_scan_kernelIfLj64ELj2EENSt9enable_ifIXsr10test_utilsE35device_test_enabled_for_warp_size_vIXT1_EEEvE4typeEPT_S4_S3_
	.globl	_Z26warp_exclusive_scan_kernelIfLj64ELj2EENSt9enable_ifIXsr10test_utilsE35device_test_enabled_for_warp_size_vIXT1_EEEvE4typeEPT_S4_S3_
	.p2align	8
	.type	_Z26warp_exclusive_scan_kernelIfLj64ELj2EENSt9enable_ifIXsr10test_utilsE35device_test_enabled_for_warp_size_vIXT1_EEEvE4typeEPT_S4_S3_,@function
_Z26warp_exclusive_scan_kernelIfLj64ELj2EENSt9enable_ifIXsr10test_utilsE35device_test_enabled_for_warp_size_vIXT1_EEEvE4typeEPT_S4_S3_: ; @_Z26warp_exclusive_scan_kernelIfLj64ELj2EENSt9enable_ifIXsr10test_utilsE35device_test_enabled_for_warp_size_vIXT1_EEEvE4typeEPT_S4_S3_
; %bb.0:
	s_clause 0x2
	s_load_b32 s2, s[0:1], 0x24
	s_load_b128 s[4:7], s[0:1], 0x0
	s_load_b32 s0, s[0:1], 0x10
	s_waitcnt lgkmcnt(0)
	s_and_b32 s2, s2, 0xffff
	s_delay_alu instid0(SALU_CYCLE_1) | instskip(SKIP_1) | instid1(VALU_DEP_1)
	v_mad_u64_u32 v[1:2], null, s15, s2, v[0:1]
	v_mov_b32_e32 v2, 0
	v_lshlrev_b64 v[0:1], 2, v[1:2]
	s_delay_alu instid0(VALU_DEP_1) | instskip(NEXT) | instid1(VALU_DEP_2)
	v_add_co_u32 v2, vcc_lo, s4, v0
	v_add_co_ci_u32_e32 v3, vcc_lo, s5, v1, vcc_lo
	global_load_b32 v2, v[2:3], off
	v_mbcnt_lo_u32_b32 v3, -1, 0
	s_delay_alu instid0(VALU_DEP_1) | instskip(SKIP_1) | instid1(VALU_DEP_1)
	v_add_nc_u32_e32 v5, -1, v3
	v_and_b32_e32 v6, 30, v3
	v_cmp_lt_i32_e32 vcc_lo, v5, v6
	s_waitcnt vmcnt(0)
	v_mov_b32_dpp v4, v2 row_shr:1 row_mask:0xf bank_mask:0xf
	s_delay_alu instid0(VALU_DEP_1) | instskip(SKIP_1) | instid1(VALU_DEP_2)
	v_dual_add_f32 v4, v2, v4 :: v_dual_and_b32 v7, 1, v3
	v_cndmask_b32_e32 v3, v5, v3, vcc_lo
	v_cmp_eq_u32_e32 vcc_lo, 0, v7
	s_delay_alu instid0(VALU_DEP_2) | instskip(NEXT) | instid1(VALU_DEP_1)
	v_dual_cndmask_b32 v2, v4, v2 :: v_dual_lshlrev_b32 v3, 2, v3
	v_add_f32_e32 v2, s0, v2
	ds_bpermute_b32 v2, v3, v2
	s_waitcnt lgkmcnt(0)
	v_cndmask_b32_e64 v2, v2, s0, vcc_lo
	v_add_co_u32 v0, vcc_lo, s6, v0
	v_add_co_ci_u32_e32 v1, vcc_lo, s7, v1, vcc_lo
	global_store_b32 v[0:1], v2, off
	s_nop 0
	s_sendmsg sendmsg(MSG_DEALLOC_VGPRS)
	s_endpgm
	.section	.rodata,"a",@progbits
	.p2align	6, 0x0
	.amdhsa_kernel _Z26warp_exclusive_scan_kernelIfLj64ELj2EENSt9enable_ifIXsr10test_utilsE35device_test_enabled_for_warp_size_vIXT1_EEEvE4typeEPT_S4_S3_
		.amdhsa_group_segment_fixed_size 0
		.amdhsa_private_segment_fixed_size 0
		.amdhsa_kernarg_size 280
		.amdhsa_user_sgpr_count 15
		.amdhsa_user_sgpr_dispatch_ptr 0
		.amdhsa_user_sgpr_queue_ptr 0
		.amdhsa_user_sgpr_kernarg_segment_ptr 1
		.amdhsa_user_sgpr_dispatch_id 0
		.amdhsa_user_sgpr_private_segment_size 0
		.amdhsa_wavefront_size32 1
		.amdhsa_uses_dynamic_stack 0
		.amdhsa_enable_private_segment 0
		.amdhsa_system_sgpr_workgroup_id_x 1
		.amdhsa_system_sgpr_workgroup_id_y 0
		.amdhsa_system_sgpr_workgroup_id_z 0
		.amdhsa_system_sgpr_workgroup_info 0
		.amdhsa_system_vgpr_workitem_id 0
		.amdhsa_next_free_vgpr 8
		.amdhsa_next_free_sgpr 16
		.amdhsa_reserve_vcc 1
		.amdhsa_float_round_mode_32 0
		.amdhsa_float_round_mode_16_64 0
		.amdhsa_float_denorm_mode_32 3
		.amdhsa_float_denorm_mode_16_64 3
		.amdhsa_dx10_clamp 1
		.amdhsa_ieee_mode 1
		.amdhsa_fp16_overflow 0
		.amdhsa_workgroup_processor_mode 1
		.amdhsa_memory_ordered 1
		.amdhsa_forward_progress 0
		.amdhsa_shared_vgpr_count 0
		.amdhsa_exception_fp_ieee_invalid_op 0
		.amdhsa_exception_fp_denorm_src 0
		.amdhsa_exception_fp_ieee_div_zero 0
		.amdhsa_exception_fp_ieee_overflow 0
		.amdhsa_exception_fp_ieee_underflow 0
		.amdhsa_exception_fp_ieee_inexact 0
		.amdhsa_exception_int_div_zero 0
	.end_amdhsa_kernel
	.section	.text._Z26warp_exclusive_scan_kernelIfLj64ELj2EENSt9enable_ifIXsr10test_utilsE35device_test_enabled_for_warp_size_vIXT1_EEEvE4typeEPT_S4_S3_,"axG",@progbits,_Z26warp_exclusive_scan_kernelIfLj64ELj2EENSt9enable_ifIXsr10test_utilsE35device_test_enabled_for_warp_size_vIXT1_EEEvE4typeEPT_S4_S3_,comdat
.Lfunc_end158:
	.size	_Z26warp_exclusive_scan_kernelIfLj64ELj2EENSt9enable_ifIXsr10test_utilsE35device_test_enabled_for_warp_size_vIXT1_EEEvE4typeEPT_S4_S3_, .Lfunc_end158-_Z26warp_exclusive_scan_kernelIfLj64ELj2EENSt9enable_ifIXsr10test_utilsE35device_test_enabled_for_warp_size_vIXT1_EEEvE4typeEPT_S4_S3_
                                        ; -- End function
	.section	.AMDGPU.csdata,"",@progbits
; Kernel info:
; codeLenInByte = 212
; NumSgprs: 18
; NumVgprs: 8
; ScratchSize: 0
; MemoryBound: 0
; FloatMode: 240
; IeeeMode: 1
; LDSByteSize: 0 bytes/workgroup (compile time only)
; SGPRBlocks: 2
; VGPRBlocks: 0
; NumSGPRsForWavesPerEU: 18
; NumVGPRsForWavesPerEU: 8
; Occupancy: 16
; WaveLimiterHint : 0
; COMPUTE_PGM_RSRC2:SCRATCH_EN: 0
; COMPUTE_PGM_RSRC2:USER_SGPR: 15
; COMPUTE_PGM_RSRC2:TRAP_HANDLER: 0
; COMPUTE_PGM_RSRC2:TGID_X_EN: 1
; COMPUTE_PGM_RSRC2:TGID_Y_EN: 0
; COMPUTE_PGM_RSRC2:TGID_Z_EN: 0
; COMPUTE_PGM_RSRC2:TIDIG_COMP_CNT: 0
	.section	.text._Z26warp_exclusive_scan_kernelIiLj256ELj64EENSt9enable_ifIXntsr10test_utilsE35device_test_enabled_for_warp_size_vIXT1_EEEvE4typeEPT_S4_S3_,"axG",@progbits,_Z26warp_exclusive_scan_kernelIiLj256ELj64EENSt9enable_ifIXntsr10test_utilsE35device_test_enabled_for_warp_size_vIXT1_EEEvE4typeEPT_S4_S3_,comdat
	.protected	_Z26warp_exclusive_scan_kernelIiLj256ELj64EENSt9enable_ifIXntsr10test_utilsE35device_test_enabled_for_warp_size_vIXT1_EEEvE4typeEPT_S4_S3_ ; -- Begin function _Z26warp_exclusive_scan_kernelIiLj256ELj64EENSt9enable_ifIXntsr10test_utilsE35device_test_enabled_for_warp_size_vIXT1_EEEvE4typeEPT_S4_S3_
	.globl	_Z26warp_exclusive_scan_kernelIiLj256ELj64EENSt9enable_ifIXntsr10test_utilsE35device_test_enabled_for_warp_size_vIXT1_EEEvE4typeEPT_S4_S3_
	.p2align	8
	.type	_Z26warp_exclusive_scan_kernelIiLj256ELj64EENSt9enable_ifIXntsr10test_utilsE35device_test_enabled_for_warp_size_vIXT1_EEEvE4typeEPT_S4_S3_,@function
_Z26warp_exclusive_scan_kernelIiLj256ELj64EENSt9enable_ifIXntsr10test_utilsE35device_test_enabled_for_warp_size_vIXT1_EEEvE4typeEPT_S4_S3_: ; @_Z26warp_exclusive_scan_kernelIiLj256ELj64EENSt9enable_ifIXntsr10test_utilsE35device_test_enabled_for_warp_size_vIXT1_EEEvE4typeEPT_S4_S3_
; %bb.0:
	s_endpgm
	.section	.rodata,"a",@progbits
	.p2align	6, 0x0
	.amdhsa_kernel _Z26warp_exclusive_scan_kernelIiLj256ELj64EENSt9enable_ifIXntsr10test_utilsE35device_test_enabled_for_warp_size_vIXT1_EEEvE4typeEPT_S4_S3_
		.amdhsa_group_segment_fixed_size 0
		.amdhsa_private_segment_fixed_size 0
		.amdhsa_kernarg_size 20
		.amdhsa_user_sgpr_count 15
		.amdhsa_user_sgpr_dispatch_ptr 0
		.amdhsa_user_sgpr_queue_ptr 0
		.amdhsa_user_sgpr_kernarg_segment_ptr 1
		.amdhsa_user_sgpr_dispatch_id 0
		.amdhsa_user_sgpr_private_segment_size 0
		.amdhsa_wavefront_size32 1
		.amdhsa_uses_dynamic_stack 0
		.amdhsa_enable_private_segment 0
		.amdhsa_system_sgpr_workgroup_id_x 1
		.amdhsa_system_sgpr_workgroup_id_y 0
		.amdhsa_system_sgpr_workgroup_id_z 0
		.amdhsa_system_sgpr_workgroup_info 0
		.amdhsa_system_vgpr_workitem_id 0
		.amdhsa_next_free_vgpr 1
		.amdhsa_next_free_sgpr 1
		.amdhsa_reserve_vcc 0
		.amdhsa_float_round_mode_32 0
		.amdhsa_float_round_mode_16_64 0
		.amdhsa_float_denorm_mode_32 3
		.amdhsa_float_denorm_mode_16_64 3
		.amdhsa_dx10_clamp 1
		.amdhsa_ieee_mode 1
		.amdhsa_fp16_overflow 0
		.amdhsa_workgroup_processor_mode 1
		.amdhsa_memory_ordered 1
		.amdhsa_forward_progress 0
		.amdhsa_shared_vgpr_count 0
		.amdhsa_exception_fp_ieee_invalid_op 0
		.amdhsa_exception_fp_denorm_src 0
		.amdhsa_exception_fp_ieee_div_zero 0
		.amdhsa_exception_fp_ieee_overflow 0
		.amdhsa_exception_fp_ieee_underflow 0
		.amdhsa_exception_fp_ieee_inexact 0
		.amdhsa_exception_int_div_zero 0
	.end_amdhsa_kernel
	.section	.text._Z26warp_exclusive_scan_kernelIiLj256ELj64EENSt9enable_ifIXntsr10test_utilsE35device_test_enabled_for_warp_size_vIXT1_EEEvE4typeEPT_S4_S3_,"axG",@progbits,_Z26warp_exclusive_scan_kernelIiLj256ELj64EENSt9enable_ifIXntsr10test_utilsE35device_test_enabled_for_warp_size_vIXT1_EEEvE4typeEPT_S4_S3_,comdat
.Lfunc_end159:
	.size	_Z26warp_exclusive_scan_kernelIiLj256ELj64EENSt9enable_ifIXntsr10test_utilsE35device_test_enabled_for_warp_size_vIXT1_EEEvE4typeEPT_S4_S3_, .Lfunc_end159-_Z26warp_exclusive_scan_kernelIiLj256ELj64EENSt9enable_ifIXntsr10test_utilsE35device_test_enabled_for_warp_size_vIXT1_EEEvE4typeEPT_S4_S3_
                                        ; -- End function
	.section	.AMDGPU.csdata,"",@progbits
; Kernel info:
; codeLenInByte = 4
; NumSgprs: 0
; NumVgprs: 0
; ScratchSize: 0
; MemoryBound: 0
; FloatMode: 240
; IeeeMode: 1
; LDSByteSize: 0 bytes/workgroup (compile time only)
; SGPRBlocks: 0
; VGPRBlocks: 0
; NumSGPRsForWavesPerEU: 1
; NumVGPRsForWavesPerEU: 1
; Occupancy: 16
; WaveLimiterHint : 0
; COMPUTE_PGM_RSRC2:SCRATCH_EN: 0
; COMPUTE_PGM_RSRC2:USER_SGPR: 15
; COMPUTE_PGM_RSRC2:TRAP_HANDLER: 0
; COMPUTE_PGM_RSRC2:TGID_X_EN: 1
; COMPUTE_PGM_RSRC2:TGID_Y_EN: 0
; COMPUTE_PGM_RSRC2:TGID_Z_EN: 0
; COMPUTE_PGM_RSRC2:TIDIG_COMP_CNT: 0
	.section	.text._Z26warp_exclusive_scan_kernelIiLj128ELj32EENSt9enable_ifIXsr10test_utilsE35device_test_enabled_for_warp_size_vIXT1_EEEvE4typeEPT_S4_S3_,"axG",@progbits,_Z26warp_exclusive_scan_kernelIiLj128ELj32EENSt9enable_ifIXsr10test_utilsE35device_test_enabled_for_warp_size_vIXT1_EEEvE4typeEPT_S4_S3_,comdat
	.protected	_Z26warp_exclusive_scan_kernelIiLj128ELj32EENSt9enable_ifIXsr10test_utilsE35device_test_enabled_for_warp_size_vIXT1_EEEvE4typeEPT_S4_S3_ ; -- Begin function _Z26warp_exclusive_scan_kernelIiLj128ELj32EENSt9enable_ifIXsr10test_utilsE35device_test_enabled_for_warp_size_vIXT1_EEEvE4typeEPT_S4_S3_
	.globl	_Z26warp_exclusive_scan_kernelIiLj128ELj32EENSt9enable_ifIXsr10test_utilsE35device_test_enabled_for_warp_size_vIXT1_EEEvE4typeEPT_S4_S3_
	.p2align	8
	.type	_Z26warp_exclusive_scan_kernelIiLj128ELj32EENSt9enable_ifIXsr10test_utilsE35device_test_enabled_for_warp_size_vIXT1_EEEvE4typeEPT_S4_S3_,@function
_Z26warp_exclusive_scan_kernelIiLj128ELj32EENSt9enable_ifIXsr10test_utilsE35device_test_enabled_for_warp_size_vIXT1_EEEvE4typeEPT_S4_S3_: ; @_Z26warp_exclusive_scan_kernelIiLj128ELj32EENSt9enable_ifIXsr10test_utilsE35device_test_enabled_for_warp_size_vIXT1_EEEvE4typeEPT_S4_S3_
; %bb.0:
	s_clause 0x2
	s_load_b32 s2, s[0:1], 0x24
	s_load_b128 s[4:7], s[0:1], 0x0
	s_load_b32 s0, s[0:1], 0x10
	s_waitcnt lgkmcnt(0)
	s_and_b32 s2, s2, 0xffff
	s_delay_alu instid0(SALU_CYCLE_1) | instskip(SKIP_1) | instid1(VALU_DEP_1)
	v_mad_u64_u32 v[1:2], null, s15, s2, v[0:1]
	v_mov_b32_e32 v2, 0
	v_lshlrev_b64 v[0:1], 2, v[1:2]
	s_delay_alu instid0(VALU_DEP_1) | instskip(NEXT) | instid1(VALU_DEP_2)
	v_add_co_u32 v2, vcc_lo, s4, v0
	v_add_co_ci_u32_e32 v3, vcc_lo, s5, v1, vcc_lo
	global_load_b32 v2, v[2:3], off
	v_mbcnt_lo_u32_b32 v3, -1, 0
	s_delay_alu instid0(VALU_DEP_1) | instskip(SKIP_1) | instid1(VALU_DEP_2)
	v_and_b32_e32 v4, 15, v3
	v_bfe_i32 v6, v3, 4, 1
	v_cmp_ne_u32_e32 vcc_lo, 0, v4
	s_waitcnt vmcnt(0)
	v_mov_b32_dpp v5, v2 row_shr:1 row_mask:0xf bank_mask:0xf
	s_delay_alu instid0(VALU_DEP_1) | instskip(SKIP_1) | instid1(VALU_DEP_2)
	v_cndmask_b32_e32 v5, 0, v5, vcc_lo
	v_cmp_lt_u32_e32 vcc_lo, 1, v4
	v_add_nc_u32_e32 v2, v5, v2
	s_delay_alu instid0(VALU_DEP_1) | instskip(NEXT) | instid1(VALU_DEP_1)
	v_mov_b32_dpp v5, v2 row_shr:2 row_mask:0xf bank_mask:0xf
	v_cndmask_b32_e32 v5, 0, v5, vcc_lo
	v_cmp_lt_u32_e32 vcc_lo, 3, v4
	s_delay_alu instid0(VALU_DEP_2) | instskip(NEXT) | instid1(VALU_DEP_1)
	v_add_nc_u32_e32 v2, v2, v5
	v_mov_b32_dpp v5, v2 row_shr:4 row_mask:0xf bank_mask:0xf
	s_delay_alu instid0(VALU_DEP_1) | instskip(SKIP_1) | instid1(VALU_DEP_2)
	v_cndmask_b32_e32 v5, 0, v5, vcc_lo
	v_cmp_lt_u32_e32 vcc_lo, 7, v4
	v_add_nc_u32_e32 v2, v2, v5
	s_delay_alu instid0(VALU_DEP_1) | instskip(NEXT) | instid1(VALU_DEP_1)
	v_mov_b32_dpp v5, v2 row_shr:8 row_mask:0xf bank_mask:0xf
	v_dual_cndmask_b32 v4, 0, v5 :: v_dual_add_nc_u32 v5, -1, v3
	s_delay_alu instid0(VALU_DEP_1) | instskip(NEXT) | instid1(VALU_DEP_2)
	v_add_nc_u32_e32 v2, v2, v4
	v_cmp_gt_i32_e32 vcc_lo, 0, v5
	ds_swizzle_b32 v4, v2 offset:swizzle(BROADCAST,32,15)
	v_cndmask_b32_e32 v5, v5, v3, vcc_lo
	v_cmp_eq_u32_e32 vcc_lo, 0, v3
	s_delay_alu instid0(VALU_DEP_2) | instskip(SKIP_2) | instid1(VALU_DEP_1)
	v_lshlrev_b32_e32 v5, 2, v5
	s_waitcnt lgkmcnt(0)
	v_and_b32_e32 v4, v6, v4
	v_add3_u32 v2, v4, s0, v2
	ds_bpermute_b32 v2, v5, v2
	s_waitcnt lgkmcnt(0)
	v_cndmask_b32_e64 v2, v2, s0, vcc_lo
	v_add_co_u32 v0, vcc_lo, s6, v0
	v_add_co_ci_u32_e32 v1, vcc_lo, s7, v1, vcc_lo
	global_store_b32 v[0:1], v2, off
	s_nop 0
	s_sendmsg sendmsg(MSG_DEALLOC_VGPRS)
	s_endpgm
	.section	.rodata,"a",@progbits
	.p2align	6, 0x0
	.amdhsa_kernel _Z26warp_exclusive_scan_kernelIiLj128ELj32EENSt9enable_ifIXsr10test_utilsE35device_test_enabled_for_warp_size_vIXT1_EEEvE4typeEPT_S4_S3_
		.amdhsa_group_segment_fixed_size 0
		.amdhsa_private_segment_fixed_size 0
		.amdhsa_kernarg_size 280
		.amdhsa_user_sgpr_count 15
		.amdhsa_user_sgpr_dispatch_ptr 0
		.amdhsa_user_sgpr_queue_ptr 0
		.amdhsa_user_sgpr_kernarg_segment_ptr 1
		.amdhsa_user_sgpr_dispatch_id 0
		.amdhsa_user_sgpr_private_segment_size 0
		.amdhsa_wavefront_size32 1
		.amdhsa_uses_dynamic_stack 0
		.amdhsa_enable_private_segment 0
		.amdhsa_system_sgpr_workgroup_id_x 1
		.amdhsa_system_sgpr_workgroup_id_y 0
		.amdhsa_system_sgpr_workgroup_id_z 0
		.amdhsa_system_sgpr_workgroup_info 0
		.amdhsa_system_vgpr_workitem_id 0
		.amdhsa_next_free_vgpr 7
		.amdhsa_next_free_sgpr 16
		.amdhsa_reserve_vcc 1
		.amdhsa_float_round_mode_32 0
		.amdhsa_float_round_mode_16_64 0
		.amdhsa_float_denorm_mode_32 3
		.amdhsa_float_denorm_mode_16_64 3
		.amdhsa_dx10_clamp 1
		.amdhsa_ieee_mode 1
		.amdhsa_fp16_overflow 0
		.amdhsa_workgroup_processor_mode 1
		.amdhsa_memory_ordered 1
		.amdhsa_forward_progress 0
		.amdhsa_shared_vgpr_count 0
		.amdhsa_exception_fp_ieee_invalid_op 0
		.amdhsa_exception_fp_denorm_src 0
		.amdhsa_exception_fp_ieee_div_zero 0
		.amdhsa_exception_fp_ieee_overflow 0
		.amdhsa_exception_fp_ieee_underflow 0
		.amdhsa_exception_fp_ieee_inexact 0
		.amdhsa_exception_int_div_zero 0
	.end_amdhsa_kernel
	.section	.text._Z26warp_exclusive_scan_kernelIiLj128ELj32EENSt9enable_ifIXsr10test_utilsE35device_test_enabled_for_warp_size_vIXT1_EEEvE4typeEPT_S4_S3_,"axG",@progbits,_Z26warp_exclusive_scan_kernelIiLj128ELj32EENSt9enable_ifIXsr10test_utilsE35device_test_enabled_for_warp_size_vIXT1_EEEvE4typeEPT_S4_S3_,comdat
.Lfunc_end160:
	.size	_Z26warp_exclusive_scan_kernelIiLj128ELj32EENSt9enable_ifIXsr10test_utilsE35device_test_enabled_for_warp_size_vIXT1_EEEvE4typeEPT_S4_S3_, .Lfunc_end160-_Z26warp_exclusive_scan_kernelIiLj128ELj32EENSt9enable_ifIXsr10test_utilsE35device_test_enabled_for_warp_size_vIXT1_EEEvE4typeEPT_S4_S3_
                                        ; -- End function
	.section	.AMDGPU.csdata,"",@progbits
; Kernel info:
; codeLenInByte = 320
; NumSgprs: 18
; NumVgprs: 7
; ScratchSize: 0
; MemoryBound: 0
; FloatMode: 240
; IeeeMode: 1
; LDSByteSize: 0 bytes/workgroup (compile time only)
; SGPRBlocks: 2
; VGPRBlocks: 0
; NumSGPRsForWavesPerEU: 18
; NumVGPRsForWavesPerEU: 7
; Occupancy: 16
; WaveLimiterHint : 0
; COMPUTE_PGM_RSRC2:SCRATCH_EN: 0
; COMPUTE_PGM_RSRC2:USER_SGPR: 15
; COMPUTE_PGM_RSRC2:TRAP_HANDLER: 0
; COMPUTE_PGM_RSRC2:TGID_X_EN: 1
; COMPUTE_PGM_RSRC2:TGID_Y_EN: 0
; COMPUTE_PGM_RSRC2:TGID_Z_EN: 0
; COMPUTE_PGM_RSRC2:TIDIG_COMP_CNT: 0
	.section	.text._Z26warp_exclusive_scan_kernelIiLj64ELj16EENSt9enable_ifIXsr10test_utilsE35device_test_enabled_for_warp_size_vIXT1_EEEvE4typeEPT_S4_S3_,"axG",@progbits,_Z26warp_exclusive_scan_kernelIiLj64ELj16EENSt9enable_ifIXsr10test_utilsE35device_test_enabled_for_warp_size_vIXT1_EEEvE4typeEPT_S4_S3_,comdat
	.protected	_Z26warp_exclusive_scan_kernelIiLj64ELj16EENSt9enable_ifIXsr10test_utilsE35device_test_enabled_for_warp_size_vIXT1_EEEvE4typeEPT_S4_S3_ ; -- Begin function _Z26warp_exclusive_scan_kernelIiLj64ELj16EENSt9enable_ifIXsr10test_utilsE35device_test_enabled_for_warp_size_vIXT1_EEEvE4typeEPT_S4_S3_
	.globl	_Z26warp_exclusive_scan_kernelIiLj64ELj16EENSt9enable_ifIXsr10test_utilsE35device_test_enabled_for_warp_size_vIXT1_EEEvE4typeEPT_S4_S3_
	.p2align	8
	.type	_Z26warp_exclusive_scan_kernelIiLj64ELj16EENSt9enable_ifIXsr10test_utilsE35device_test_enabled_for_warp_size_vIXT1_EEEvE4typeEPT_S4_S3_,@function
_Z26warp_exclusive_scan_kernelIiLj64ELj16EENSt9enable_ifIXsr10test_utilsE35device_test_enabled_for_warp_size_vIXT1_EEEvE4typeEPT_S4_S3_: ; @_Z26warp_exclusive_scan_kernelIiLj64ELj16EENSt9enable_ifIXsr10test_utilsE35device_test_enabled_for_warp_size_vIXT1_EEEvE4typeEPT_S4_S3_
; %bb.0:
	s_clause 0x2
	s_load_b32 s2, s[0:1], 0x24
	s_load_b128 s[4:7], s[0:1], 0x0
	s_load_b32 s1, s[0:1], 0x10
	s_waitcnt lgkmcnt(0)
	s_and_b32 s2, s2, 0xffff
	s_delay_alu instid0(SALU_CYCLE_1) | instskip(SKIP_1) | instid1(VALU_DEP_1)
	v_mad_u64_u32 v[1:2], null, s15, s2, v[0:1]
	v_mov_b32_e32 v2, 0
	v_lshlrev_b64 v[0:1], 2, v[1:2]
	s_delay_alu instid0(VALU_DEP_1) | instskip(NEXT) | instid1(VALU_DEP_2)
	v_add_co_u32 v2, vcc_lo, s4, v0
	v_add_co_ci_u32_e32 v3, vcc_lo, s5, v1, vcc_lo
	global_load_b32 v2, v[2:3], off
	v_mbcnt_lo_u32_b32 v3, -1, 0
	s_delay_alu instid0(VALU_DEP_1) | instskip(SKIP_1) | instid1(VALU_DEP_2)
	v_and_b32_e32 v4, 15, v3
	v_and_b32_e32 v6, 16, v3
	v_cmp_eq_u32_e32 vcc_lo, 0, v4
	v_cmp_lt_u32_e64 s0, 1, v4
	s_waitcnt vmcnt(0)
	v_mov_b32_dpp v5, v2 row_shr:1 row_mask:0xf bank_mask:0xf
	s_delay_alu instid0(VALU_DEP_1) | instskip(NEXT) | instid1(VALU_DEP_1)
	v_cndmask_b32_e64 v5, v5, 0, vcc_lo
	v_add_nc_u32_e32 v2, v5, v2
	s_delay_alu instid0(VALU_DEP_1) | instskip(NEXT) | instid1(VALU_DEP_1)
	v_mov_b32_dpp v5, v2 row_shr:2 row_mask:0xf bank_mask:0xf
	v_cndmask_b32_e64 v5, 0, v5, s0
	v_cmp_lt_u32_e64 s0, 3, v4
	s_delay_alu instid0(VALU_DEP_2) | instskip(NEXT) | instid1(VALU_DEP_1)
	v_add_nc_u32_e32 v2, v2, v5
	v_mov_b32_dpp v5, v2 row_shr:4 row_mask:0xf bank_mask:0xf
	s_delay_alu instid0(VALU_DEP_1) | instskip(NEXT) | instid1(VALU_DEP_1)
	v_cndmask_b32_e64 v5, 0, v5, s0
	v_add_nc_u32_e32 v2, v2, v5
	v_add_nc_u32_e32 v5, -1, v3
	s_delay_alu instid0(VALU_DEP_2) | instskip(NEXT) | instid1(VALU_DEP_2)
	v_mov_b32_dpp v7, v2 row_shr:8 row_mask:0xf bank_mask:0xf
	v_cmp_lt_i32_e64 s0, v5, v6
	s_delay_alu instid0(VALU_DEP_1) | instskip(SKIP_1) | instid1(VALU_DEP_2)
	v_cndmask_b32_e64 v3, v5, v3, s0
	v_cmp_lt_u32_e64 s0, 7, v4
	v_lshlrev_b32_e32 v3, 2, v3
	s_delay_alu instid0(VALU_DEP_2) | instskip(NEXT) | instid1(VALU_DEP_1)
	v_cndmask_b32_e64 v4, 0, v7, s0
	v_add3_u32 v2, v4, s1, v2
	ds_bpermute_b32 v2, v3, v2
	s_waitcnt lgkmcnt(0)
	v_cndmask_b32_e64 v2, v2, s1, vcc_lo
	v_add_co_u32 v0, vcc_lo, s6, v0
	v_add_co_ci_u32_e32 v1, vcc_lo, s7, v1, vcc_lo
	global_store_b32 v[0:1], v2, off
	s_nop 0
	s_sendmsg sendmsg(MSG_DEALLOC_VGPRS)
	s_endpgm
	.section	.rodata,"a",@progbits
	.p2align	6, 0x0
	.amdhsa_kernel _Z26warp_exclusive_scan_kernelIiLj64ELj16EENSt9enable_ifIXsr10test_utilsE35device_test_enabled_for_warp_size_vIXT1_EEEvE4typeEPT_S4_S3_
		.amdhsa_group_segment_fixed_size 0
		.amdhsa_private_segment_fixed_size 0
		.amdhsa_kernarg_size 280
		.amdhsa_user_sgpr_count 15
		.amdhsa_user_sgpr_dispatch_ptr 0
		.amdhsa_user_sgpr_queue_ptr 0
		.amdhsa_user_sgpr_kernarg_segment_ptr 1
		.amdhsa_user_sgpr_dispatch_id 0
		.amdhsa_user_sgpr_private_segment_size 0
		.amdhsa_wavefront_size32 1
		.amdhsa_uses_dynamic_stack 0
		.amdhsa_enable_private_segment 0
		.amdhsa_system_sgpr_workgroup_id_x 1
		.amdhsa_system_sgpr_workgroup_id_y 0
		.amdhsa_system_sgpr_workgroup_id_z 0
		.amdhsa_system_sgpr_workgroup_info 0
		.amdhsa_system_vgpr_workitem_id 0
		.amdhsa_next_free_vgpr 8
		.amdhsa_next_free_sgpr 16
		.amdhsa_reserve_vcc 1
		.amdhsa_float_round_mode_32 0
		.amdhsa_float_round_mode_16_64 0
		.amdhsa_float_denorm_mode_32 3
		.amdhsa_float_denorm_mode_16_64 3
		.amdhsa_dx10_clamp 1
		.amdhsa_ieee_mode 1
		.amdhsa_fp16_overflow 0
		.amdhsa_workgroup_processor_mode 1
		.amdhsa_memory_ordered 1
		.amdhsa_forward_progress 0
		.amdhsa_shared_vgpr_count 0
		.amdhsa_exception_fp_ieee_invalid_op 0
		.amdhsa_exception_fp_denorm_src 0
		.amdhsa_exception_fp_ieee_div_zero 0
		.amdhsa_exception_fp_ieee_overflow 0
		.amdhsa_exception_fp_ieee_underflow 0
		.amdhsa_exception_fp_ieee_inexact 0
		.amdhsa_exception_int_div_zero 0
	.end_amdhsa_kernel
	.section	.text._Z26warp_exclusive_scan_kernelIiLj64ELj16EENSt9enable_ifIXsr10test_utilsE35device_test_enabled_for_warp_size_vIXT1_EEEvE4typeEPT_S4_S3_,"axG",@progbits,_Z26warp_exclusive_scan_kernelIiLj64ELj16EENSt9enable_ifIXsr10test_utilsE35device_test_enabled_for_warp_size_vIXT1_EEEvE4typeEPT_S4_S3_,comdat
.Lfunc_end161:
	.size	_Z26warp_exclusive_scan_kernelIiLj64ELj16EENSt9enable_ifIXsr10test_utilsE35device_test_enabled_for_warp_size_vIXT1_EEEvE4typeEPT_S4_S3_, .Lfunc_end161-_Z26warp_exclusive_scan_kernelIiLj64ELj16EENSt9enable_ifIXsr10test_utilsE35device_test_enabled_for_warp_size_vIXT1_EEEvE4typeEPT_S4_S3_
                                        ; -- End function
	.section	.AMDGPU.csdata,"",@progbits
; Kernel info:
; codeLenInByte = 328
; NumSgprs: 18
; NumVgprs: 8
; ScratchSize: 0
; MemoryBound: 0
; FloatMode: 240
; IeeeMode: 1
; LDSByteSize: 0 bytes/workgroup (compile time only)
; SGPRBlocks: 2
; VGPRBlocks: 0
; NumSGPRsForWavesPerEU: 18
; NumVGPRsForWavesPerEU: 8
; Occupancy: 16
; WaveLimiterHint : 0
; COMPUTE_PGM_RSRC2:SCRATCH_EN: 0
; COMPUTE_PGM_RSRC2:USER_SGPR: 15
; COMPUTE_PGM_RSRC2:TRAP_HANDLER: 0
; COMPUTE_PGM_RSRC2:TGID_X_EN: 1
; COMPUTE_PGM_RSRC2:TGID_Y_EN: 0
; COMPUTE_PGM_RSRC2:TGID_Z_EN: 0
; COMPUTE_PGM_RSRC2:TIDIG_COMP_CNT: 0
	.section	.text._Z26warp_exclusive_scan_kernelIiLj32ELj8EENSt9enable_ifIXsr10test_utilsE35device_test_enabled_for_warp_size_vIXT1_EEEvE4typeEPT_S4_S3_,"axG",@progbits,_Z26warp_exclusive_scan_kernelIiLj32ELj8EENSt9enable_ifIXsr10test_utilsE35device_test_enabled_for_warp_size_vIXT1_EEEvE4typeEPT_S4_S3_,comdat
	.protected	_Z26warp_exclusive_scan_kernelIiLj32ELj8EENSt9enable_ifIXsr10test_utilsE35device_test_enabled_for_warp_size_vIXT1_EEEvE4typeEPT_S4_S3_ ; -- Begin function _Z26warp_exclusive_scan_kernelIiLj32ELj8EENSt9enable_ifIXsr10test_utilsE35device_test_enabled_for_warp_size_vIXT1_EEEvE4typeEPT_S4_S3_
	.globl	_Z26warp_exclusive_scan_kernelIiLj32ELj8EENSt9enable_ifIXsr10test_utilsE35device_test_enabled_for_warp_size_vIXT1_EEEvE4typeEPT_S4_S3_
	.p2align	8
	.type	_Z26warp_exclusive_scan_kernelIiLj32ELj8EENSt9enable_ifIXsr10test_utilsE35device_test_enabled_for_warp_size_vIXT1_EEEvE4typeEPT_S4_S3_,@function
_Z26warp_exclusive_scan_kernelIiLj32ELj8EENSt9enable_ifIXsr10test_utilsE35device_test_enabled_for_warp_size_vIXT1_EEEvE4typeEPT_S4_S3_: ; @_Z26warp_exclusive_scan_kernelIiLj32ELj8EENSt9enable_ifIXsr10test_utilsE35device_test_enabled_for_warp_size_vIXT1_EEEvE4typeEPT_S4_S3_
; %bb.0:
	s_clause 0x2
	s_load_b32 s2, s[0:1], 0x24
	s_load_b128 s[4:7], s[0:1], 0x0
	s_load_b32 s1, s[0:1], 0x10
	s_waitcnt lgkmcnt(0)
	s_and_b32 s2, s2, 0xffff
	s_delay_alu instid0(SALU_CYCLE_1) | instskip(SKIP_1) | instid1(VALU_DEP_1)
	v_mad_u64_u32 v[1:2], null, s15, s2, v[0:1]
	v_mov_b32_e32 v2, 0
	v_lshlrev_b64 v[0:1], 2, v[1:2]
	s_delay_alu instid0(VALU_DEP_1) | instskip(NEXT) | instid1(VALU_DEP_2)
	v_add_co_u32 v2, vcc_lo, s4, v0
	v_add_co_ci_u32_e32 v3, vcc_lo, s5, v1, vcc_lo
	global_load_b32 v2, v[2:3], off
	v_mbcnt_lo_u32_b32 v3, -1, 0
	s_delay_alu instid0(VALU_DEP_1) | instskip(SKIP_1) | instid1(VALU_DEP_2)
	v_and_b32_e32 v4, 7, v3
	v_and_b32_e32 v6, 24, v3
	v_cmp_eq_u32_e32 vcc_lo, 0, v4
	v_cmp_lt_u32_e64 s0, 1, v4
	s_waitcnt vmcnt(0)
	v_mov_b32_dpp v5, v2 row_shr:1 row_mask:0xf bank_mask:0xf
	s_delay_alu instid0(VALU_DEP_1) | instskip(NEXT) | instid1(VALU_DEP_1)
	v_cndmask_b32_e64 v5, v5, 0, vcc_lo
	v_add_nc_u32_e32 v2, v5, v2
	s_delay_alu instid0(VALU_DEP_1) | instskip(NEXT) | instid1(VALU_DEP_1)
	v_mov_b32_dpp v5, v2 row_shr:2 row_mask:0xf bank_mask:0xf
	v_cndmask_b32_e64 v5, 0, v5, s0
	s_delay_alu instid0(VALU_DEP_1) | instskip(SKIP_1) | instid1(VALU_DEP_2)
	v_add_nc_u32_e32 v2, v2, v5
	v_add_nc_u32_e32 v5, -1, v3
	v_mov_b32_dpp v7, v2 row_shr:4 row_mask:0xf bank_mask:0xf
	s_delay_alu instid0(VALU_DEP_2) | instskip(NEXT) | instid1(VALU_DEP_1)
	v_cmp_lt_i32_e64 s0, v5, v6
	v_cndmask_b32_e64 v3, v5, v3, s0
	v_cmp_lt_u32_e64 s0, 3, v4
	s_delay_alu instid0(VALU_DEP_2) | instskip(NEXT) | instid1(VALU_DEP_2)
	v_lshlrev_b32_e32 v3, 2, v3
	v_cndmask_b32_e64 v4, 0, v7, s0
	s_delay_alu instid0(VALU_DEP_1)
	v_add3_u32 v2, v4, s1, v2
	ds_bpermute_b32 v2, v3, v2
	s_waitcnt lgkmcnt(0)
	v_cndmask_b32_e64 v2, v2, s1, vcc_lo
	v_add_co_u32 v0, vcc_lo, s6, v0
	v_add_co_ci_u32_e32 v1, vcc_lo, s7, v1, vcc_lo
	global_store_b32 v[0:1], v2, off
	s_nop 0
	s_sendmsg sendmsg(MSG_DEALLOC_VGPRS)
	s_endpgm
	.section	.rodata,"a",@progbits
	.p2align	6, 0x0
	.amdhsa_kernel _Z26warp_exclusive_scan_kernelIiLj32ELj8EENSt9enable_ifIXsr10test_utilsE35device_test_enabled_for_warp_size_vIXT1_EEEvE4typeEPT_S4_S3_
		.amdhsa_group_segment_fixed_size 0
		.amdhsa_private_segment_fixed_size 0
		.amdhsa_kernarg_size 280
		.amdhsa_user_sgpr_count 15
		.amdhsa_user_sgpr_dispatch_ptr 0
		.amdhsa_user_sgpr_queue_ptr 0
		.amdhsa_user_sgpr_kernarg_segment_ptr 1
		.amdhsa_user_sgpr_dispatch_id 0
		.amdhsa_user_sgpr_private_segment_size 0
		.amdhsa_wavefront_size32 1
		.amdhsa_uses_dynamic_stack 0
		.amdhsa_enable_private_segment 0
		.amdhsa_system_sgpr_workgroup_id_x 1
		.amdhsa_system_sgpr_workgroup_id_y 0
		.amdhsa_system_sgpr_workgroup_id_z 0
		.amdhsa_system_sgpr_workgroup_info 0
		.amdhsa_system_vgpr_workitem_id 0
		.amdhsa_next_free_vgpr 8
		.amdhsa_next_free_sgpr 16
		.amdhsa_reserve_vcc 1
		.amdhsa_float_round_mode_32 0
		.amdhsa_float_round_mode_16_64 0
		.amdhsa_float_denorm_mode_32 3
		.amdhsa_float_denorm_mode_16_64 3
		.amdhsa_dx10_clamp 1
		.amdhsa_ieee_mode 1
		.amdhsa_fp16_overflow 0
		.amdhsa_workgroup_processor_mode 1
		.amdhsa_memory_ordered 1
		.amdhsa_forward_progress 0
		.amdhsa_shared_vgpr_count 0
		.amdhsa_exception_fp_ieee_invalid_op 0
		.amdhsa_exception_fp_denorm_src 0
		.amdhsa_exception_fp_ieee_div_zero 0
		.amdhsa_exception_fp_ieee_overflow 0
		.amdhsa_exception_fp_ieee_underflow 0
		.amdhsa_exception_fp_ieee_inexact 0
		.amdhsa_exception_int_div_zero 0
	.end_amdhsa_kernel
	.section	.text._Z26warp_exclusive_scan_kernelIiLj32ELj8EENSt9enable_ifIXsr10test_utilsE35device_test_enabled_for_warp_size_vIXT1_EEEvE4typeEPT_S4_S3_,"axG",@progbits,_Z26warp_exclusive_scan_kernelIiLj32ELj8EENSt9enable_ifIXsr10test_utilsE35device_test_enabled_for_warp_size_vIXT1_EEEvE4typeEPT_S4_S3_,comdat
.Lfunc_end162:
	.size	_Z26warp_exclusive_scan_kernelIiLj32ELj8EENSt9enable_ifIXsr10test_utilsE35device_test_enabled_for_warp_size_vIXT1_EEEvE4typeEPT_S4_S3_, .Lfunc_end162-_Z26warp_exclusive_scan_kernelIiLj32ELj8EENSt9enable_ifIXsr10test_utilsE35device_test_enabled_for_warp_size_vIXT1_EEEvE4typeEPT_S4_S3_
                                        ; -- End function
	.section	.AMDGPU.csdata,"",@progbits
; Kernel info:
; codeLenInByte = 296
; NumSgprs: 18
; NumVgprs: 8
; ScratchSize: 0
; MemoryBound: 0
; FloatMode: 240
; IeeeMode: 1
; LDSByteSize: 0 bytes/workgroup (compile time only)
; SGPRBlocks: 2
; VGPRBlocks: 0
; NumSGPRsForWavesPerEU: 18
; NumVGPRsForWavesPerEU: 8
; Occupancy: 16
; WaveLimiterHint : 0
; COMPUTE_PGM_RSRC2:SCRATCH_EN: 0
; COMPUTE_PGM_RSRC2:USER_SGPR: 15
; COMPUTE_PGM_RSRC2:TRAP_HANDLER: 0
; COMPUTE_PGM_RSRC2:TGID_X_EN: 1
; COMPUTE_PGM_RSRC2:TGID_Y_EN: 0
; COMPUTE_PGM_RSRC2:TGID_Z_EN: 0
; COMPUTE_PGM_RSRC2:TIDIG_COMP_CNT: 0
	.section	.text._Z26warp_exclusive_scan_kernelIiLj64ELj8EENSt9enable_ifIXsr10test_utilsE35device_test_enabled_for_warp_size_vIXT1_EEEvE4typeEPT_S4_S3_,"axG",@progbits,_Z26warp_exclusive_scan_kernelIiLj64ELj8EENSt9enable_ifIXsr10test_utilsE35device_test_enabled_for_warp_size_vIXT1_EEEvE4typeEPT_S4_S3_,comdat
	.protected	_Z26warp_exclusive_scan_kernelIiLj64ELj8EENSt9enable_ifIXsr10test_utilsE35device_test_enabled_for_warp_size_vIXT1_EEEvE4typeEPT_S4_S3_ ; -- Begin function _Z26warp_exclusive_scan_kernelIiLj64ELj8EENSt9enable_ifIXsr10test_utilsE35device_test_enabled_for_warp_size_vIXT1_EEEvE4typeEPT_S4_S3_
	.globl	_Z26warp_exclusive_scan_kernelIiLj64ELj8EENSt9enable_ifIXsr10test_utilsE35device_test_enabled_for_warp_size_vIXT1_EEEvE4typeEPT_S4_S3_
	.p2align	8
	.type	_Z26warp_exclusive_scan_kernelIiLj64ELj8EENSt9enable_ifIXsr10test_utilsE35device_test_enabled_for_warp_size_vIXT1_EEEvE4typeEPT_S4_S3_,@function
_Z26warp_exclusive_scan_kernelIiLj64ELj8EENSt9enable_ifIXsr10test_utilsE35device_test_enabled_for_warp_size_vIXT1_EEEvE4typeEPT_S4_S3_: ; @_Z26warp_exclusive_scan_kernelIiLj64ELj8EENSt9enable_ifIXsr10test_utilsE35device_test_enabled_for_warp_size_vIXT1_EEEvE4typeEPT_S4_S3_
; %bb.0:
	s_clause 0x2
	s_load_b32 s2, s[0:1], 0x24
	s_load_b128 s[4:7], s[0:1], 0x0
	s_load_b32 s1, s[0:1], 0x10
	s_waitcnt lgkmcnt(0)
	s_and_b32 s2, s2, 0xffff
	s_delay_alu instid0(SALU_CYCLE_1) | instskip(SKIP_1) | instid1(VALU_DEP_1)
	v_mad_u64_u32 v[1:2], null, s15, s2, v[0:1]
	v_mov_b32_e32 v2, 0
	v_lshlrev_b64 v[0:1], 2, v[1:2]
	s_delay_alu instid0(VALU_DEP_1) | instskip(NEXT) | instid1(VALU_DEP_2)
	v_add_co_u32 v2, vcc_lo, s4, v0
	v_add_co_ci_u32_e32 v3, vcc_lo, s5, v1, vcc_lo
	global_load_b32 v2, v[2:3], off
	v_mbcnt_lo_u32_b32 v3, -1, 0
	s_delay_alu instid0(VALU_DEP_1) | instskip(SKIP_1) | instid1(VALU_DEP_2)
	v_and_b32_e32 v4, 7, v3
	v_and_b32_e32 v6, 24, v3
	v_cmp_eq_u32_e32 vcc_lo, 0, v4
	v_cmp_lt_u32_e64 s0, 1, v4
	s_waitcnt vmcnt(0)
	v_mov_b32_dpp v5, v2 row_shr:1 row_mask:0xf bank_mask:0xf
	s_delay_alu instid0(VALU_DEP_1) | instskip(NEXT) | instid1(VALU_DEP_1)
	v_cndmask_b32_e64 v5, v5, 0, vcc_lo
	v_add_nc_u32_e32 v2, v5, v2
	s_delay_alu instid0(VALU_DEP_1) | instskip(NEXT) | instid1(VALU_DEP_1)
	v_mov_b32_dpp v5, v2 row_shr:2 row_mask:0xf bank_mask:0xf
	v_cndmask_b32_e64 v5, 0, v5, s0
	s_delay_alu instid0(VALU_DEP_1) | instskip(SKIP_1) | instid1(VALU_DEP_2)
	v_add_nc_u32_e32 v2, v2, v5
	v_add_nc_u32_e32 v5, -1, v3
	v_mov_b32_dpp v7, v2 row_shr:4 row_mask:0xf bank_mask:0xf
	s_delay_alu instid0(VALU_DEP_2) | instskip(NEXT) | instid1(VALU_DEP_1)
	v_cmp_lt_i32_e64 s0, v5, v6
	v_cndmask_b32_e64 v3, v5, v3, s0
	v_cmp_lt_u32_e64 s0, 3, v4
	s_delay_alu instid0(VALU_DEP_2) | instskip(NEXT) | instid1(VALU_DEP_2)
	v_lshlrev_b32_e32 v3, 2, v3
	v_cndmask_b32_e64 v4, 0, v7, s0
	s_delay_alu instid0(VALU_DEP_1)
	v_add3_u32 v2, v4, s1, v2
	ds_bpermute_b32 v2, v3, v2
	s_waitcnt lgkmcnt(0)
	v_cndmask_b32_e64 v2, v2, s1, vcc_lo
	v_add_co_u32 v0, vcc_lo, s6, v0
	v_add_co_ci_u32_e32 v1, vcc_lo, s7, v1, vcc_lo
	global_store_b32 v[0:1], v2, off
	s_nop 0
	s_sendmsg sendmsg(MSG_DEALLOC_VGPRS)
	s_endpgm
	.section	.rodata,"a",@progbits
	.p2align	6, 0x0
	.amdhsa_kernel _Z26warp_exclusive_scan_kernelIiLj64ELj8EENSt9enable_ifIXsr10test_utilsE35device_test_enabled_for_warp_size_vIXT1_EEEvE4typeEPT_S4_S3_
		.amdhsa_group_segment_fixed_size 0
		.amdhsa_private_segment_fixed_size 0
		.amdhsa_kernarg_size 280
		.amdhsa_user_sgpr_count 15
		.amdhsa_user_sgpr_dispatch_ptr 0
		.amdhsa_user_sgpr_queue_ptr 0
		.amdhsa_user_sgpr_kernarg_segment_ptr 1
		.amdhsa_user_sgpr_dispatch_id 0
		.amdhsa_user_sgpr_private_segment_size 0
		.amdhsa_wavefront_size32 1
		.amdhsa_uses_dynamic_stack 0
		.amdhsa_enable_private_segment 0
		.amdhsa_system_sgpr_workgroup_id_x 1
		.amdhsa_system_sgpr_workgroup_id_y 0
		.amdhsa_system_sgpr_workgroup_id_z 0
		.amdhsa_system_sgpr_workgroup_info 0
		.amdhsa_system_vgpr_workitem_id 0
		.amdhsa_next_free_vgpr 8
		.amdhsa_next_free_sgpr 16
		.amdhsa_reserve_vcc 1
		.amdhsa_float_round_mode_32 0
		.amdhsa_float_round_mode_16_64 0
		.amdhsa_float_denorm_mode_32 3
		.amdhsa_float_denorm_mode_16_64 3
		.amdhsa_dx10_clamp 1
		.amdhsa_ieee_mode 1
		.amdhsa_fp16_overflow 0
		.amdhsa_workgroup_processor_mode 1
		.amdhsa_memory_ordered 1
		.amdhsa_forward_progress 0
		.amdhsa_shared_vgpr_count 0
		.amdhsa_exception_fp_ieee_invalid_op 0
		.amdhsa_exception_fp_denorm_src 0
		.amdhsa_exception_fp_ieee_div_zero 0
		.amdhsa_exception_fp_ieee_overflow 0
		.amdhsa_exception_fp_ieee_underflow 0
		.amdhsa_exception_fp_ieee_inexact 0
		.amdhsa_exception_int_div_zero 0
	.end_amdhsa_kernel
	.section	.text._Z26warp_exclusive_scan_kernelIiLj64ELj8EENSt9enable_ifIXsr10test_utilsE35device_test_enabled_for_warp_size_vIXT1_EEEvE4typeEPT_S4_S3_,"axG",@progbits,_Z26warp_exclusive_scan_kernelIiLj64ELj8EENSt9enable_ifIXsr10test_utilsE35device_test_enabled_for_warp_size_vIXT1_EEEvE4typeEPT_S4_S3_,comdat
.Lfunc_end163:
	.size	_Z26warp_exclusive_scan_kernelIiLj64ELj8EENSt9enable_ifIXsr10test_utilsE35device_test_enabled_for_warp_size_vIXT1_EEEvE4typeEPT_S4_S3_, .Lfunc_end163-_Z26warp_exclusive_scan_kernelIiLj64ELj8EENSt9enable_ifIXsr10test_utilsE35device_test_enabled_for_warp_size_vIXT1_EEEvE4typeEPT_S4_S3_
                                        ; -- End function
	.section	.AMDGPU.csdata,"",@progbits
; Kernel info:
; codeLenInByte = 296
; NumSgprs: 18
; NumVgprs: 8
; ScratchSize: 0
; MemoryBound: 0
; FloatMode: 240
; IeeeMode: 1
; LDSByteSize: 0 bytes/workgroup (compile time only)
; SGPRBlocks: 2
; VGPRBlocks: 0
; NumSGPRsForWavesPerEU: 18
; NumVGPRsForWavesPerEU: 8
; Occupancy: 16
; WaveLimiterHint : 0
; COMPUTE_PGM_RSRC2:SCRATCH_EN: 0
; COMPUTE_PGM_RSRC2:USER_SGPR: 15
; COMPUTE_PGM_RSRC2:TRAP_HANDLER: 0
; COMPUTE_PGM_RSRC2:TGID_X_EN: 1
; COMPUTE_PGM_RSRC2:TGID_Y_EN: 0
; COMPUTE_PGM_RSRC2:TGID_Z_EN: 0
; COMPUTE_PGM_RSRC2:TIDIG_COMP_CNT: 0
	.section	.text._Z26warp_exclusive_scan_kernelIiLj32ELj4EENSt9enable_ifIXsr10test_utilsE35device_test_enabled_for_warp_size_vIXT1_EEEvE4typeEPT_S4_S3_,"axG",@progbits,_Z26warp_exclusive_scan_kernelIiLj32ELj4EENSt9enable_ifIXsr10test_utilsE35device_test_enabled_for_warp_size_vIXT1_EEEvE4typeEPT_S4_S3_,comdat
	.protected	_Z26warp_exclusive_scan_kernelIiLj32ELj4EENSt9enable_ifIXsr10test_utilsE35device_test_enabled_for_warp_size_vIXT1_EEEvE4typeEPT_S4_S3_ ; -- Begin function _Z26warp_exclusive_scan_kernelIiLj32ELj4EENSt9enable_ifIXsr10test_utilsE35device_test_enabled_for_warp_size_vIXT1_EEEvE4typeEPT_S4_S3_
	.globl	_Z26warp_exclusive_scan_kernelIiLj32ELj4EENSt9enable_ifIXsr10test_utilsE35device_test_enabled_for_warp_size_vIXT1_EEEvE4typeEPT_S4_S3_
	.p2align	8
	.type	_Z26warp_exclusive_scan_kernelIiLj32ELj4EENSt9enable_ifIXsr10test_utilsE35device_test_enabled_for_warp_size_vIXT1_EEEvE4typeEPT_S4_S3_,@function
_Z26warp_exclusive_scan_kernelIiLj32ELj4EENSt9enable_ifIXsr10test_utilsE35device_test_enabled_for_warp_size_vIXT1_EEEvE4typeEPT_S4_S3_: ; @_Z26warp_exclusive_scan_kernelIiLj32ELj4EENSt9enable_ifIXsr10test_utilsE35device_test_enabled_for_warp_size_vIXT1_EEEvE4typeEPT_S4_S3_
; %bb.0:
	s_clause 0x2
	s_load_b32 s2, s[0:1], 0x24
	s_load_b128 s[4:7], s[0:1], 0x0
	s_load_b32 s1, s[0:1], 0x10
	s_waitcnt lgkmcnt(0)
	s_and_b32 s2, s2, 0xffff
	s_delay_alu instid0(SALU_CYCLE_1) | instskip(SKIP_1) | instid1(VALU_DEP_1)
	v_mad_u64_u32 v[1:2], null, s15, s2, v[0:1]
	v_mov_b32_e32 v2, 0
	v_lshlrev_b64 v[0:1], 2, v[1:2]
	s_delay_alu instid0(VALU_DEP_1) | instskip(NEXT) | instid1(VALU_DEP_2)
	v_add_co_u32 v2, vcc_lo, s4, v0
	v_add_co_ci_u32_e32 v3, vcc_lo, s5, v1, vcc_lo
	global_load_b32 v2, v[2:3], off
	v_mbcnt_lo_u32_b32 v3, -1, 0
	s_delay_alu instid0(VALU_DEP_1) | instskip(SKIP_1) | instid1(VALU_DEP_2)
	v_and_b32_e32 v4, 3, v3
	v_and_b32_e32 v6, 28, v3
	v_cmp_eq_u32_e32 vcc_lo, 0, v4
	s_waitcnt vmcnt(0)
	v_mov_b32_dpp v5, v2 row_shr:1 row_mask:0xf bank_mask:0xf
	s_delay_alu instid0(VALU_DEP_1) | instskip(NEXT) | instid1(VALU_DEP_1)
	v_cndmask_b32_e64 v5, v5, 0, vcc_lo
	v_add_nc_u32_e32 v2, v5, v2
	v_add_nc_u32_e32 v5, -1, v3
	s_delay_alu instid0(VALU_DEP_2) | instskip(NEXT) | instid1(VALU_DEP_2)
	v_mov_b32_dpp v7, v2 row_shr:2 row_mask:0xf bank_mask:0xf
	v_cmp_lt_i32_e64 s0, v5, v6
	s_delay_alu instid0(VALU_DEP_1) | instskip(SKIP_1) | instid1(VALU_DEP_2)
	v_cndmask_b32_e64 v3, v5, v3, s0
	v_cmp_lt_u32_e64 s0, 1, v4
	v_lshlrev_b32_e32 v3, 2, v3
	s_delay_alu instid0(VALU_DEP_2) | instskip(NEXT) | instid1(VALU_DEP_1)
	v_cndmask_b32_e64 v4, 0, v7, s0
	v_add3_u32 v2, v4, s1, v2
	ds_bpermute_b32 v2, v3, v2
	s_waitcnt lgkmcnt(0)
	v_cndmask_b32_e64 v2, v2, s1, vcc_lo
	v_add_co_u32 v0, vcc_lo, s6, v0
	v_add_co_ci_u32_e32 v1, vcc_lo, s7, v1, vcc_lo
	global_store_b32 v[0:1], v2, off
	s_nop 0
	s_sendmsg sendmsg(MSG_DEALLOC_VGPRS)
	s_endpgm
	.section	.rodata,"a",@progbits
	.p2align	6, 0x0
	.amdhsa_kernel _Z26warp_exclusive_scan_kernelIiLj32ELj4EENSt9enable_ifIXsr10test_utilsE35device_test_enabled_for_warp_size_vIXT1_EEEvE4typeEPT_S4_S3_
		.amdhsa_group_segment_fixed_size 0
		.amdhsa_private_segment_fixed_size 0
		.amdhsa_kernarg_size 280
		.amdhsa_user_sgpr_count 15
		.amdhsa_user_sgpr_dispatch_ptr 0
		.amdhsa_user_sgpr_queue_ptr 0
		.amdhsa_user_sgpr_kernarg_segment_ptr 1
		.amdhsa_user_sgpr_dispatch_id 0
		.amdhsa_user_sgpr_private_segment_size 0
		.amdhsa_wavefront_size32 1
		.amdhsa_uses_dynamic_stack 0
		.amdhsa_enable_private_segment 0
		.amdhsa_system_sgpr_workgroup_id_x 1
		.amdhsa_system_sgpr_workgroup_id_y 0
		.amdhsa_system_sgpr_workgroup_id_z 0
		.amdhsa_system_sgpr_workgroup_info 0
		.amdhsa_system_vgpr_workitem_id 0
		.amdhsa_next_free_vgpr 8
		.amdhsa_next_free_sgpr 16
		.amdhsa_reserve_vcc 1
		.amdhsa_float_round_mode_32 0
		.amdhsa_float_round_mode_16_64 0
		.amdhsa_float_denorm_mode_32 3
		.amdhsa_float_denorm_mode_16_64 3
		.amdhsa_dx10_clamp 1
		.amdhsa_ieee_mode 1
		.amdhsa_fp16_overflow 0
		.amdhsa_workgroup_processor_mode 1
		.amdhsa_memory_ordered 1
		.amdhsa_forward_progress 0
		.amdhsa_shared_vgpr_count 0
		.amdhsa_exception_fp_ieee_invalid_op 0
		.amdhsa_exception_fp_denorm_src 0
		.amdhsa_exception_fp_ieee_div_zero 0
		.amdhsa_exception_fp_ieee_overflow 0
		.amdhsa_exception_fp_ieee_underflow 0
		.amdhsa_exception_fp_ieee_inexact 0
		.amdhsa_exception_int_div_zero 0
	.end_amdhsa_kernel
	.section	.text._Z26warp_exclusive_scan_kernelIiLj32ELj4EENSt9enable_ifIXsr10test_utilsE35device_test_enabled_for_warp_size_vIXT1_EEEvE4typeEPT_S4_S3_,"axG",@progbits,_Z26warp_exclusive_scan_kernelIiLj32ELj4EENSt9enable_ifIXsr10test_utilsE35device_test_enabled_for_warp_size_vIXT1_EEEvE4typeEPT_S4_S3_,comdat
.Lfunc_end164:
	.size	_Z26warp_exclusive_scan_kernelIiLj32ELj4EENSt9enable_ifIXsr10test_utilsE35device_test_enabled_for_warp_size_vIXT1_EEEvE4typeEPT_S4_S3_, .Lfunc_end164-_Z26warp_exclusive_scan_kernelIiLj32ELj4EENSt9enable_ifIXsr10test_utilsE35device_test_enabled_for_warp_size_vIXT1_EEEvE4typeEPT_S4_S3_
                                        ; -- End function
	.section	.AMDGPU.csdata,"",@progbits
; Kernel info:
; codeLenInByte = 260
; NumSgprs: 18
; NumVgprs: 8
; ScratchSize: 0
; MemoryBound: 0
; FloatMode: 240
; IeeeMode: 1
; LDSByteSize: 0 bytes/workgroup (compile time only)
; SGPRBlocks: 2
; VGPRBlocks: 0
; NumSGPRsForWavesPerEU: 18
; NumVGPRsForWavesPerEU: 8
; Occupancy: 16
; WaveLimiterHint : 0
; COMPUTE_PGM_RSRC2:SCRATCH_EN: 0
; COMPUTE_PGM_RSRC2:USER_SGPR: 15
; COMPUTE_PGM_RSRC2:TRAP_HANDLER: 0
; COMPUTE_PGM_RSRC2:TGID_X_EN: 1
; COMPUTE_PGM_RSRC2:TGID_Y_EN: 0
; COMPUTE_PGM_RSRC2:TGID_Z_EN: 0
; COMPUTE_PGM_RSRC2:TIDIG_COMP_CNT: 0
	.section	.text._Z26warp_exclusive_scan_kernelIiLj64ELj4EENSt9enable_ifIXsr10test_utilsE35device_test_enabled_for_warp_size_vIXT1_EEEvE4typeEPT_S4_S3_,"axG",@progbits,_Z26warp_exclusive_scan_kernelIiLj64ELj4EENSt9enable_ifIXsr10test_utilsE35device_test_enabled_for_warp_size_vIXT1_EEEvE4typeEPT_S4_S3_,comdat
	.protected	_Z26warp_exclusive_scan_kernelIiLj64ELj4EENSt9enable_ifIXsr10test_utilsE35device_test_enabled_for_warp_size_vIXT1_EEEvE4typeEPT_S4_S3_ ; -- Begin function _Z26warp_exclusive_scan_kernelIiLj64ELj4EENSt9enable_ifIXsr10test_utilsE35device_test_enabled_for_warp_size_vIXT1_EEEvE4typeEPT_S4_S3_
	.globl	_Z26warp_exclusive_scan_kernelIiLj64ELj4EENSt9enable_ifIXsr10test_utilsE35device_test_enabled_for_warp_size_vIXT1_EEEvE4typeEPT_S4_S3_
	.p2align	8
	.type	_Z26warp_exclusive_scan_kernelIiLj64ELj4EENSt9enable_ifIXsr10test_utilsE35device_test_enabled_for_warp_size_vIXT1_EEEvE4typeEPT_S4_S3_,@function
_Z26warp_exclusive_scan_kernelIiLj64ELj4EENSt9enable_ifIXsr10test_utilsE35device_test_enabled_for_warp_size_vIXT1_EEEvE4typeEPT_S4_S3_: ; @_Z26warp_exclusive_scan_kernelIiLj64ELj4EENSt9enable_ifIXsr10test_utilsE35device_test_enabled_for_warp_size_vIXT1_EEEvE4typeEPT_S4_S3_
; %bb.0:
	s_clause 0x2
	s_load_b32 s2, s[0:1], 0x24
	s_load_b128 s[4:7], s[0:1], 0x0
	s_load_b32 s1, s[0:1], 0x10
	s_waitcnt lgkmcnt(0)
	s_and_b32 s2, s2, 0xffff
	s_delay_alu instid0(SALU_CYCLE_1) | instskip(SKIP_1) | instid1(VALU_DEP_1)
	v_mad_u64_u32 v[1:2], null, s15, s2, v[0:1]
	v_mov_b32_e32 v2, 0
	v_lshlrev_b64 v[0:1], 2, v[1:2]
	s_delay_alu instid0(VALU_DEP_1) | instskip(NEXT) | instid1(VALU_DEP_2)
	v_add_co_u32 v2, vcc_lo, s4, v0
	v_add_co_ci_u32_e32 v3, vcc_lo, s5, v1, vcc_lo
	global_load_b32 v2, v[2:3], off
	v_mbcnt_lo_u32_b32 v3, -1, 0
	s_delay_alu instid0(VALU_DEP_1) | instskip(SKIP_1) | instid1(VALU_DEP_2)
	v_and_b32_e32 v4, 3, v3
	v_and_b32_e32 v6, 28, v3
	v_cmp_eq_u32_e32 vcc_lo, 0, v4
	s_waitcnt vmcnt(0)
	v_mov_b32_dpp v5, v2 row_shr:1 row_mask:0xf bank_mask:0xf
	s_delay_alu instid0(VALU_DEP_1) | instskip(NEXT) | instid1(VALU_DEP_1)
	v_cndmask_b32_e64 v5, v5, 0, vcc_lo
	v_add_nc_u32_e32 v2, v5, v2
	v_add_nc_u32_e32 v5, -1, v3
	s_delay_alu instid0(VALU_DEP_2) | instskip(NEXT) | instid1(VALU_DEP_2)
	v_mov_b32_dpp v7, v2 row_shr:2 row_mask:0xf bank_mask:0xf
	v_cmp_lt_i32_e64 s0, v5, v6
	s_delay_alu instid0(VALU_DEP_1) | instskip(SKIP_1) | instid1(VALU_DEP_2)
	v_cndmask_b32_e64 v3, v5, v3, s0
	v_cmp_lt_u32_e64 s0, 1, v4
	v_lshlrev_b32_e32 v3, 2, v3
	s_delay_alu instid0(VALU_DEP_2) | instskip(NEXT) | instid1(VALU_DEP_1)
	v_cndmask_b32_e64 v4, 0, v7, s0
	v_add3_u32 v2, v4, s1, v2
	ds_bpermute_b32 v2, v3, v2
	s_waitcnt lgkmcnt(0)
	v_cndmask_b32_e64 v2, v2, s1, vcc_lo
	v_add_co_u32 v0, vcc_lo, s6, v0
	v_add_co_ci_u32_e32 v1, vcc_lo, s7, v1, vcc_lo
	global_store_b32 v[0:1], v2, off
	s_nop 0
	s_sendmsg sendmsg(MSG_DEALLOC_VGPRS)
	s_endpgm
	.section	.rodata,"a",@progbits
	.p2align	6, 0x0
	.amdhsa_kernel _Z26warp_exclusive_scan_kernelIiLj64ELj4EENSt9enable_ifIXsr10test_utilsE35device_test_enabled_for_warp_size_vIXT1_EEEvE4typeEPT_S4_S3_
		.amdhsa_group_segment_fixed_size 0
		.amdhsa_private_segment_fixed_size 0
		.amdhsa_kernarg_size 280
		.amdhsa_user_sgpr_count 15
		.amdhsa_user_sgpr_dispatch_ptr 0
		.amdhsa_user_sgpr_queue_ptr 0
		.amdhsa_user_sgpr_kernarg_segment_ptr 1
		.amdhsa_user_sgpr_dispatch_id 0
		.amdhsa_user_sgpr_private_segment_size 0
		.amdhsa_wavefront_size32 1
		.amdhsa_uses_dynamic_stack 0
		.amdhsa_enable_private_segment 0
		.amdhsa_system_sgpr_workgroup_id_x 1
		.amdhsa_system_sgpr_workgroup_id_y 0
		.amdhsa_system_sgpr_workgroup_id_z 0
		.amdhsa_system_sgpr_workgroup_info 0
		.amdhsa_system_vgpr_workitem_id 0
		.amdhsa_next_free_vgpr 8
		.amdhsa_next_free_sgpr 16
		.amdhsa_reserve_vcc 1
		.amdhsa_float_round_mode_32 0
		.amdhsa_float_round_mode_16_64 0
		.amdhsa_float_denorm_mode_32 3
		.amdhsa_float_denorm_mode_16_64 3
		.amdhsa_dx10_clamp 1
		.amdhsa_ieee_mode 1
		.amdhsa_fp16_overflow 0
		.amdhsa_workgroup_processor_mode 1
		.amdhsa_memory_ordered 1
		.amdhsa_forward_progress 0
		.amdhsa_shared_vgpr_count 0
		.amdhsa_exception_fp_ieee_invalid_op 0
		.amdhsa_exception_fp_denorm_src 0
		.amdhsa_exception_fp_ieee_div_zero 0
		.amdhsa_exception_fp_ieee_overflow 0
		.amdhsa_exception_fp_ieee_underflow 0
		.amdhsa_exception_fp_ieee_inexact 0
		.amdhsa_exception_int_div_zero 0
	.end_amdhsa_kernel
	.section	.text._Z26warp_exclusive_scan_kernelIiLj64ELj4EENSt9enable_ifIXsr10test_utilsE35device_test_enabled_for_warp_size_vIXT1_EEEvE4typeEPT_S4_S3_,"axG",@progbits,_Z26warp_exclusive_scan_kernelIiLj64ELj4EENSt9enable_ifIXsr10test_utilsE35device_test_enabled_for_warp_size_vIXT1_EEEvE4typeEPT_S4_S3_,comdat
.Lfunc_end165:
	.size	_Z26warp_exclusive_scan_kernelIiLj64ELj4EENSt9enable_ifIXsr10test_utilsE35device_test_enabled_for_warp_size_vIXT1_EEEvE4typeEPT_S4_S3_, .Lfunc_end165-_Z26warp_exclusive_scan_kernelIiLj64ELj4EENSt9enable_ifIXsr10test_utilsE35device_test_enabled_for_warp_size_vIXT1_EEEvE4typeEPT_S4_S3_
                                        ; -- End function
	.section	.AMDGPU.csdata,"",@progbits
; Kernel info:
; codeLenInByte = 260
; NumSgprs: 18
; NumVgprs: 8
; ScratchSize: 0
; MemoryBound: 0
; FloatMode: 240
; IeeeMode: 1
; LDSByteSize: 0 bytes/workgroup (compile time only)
; SGPRBlocks: 2
; VGPRBlocks: 0
; NumSGPRsForWavesPerEU: 18
; NumVGPRsForWavesPerEU: 8
; Occupancy: 16
; WaveLimiterHint : 0
; COMPUTE_PGM_RSRC2:SCRATCH_EN: 0
; COMPUTE_PGM_RSRC2:USER_SGPR: 15
; COMPUTE_PGM_RSRC2:TRAP_HANDLER: 0
; COMPUTE_PGM_RSRC2:TGID_X_EN: 1
; COMPUTE_PGM_RSRC2:TGID_Y_EN: 0
; COMPUTE_PGM_RSRC2:TGID_Z_EN: 0
; COMPUTE_PGM_RSRC2:TIDIG_COMP_CNT: 0
	.section	.text._Z26warp_exclusive_scan_kernelIiLj32ELj2EENSt9enable_ifIXsr10test_utilsE35device_test_enabled_for_warp_size_vIXT1_EEEvE4typeEPT_S4_S3_,"axG",@progbits,_Z26warp_exclusive_scan_kernelIiLj32ELj2EENSt9enable_ifIXsr10test_utilsE35device_test_enabled_for_warp_size_vIXT1_EEEvE4typeEPT_S4_S3_,comdat
	.protected	_Z26warp_exclusive_scan_kernelIiLj32ELj2EENSt9enable_ifIXsr10test_utilsE35device_test_enabled_for_warp_size_vIXT1_EEEvE4typeEPT_S4_S3_ ; -- Begin function _Z26warp_exclusive_scan_kernelIiLj32ELj2EENSt9enable_ifIXsr10test_utilsE35device_test_enabled_for_warp_size_vIXT1_EEEvE4typeEPT_S4_S3_
	.globl	_Z26warp_exclusive_scan_kernelIiLj32ELj2EENSt9enable_ifIXsr10test_utilsE35device_test_enabled_for_warp_size_vIXT1_EEEvE4typeEPT_S4_S3_
	.p2align	8
	.type	_Z26warp_exclusive_scan_kernelIiLj32ELj2EENSt9enable_ifIXsr10test_utilsE35device_test_enabled_for_warp_size_vIXT1_EEEvE4typeEPT_S4_S3_,@function
_Z26warp_exclusive_scan_kernelIiLj32ELj2EENSt9enable_ifIXsr10test_utilsE35device_test_enabled_for_warp_size_vIXT1_EEEvE4typeEPT_S4_S3_: ; @_Z26warp_exclusive_scan_kernelIiLj32ELj2EENSt9enable_ifIXsr10test_utilsE35device_test_enabled_for_warp_size_vIXT1_EEEvE4typeEPT_S4_S3_
; %bb.0:
	s_clause 0x2
	s_load_b32 s2, s[0:1], 0x24
	s_load_b128 s[4:7], s[0:1], 0x0
	s_load_b32 s0, s[0:1], 0x10
	s_waitcnt lgkmcnt(0)
	s_and_b32 s2, s2, 0xffff
	s_delay_alu instid0(SALU_CYCLE_1) | instskip(SKIP_1) | instid1(VALU_DEP_1)
	v_mad_u64_u32 v[1:2], null, s15, s2, v[0:1]
	v_mov_b32_e32 v2, 0
	v_lshlrev_b64 v[0:1], 2, v[1:2]
	s_delay_alu instid0(VALU_DEP_1) | instskip(NEXT) | instid1(VALU_DEP_2)
	v_add_co_u32 v2, vcc_lo, s4, v0
	v_add_co_ci_u32_e32 v3, vcc_lo, s5, v1, vcc_lo
	global_load_b32 v2, v[2:3], off
	v_mbcnt_lo_u32_b32 v3, -1, 0
	s_delay_alu instid0(VALU_DEP_1) | instskip(SKIP_2) | instid1(VALU_DEP_2)
	v_and_b32_e32 v5, 30, v3
	v_add_nc_u32_e32 v4, -1, v3
	v_bfe_i32 v6, v3, 0, 1
	v_cmp_lt_i32_e32 vcc_lo, v4, v5
	v_cndmask_b32_e32 v4, v4, v3, vcc_lo
	v_and_b32_e32 v3, 1, v3
	s_delay_alu instid0(VALU_DEP_2) | instskip(NEXT) | instid1(VALU_DEP_2)
	v_lshlrev_b32_e32 v4, 2, v4
	v_cmp_eq_u32_e32 vcc_lo, 0, v3
	s_waitcnt vmcnt(0)
	v_mov_b32_dpp v7, v2 row_shr:1 row_mask:0xf bank_mask:0xf
	s_delay_alu instid0(VALU_DEP_1) | instskip(NEXT) | instid1(VALU_DEP_1)
	v_and_b32_e32 v5, v6, v7
	v_add3_u32 v2, v2, s0, v5
	ds_bpermute_b32 v2, v4, v2
	s_waitcnt lgkmcnt(0)
	v_cndmask_b32_e64 v2, v2, s0, vcc_lo
	v_add_co_u32 v0, vcc_lo, s6, v0
	v_add_co_ci_u32_e32 v1, vcc_lo, s7, v1, vcc_lo
	global_store_b32 v[0:1], v2, off
	s_nop 0
	s_sendmsg sendmsg(MSG_DEALLOC_VGPRS)
	s_endpgm
	.section	.rodata,"a",@progbits
	.p2align	6, 0x0
	.amdhsa_kernel _Z26warp_exclusive_scan_kernelIiLj32ELj2EENSt9enable_ifIXsr10test_utilsE35device_test_enabled_for_warp_size_vIXT1_EEEvE4typeEPT_S4_S3_
		.amdhsa_group_segment_fixed_size 0
		.amdhsa_private_segment_fixed_size 0
		.amdhsa_kernarg_size 280
		.amdhsa_user_sgpr_count 15
		.amdhsa_user_sgpr_dispatch_ptr 0
		.amdhsa_user_sgpr_queue_ptr 0
		.amdhsa_user_sgpr_kernarg_segment_ptr 1
		.amdhsa_user_sgpr_dispatch_id 0
		.amdhsa_user_sgpr_private_segment_size 0
		.amdhsa_wavefront_size32 1
		.amdhsa_uses_dynamic_stack 0
		.amdhsa_enable_private_segment 0
		.amdhsa_system_sgpr_workgroup_id_x 1
		.amdhsa_system_sgpr_workgroup_id_y 0
		.amdhsa_system_sgpr_workgroup_id_z 0
		.amdhsa_system_sgpr_workgroup_info 0
		.amdhsa_system_vgpr_workitem_id 0
		.amdhsa_next_free_vgpr 8
		.amdhsa_next_free_sgpr 16
		.amdhsa_reserve_vcc 1
		.amdhsa_float_round_mode_32 0
		.amdhsa_float_round_mode_16_64 0
		.amdhsa_float_denorm_mode_32 3
		.amdhsa_float_denorm_mode_16_64 3
		.amdhsa_dx10_clamp 1
		.amdhsa_ieee_mode 1
		.amdhsa_fp16_overflow 0
		.amdhsa_workgroup_processor_mode 1
		.amdhsa_memory_ordered 1
		.amdhsa_forward_progress 0
		.amdhsa_shared_vgpr_count 0
		.amdhsa_exception_fp_ieee_invalid_op 0
		.amdhsa_exception_fp_denorm_src 0
		.amdhsa_exception_fp_ieee_div_zero 0
		.amdhsa_exception_fp_ieee_overflow 0
		.amdhsa_exception_fp_ieee_underflow 0
		.amdhsa_exception_fp_ieee_inexact 0
		.amdhsa_exception_int_div_zero 0
	.end_amdhsa_kernel
	.section	.text._Z26warp_exclusive_scan_kernelIiLj32ELj2EENSt9enable_ifIXsr10test_utilsE35device_test_enabled_for_warp_size_vIXT1_EEEvE4typeEPT_S4_S3_,"axG",@progbits,_Z26warp_exclusive_scan_kernelIiLj32ELj2EENSt9enable_ifIXsr10test_utilsE35device_test_enabled_for_warp_size_vIXT1_EEEvE4typeEPT_S4_S3_,comdat
.Lfunc_end166:
	.size	_Z26warp_exclusive_scan_kernelIiLj32ELj2EENSt9enable_ifIXsr10test_utilsE35device_test_enabled_for_warp_size_vIXT1_EEEvE4typeEPT_S4_S3_, .Lfunc_end166-_Z26warp_exclusive_scan_kernelIiLj32ELj2EENSt9enable_ifIXsr10test_utilsE35device_test_enabled_for_warp_size_vIXT1_EEEvE4typeEPT_S4_S3_
                                        ; -- End function
	.section	.AMDGPU.csdata,"",@progbits
; Kernel info:
; codeLenInByte = 220
; NumSgprs: 18
; NumVgprs: 8
; ScratchSize: 0
; MemoryBound: 0
; FloatMode: 240
; IeeeMode: 1
; LDSByteSize: 0 bytes/workgroup (compile time only)
; SGPRBlocks: 2
; VGPRBlocks: 0
; NumSGPRsForWavesPerEU: 18
; NumVGPRsForWavesPerEU: 8
; Occupancy: 16
; WaveLimiterHint : 0
; COMPUTE_PGM_RSRC2:SCRATCH_EN: 0
; COMPUTE_PGM_RSRC2:USER_SGPR: 15
; COMPUTE_PGM_RSRC2:TRAP_HANDLER: 0
; COMPUTE_PGM_RSRC2:TGID_X_EN: 1
; COMPUTE_PGM_RSRC2:TGID_Y_EN: 0
; COMPUTE_PGM_RSRC2:TGID_Z_EN: 0
; COMPUTE_PGM_RSRC2:TIDIG_COMP_CNT: 0
	.section	.text._Z26warp_exclusive_scan_kernelIiLj64ELj2EENSt9enable_ifIXsr10test_utilsE35device_test_enabled_for_warp_size_vIXT1_EEEvE4typeEPT_S4_S3_,"axG",@progbits,_Z26warp_exclusive_scan_kernelIiLj64ELj2EENSt9enable_ifIXsr10test_utilsE35device_test_enabled_for_warp_size_vIXT1_EEEvE4typeEPT_S4_S3_,comdat
	.protected	_Z26warp_exclusive_scan_kernelIiLj64ELj2EENSt9enable_ifIXsr10test_utilsE35device_test_enabled_for_warp_size_vIXT1_EEEvE4typeEPT_S4_S3_ ; -- Begin function _Z26warp_exclusive_scan_kernelIiLj64ELj2EENSt9enable_ifIXsr10test_utilsE35device_test_enabled_for_warp_size_vIXT1_EEEvE4typeEPT_S4_S3_
	.globl	_Z26warp_exclusive_scan_kernelIiLj64ELj2EENSt9enable_ifIXsr10test_utilsE35device_test_enabled_for_warp_size_vIXT1_EEEvE4typeEPT_S4_S3_
	.p2align	8
	.type	_Z26warp_exclusive_scan_kernelIiLj64ELj2EENSt9enable_ifIXsr10test_utilsE35device_test_enabled_for_warp_size_vIXT1_EEEvE4typeEPT_S4_S3_,@function
_Z26warp_exclusive_scan_kernelIiLj64ELj2EENSt9enable_ifIXsr10test_utilsE35device_test_enabled_for_warp_size_vIXT1_EEEvE4typeEPT_S4_S3_: ; @_Z26warp_exclusive_scan_kernelIiLj64ELj2EENSt9enable_ifIXsr10test_utilsE35device_test_enabled_for_warp_size_vIXT1_EEEvE4typeEPT_S4_S3_
; %bb.0:
	s_clause 0x2
	s_load_b32 s2, s[0:1], 0x24
	s_load_b128 s[4:7], s[0:1], 0x0
	s_load_b32 s0, s[0:1], 0x10
	s_waitcnt lgkmcnt(0)
	s_and_b32 s2, s2, 0xffff
	s_delay_alu instid0(SALU_CYCLE_1) | instskip(SKIP_1) | instid1(VALU_DEP_1)
	v_mad_u64_u32 v[1:2], null, s15, s2, v[0:1]
	v_mov_b32_e32 v2, 0
	v_lshlrev_b64 v[0:1], 2, v[1:2]
	s_delay_alu instid0(VALU_DEP_1) | instskip(NEXT) | instid1(VALU_DEP_2)
	v_add_co_u32 v2, vcc_lo, s4, v0
	v_add_co_ci_u32_e32 v3, vcc_lo, s5, v1, vcc_lo
	global_load_b32 v2, v[2:3], off
	v_mbcnt_lo_u32_b32 v3, -1, 0
	s_delay_alu instid0(VALU_DEP_1) | instskip(SKIP_2) | instid1(VALU_DEP_2)
	v_and_b32_e32 v5, 30, v3
	v_add_nc_u32_e32 v4, -1, v3
	v_bfe_i32 v6, v3, 0, 1
	v_cmp_lt_i32_e32 vcc_lo, v4, v5
	v_cndmask_b32_e32 v4, v4, v3, vcc_lo
	v_and_b32_e32 v3, 1, v3
	s_delay_alu instid0(VALU_DEP_2) | instskip(NEXT) | instid1(VALU_DEP_2)
	v_lshlrev_b32_e32 v4, 2, v4
	v_cmp_eq_u32_e32 vcc_lo, 0, v3
	s_waitcnt vmcnt(0)
	v_mov_b32_dpp v7, v2 row_shr:1 row_mask:0xf bank_mask:0xf
	s_delay_alu instid0(VALU_DEP_1) | instskip(NEXT) | instid1(VALU_DEP_1)
	v_and_b32_e32 v5, v6, v7
	v_add3_u32 v2, v2, s0, v5
	ds_bpermute_b32 v2, v4, v2
	s_waitcnt lgkmcnt(0)
	v_cndmask_b32_e64 v2, v2, s0, vcc_lo
	v_add_co_u32 v0, vcc_lo, s6, v0
	v_add_co_ci_u32_e32 v1, vcc_lo, s7, v1, vcc_lo
	global_store_b32 v[0:1], v2, off
	s_nop 0
	s_sendmsg sendmsg(MSG_DEALLOC_VGPRS)
	s_endpgm
	.section	.rodata,"a",@progbits
	.p2align	6, 0x0
	.amdhsa_kernel _Z26warp_exclusive_scan_kernelIiLj64ELj2EENSt9enable_ifIXsr10test_utilsE35device_test_enabled_for_warp_size_vIXT1_EEEvE4typeEPT_S4_S3_
		.amdhsa_group_segment_fixed_size 0
		.amdhsa_private_segment_fixed_size 0
		.amdhsa_kernarg_size 280
		.amdhsa_user_sgpr_count 15
		.amdhsa_user_sgpr_dispatch_ptr 0
		.amdhsa_user_sgpr_queue_ptr 0
		.amdhsa_user_sgpr_kernarg_segment_ptr 1
		.amdhsa_user_sgpr_dispatch_id 0
		.amdhsa_user_sgpr_private_segment_size 0
		.amdhsa_wavefront_size32 1
		.amdhsa_uses_dynamic_stack 0
		.amdhsa_enable_private_segment 0
		.amdhsa_system_sgpr_workgroup_id_x 1
		.amdhsa_system_sgpr_workgroup_id_y 0
		.amdhsa_system_sgpr_workgroup_id_z 0
		.amdhsa_system_sgpr_workgroup_info 0
		.amdhsa_system_vgpr_workitem_id 0
		.amdhsa_next_free_vgpr 8
		.amdhsa_next_free_sgpr 16
		.amdhsa_reserve_vcc 1
		.amdhsa_float_round_mode_32 0
		.amdhsa_float_round_mode_16_64 0
		.amdhsa_float_denorm_mode_32 3
		.amdhsa_float_denorm_mode_16_64 3
		.amdhsa_dx10_clamp 1
		.amdhsa_ieee_mode 1
		.amdhsa_fp16_overflow 0
		.amdhsa_workgroup_processor_mode 1
		.amdhsa_memory_ordered 1
		.amdhsa_forward_progress 0
		.amdhsa_shared_vgpr_count 0
		.amdhsa_exception_fp_ieee_invalid_op 0
		.amdhsa_exception_fp_denorm_src 0
		.amdhsa_exception_fp_ieee_div_zero 0
		.amdhsa_exception_fp_ieee_overflow 0
		.amdhsa_exception_fp_ieee_underflow 0
		.amdhsa_exception_fp_ieee_inexact 0
		.amdhsa_exception_int_div_zero 0
	.end_amdhsa_kernel
	.section	.text._Z26warp_exclusive_scan_kernelIiLj64ELj2EENSt9enable_ifIXsr10test_utilsE35device_test_enabled_for_warp_size_vIXT1_EEEvE4typeEPT_S4_S3_,"axG",@progbits,_Z26warp_exclusive_scan_kernelIiLj64ELj2EENSt9enable_ifIXsr10test_utilsE35device_test_enabled_for_warp_size_vIXT1_EEEvE4typeEPT_S4_S3_,comdat
.Lfunc_end167:
	.size	_Z26warp_exclusive_scan_kernelIiLj64ELj2EENSt9enable_ifIXsr10test_utilsE35device_test_enabled_for_warp_size_vIXT1_EEEvE4typeEPT_S4_S3_, .Lfunc_end167-_Z26warp_exclusive_scan_kernelIiLj64ELj2EENSt9enable_ifIXsr10test_utilsE35device_test_enabled_for_warp_size_vIXT1_EEEvE4typeEPT_S4_S3_
                                        ; -- End function
	.section	.AMDGPU.csdata,"",@progbits
; Kernel info:
; codeLenInByte = 220
; NumSgprs: 18
; NumVgprs: 8
; ScratchSize: 0
; MemoryBound: 0
; FloatMode: 240
; IeeeMode: 1
; LDSByteSize: 0 bytes/workgroup (compile time only)
; SGPRBlocks: 2
; VGPRBlocks: 0
; NumSGPRsForWavesPerEU: 18
; NumVGPRsForWavesPerEU: 8
; Occupancy: 16
; WaveLimiterHint : 0
; COMPUTE_PGM_RSRC2:SCRATCH_EN: 0
; COMPUTE_PGM_RSRC2:USER_SGPR: 15
; COMPUTE_PGM_RSRC2:TRAP_HANDLER: 0
; COMPUTE_PGM_RSRC2:TGID_X_EN: 1
; COMPUTE_PGM_RSRC2:TGID_Y_EN: 0
; COMPUTE_PGM_RSRC2:TGID_Z_EN: 0
; COMPUTE_PGM_RSRC2:TIDIG_COMP_CNT: 0
	.section	.text._Z33warp_exclusive_scan_reduce_kernelIfLj1ELj61EENSt9enable_ifIXntsr10test_utilsE35device_test_enabled_for_warp_size_vIXT1_EEEvE4typeEPT_S4_S4_S3_,"axG",@progbits,_Z33warp_exclusive_scan_reduce_kernelIfLj1ELj61EENSt9enable_ifIXntsr10test_utilsE35device_test_enabled_for_warp_size_vIXT1_EEEvE4typeEPT_S4_S4_S3_,comdat
	.protected	_Z33warp_exclusive_scan_reduce_kernelIfLj1ELj61EENSt9enable_ifIXntsr10test_utilsE35device_test_enabled_for_warp_size_vIXT1_EEEvE4typeEPT_S4_S4_S3_ ; -- Begin function _Z33warp_exclusive_scan_reduce_kernelIfLj1ELj61EENSt9enable_ifIXntsr10test_utilsE35device_test_enabled_for_warp_size_vIXT1_EEEvE4typeEPT_S4_S4_S3_
	.globl	_Z33warp_exclusive_scan_reduce_kernelIfLj1ELj61EENSt9enable_ifIXntsr10test_utilsE35device_test_enabled_for_warp_size_vIXT1_EEEvE4typeEPT_S4_S4_S3_
	.p2align	8
	.type	_Z33warp_exclusive_scan_reduce_kernelIfLj1ELj61EENSt9enable_ifIXntsr10test_utilsE35device_test_enabled_for_warp_size_vIXT1_EEEvE4typeEPT_S4_S4_S3_,@function
_Z33warp_exclusive_scan_reduce_kernelIfLj1ELj61EENSt9enable_ifIXntsr10test_utilsE35device_test_enabled_for_warp_size_vIXT1_EEEvE4typeEPT_S4_S4_S3_: ; @_Z33warp_exclusive_scan_reduce_kernelIfLj1ELj61EENSt9enable_ifIXntsr10test_utilsE35device_test_enabled_for_warp_size_vIXT1_EEEvE4typeEPT_S4_S4_S3_
; %bb.0:
	s_endpgm
	.section	.rodata,"a",@progbits
	.p2align	6, 0x0
	.amdhsa_kernel _Z33warp_exclusive_scan_reduce_kernelIfLj1ELj61EENSt9enable_ifIXntsr10test_utilsE35device_test_enabled_for_warp_size_vIXT1_EEEvE4typeEPT_S4_S4_S3_
		.amdhsa_group_segment_fixed_size 0
		.amdhsa_private_segment_fixed_size 0
		.amdhsa_kernarg_size 28
		.amdhsa_user_sgpr_count 15
		.amdhsa_user_sgpr_dispatch_ptr 0
		.amdhsa_user_sgpr_queue_ptr 0
		.amdhsa_user_sgpr_kernarg_segment_ptr 1
		.amdhsa_user_sgpr_dispatch_id 0
		.amdhsa_user_sgpr_private_segment_size 0
		.amdhsa_wavefront_size32 1
		.amdhsa_uses_dynamic_stack 0
		.amdhsa_enable_private_segment 0
		.amdhsa_system_sgpr_workgroup_id_x 1
		.amdhsa_system_sgpr_workgroup_id_y 0
		.amdhsa_system_sgpr_workgroup_id_z 0
		.amdhsa_system_sgpr_workgroup_info 0
		.amdhsa_system_vgpr_workitem_id 0
		.amdhsa_next_free_vgpr 1
		.amdhsa_next_free_sgpr 1
		.amdhsa_reserve_vcc 0
		.amdhsa_float_round_mode_32 0
		.amdhsa_float_round_mode_16_64 0
		.amdhsa_float_denorm_mode_32 3
		.amdhsa_float_denorm_mode_16_64 3
		.amdhsa_dx10_clamp 1
		.amdhsa_ieee_mode 1
		.amdhsa_fp16_overflow 0
		.amdhsa_workgroup_processor_mode 1
		.amdhsa_memory_ordered 1
		.amdhsa_forward_progress 0
		.amdhsa_shared_vgpr_count 0
		.amdhsa_exception_fp_ieee_invalid_op 0
		.amdhsa_exception_fp_denorm_src 0
		.amdhsa_exception_fp_ieee_div_zero 0
		.amdhsa_exception_fp_ieee_overflow 0
		.amdhsa_exception_fp_ieee_underflow 0
		.amdhsa_exception_fp_ieee_inexact 0
		.amdhsa_exception_int_div_zero 0
	.end_amdhsa_kernel
	.section	.text._Z33warp_exclusive_scan_reduce_kernelIfLj1ELj61EENSt9enable_ifIXntsr10test_utilsE35device_test_enabled_for_warp_size_vIXT1_EEEvE4typeEPT_S4_S4_S3_,"axG",@progbits,_Z33warp_exclusive_scan_reduce_kernelIfLj1ELj61EENSt9enable_ifIXntsr10test_utilsE35device_test_enabled_for_warp_size_vIXT1_EEEvE4typeEPT_S4_S4_S3_,comdat
.Lfunc_end168:
	.size	_Z33warp_exclusive_scan_reduce_kernelIfLj1ELj61EENSt9enable_ifIXntsr10test_utilsE35device_test_enabled_for_warp_size_vIXT1_EEEvE4typeEPT_S4_S4_S3_, .Lfunc_end168-_Z33warp_exclusive_scan_reduce_kernelIfLj1ELj61EENSt9enable_ifIXntsr10test_utilsE35device_test_enabled_for_warp_size_vIXT1_EEEvE4typeEPT_S4_S4_S3_
                                        ; -- End function
	.section	.AMDGPU.csdata,"",@progbits
; Kernel info:
; codeLenInByte = 4
; NumSgprs: 0
; NumVgprs: 0
; ScratchSize: 0
; MemoryBound: 0
; FloatMode: 240
; IeeeMode: 1
; LDSByteSize: 0 bytes/workgroup (compile time only)
; SGPRBlocks: 0
; VGPRBlocks: 0
; NumSGPRsForWavesPerEU: 1
; NumVGPRsForWavesPerEU: 1
; Occupancy: 16
; WaveLimiterHint : 0
; COMPUTE_PGM_RSRC2:SCRATCH_EN: 0
; COMPUTE_PGM_RSRC2:USER_SGPR: 15
; COMPUTE_PGM_RSRC2:TRAP_HANDLER: 0
; COMPUTE_PGM_RSRC2:TGID_X_EN: 1
; COMPUTE_PGM_RSRC2:TGID_Y_EN: 0
; COMPUTE_PGM_RSRC2:TGID_Z_EN: 0
; COMPUTE_PGM_RSRC2:TIDIG_COMP_CNT: 0
	.section	.text._Z33warp_exclusive_scan_reduce_kernelIfLj61ELj61EENSt9enable_ifIXntsr10test_utilsE35device_test_enabled_for_warp_size_vIXT1_EEEvE4typeEPT_S4_S4_S3_,"axG",@progbits,_Z33warp_exclusive_scan_reduce_kernelIfLj61ELj61EENSt9enable_ifIXntsr10test_utilsE35device_test_enabled_for_warp_size_vIXT1_EEEvE4typeEPT_S4_S4_S3_,comdat
	.protected	_Z33warp_exclusive_scan_reduce_kernelIfLj61ELj61EENSt9enable_ifIXntsr10test_utilsE35device_test_enabled_for_warp_size_vIXT1_EEEvE4typeEPT_S4_S4_S3_ ; -- Begin function _Z33warp_exclusive_scan_reduce_kernelIfLj61ELj61EENSt9enable_ifIXntsr10test_utilsE35device_test_enabled_for_warp_size_vIXT1_EEEvE4typeEPT_S4_S4_S3_
	.globl	_Z33warp_exclusive_scan_reduce_kernelIfLj61ELj61EENSt9enable_ifIXntsr10test_utilsE35device_test_enabled_for_warp_size_vIXT1_EEEvE4typeEPT_S4_S4_S3_
	.p2align	8
	.type	_Z33warp_exclusive_scan_reduce_kernelIfLj61ELj61EENSt9enable_ifIXntsr10test_utilsE35device_test_enabled_for_warp_size_vIXT1_EEEvE4typeEPT_S4_S4_S3_,@function
_Z33warp_exclusive_scan_reduce_kernelIfLj61ELj61EENSt9enable_ifIXntsr10test_utilsE35device_test_enabled_for_warp_size_vIXT1_EEEvE4typeEPT_S4_S4_S3_: ; @_Z33warp_exclusive_scan_reduce_kernelIfLj61ELj61EENSt9enable_ifIXntsr10test_utilsE35device_test_enabled_for_warp_size_vIXT1_EEEvE4typeEPT_S4_S4_S3_
; %bb.0:
	s_endpgm
	.section	.rodata,"a",@progbits
	.p2align	6, 0x0
	.amdhsa_kernel _Z33warp_exclusive_scan_reduce_kernelIfLj61ELj61EENSt9enable_ifIXntsr10test_utilsE35device_test_enabled_for_warp_size_vIXT1_EEEvE4typeEPT_S4_S4_S3_
		.amdhsa_group_segment_fixed_size 0
		.amdhsa_private_segment_fixed_size 0
		.amdhsa_kernarg_size 28
		.amdhsa_user_sgpr_count 15
		.amdhsa_user_sgpr_dispatch_ptr 0
		.amdhsa_user_sgpr_queue_ptr 0
		.amdhsa_user_sgpr_kernarg_segment_ptr 1
		.amdhsa_user_sgpr_dispatch_id 0
		.amdhsa_user_sgpr_private_segment_size 0
		.amdhsa_wavefront_size32 1
		.amdhsa_uses_dynamic_stack 0
		.amdhsa_enable_private_segment 0
		.amdhsa_system_sgpr_workgroup_id_x 1
		.amdhsa_system_sgpr_workgroup_id_y 0
		.amdhsa_system_sgpr_workgroup_id_z 0
		.amdhsa_system_sgpr_workgroup_info 0
		.amdhsa_system_vgpr_workitem_id 0
		.amdhsa_next_free_vgpr 1
		.amdhsa_next_free_sgpr 1
		.amdhsa_reserve_vcc 0
		.amdhsa_float_round_mode_32 0
		.amdhsa_float_round_mode_16_64 0
		.amdhsa_float_denorm_mode_32 3
		.amdhsa_float_denorm_mode_16_64 3
		.amdhsa_dx10_clamp 1
		.amdhsa_ieee_mode 1
		.amdhsa_fp16_overflow 0
		.amdhsa_workgroup_processor_mode 1
		.amdhsa_memory_ordered 1
		.amdhsa_forward_progress 0
		.amdhsa_shared_vgpr_count 0
		.amdhsa_exception_fp_ieee_invalid_op 0
		.amdhsa_exception_fp_denorm_src 0
		.amdhsa_exception_fp_ieee_div_zero 0
		.amdhsa_exception_fp_ieee_overflow 0
		.amdhsa_exception_fp_ieee_underflow 0
		.amdhsa_exception_fp_ieee_inexact 0
		.amdhsa_exception_int_div_zero 0
	.end_amdhsa_kernel
	.section	.text._Z33warp_exclusive_scan_reduce_kernelIfLj61ELj61EENSt9enable_ifIXntsr10test_utilsE35device_test_enabled_for_warp_size_vIXT1_EEEvE4typeEPT_S4_S4_S3_,"axG",@progbits,_Z33warp_exclusive_scan_reduce_kernelIfLj61ELj61EENSt9enable_ifIXntsr10test_utilsE35device_test_enabled_for_warp_size_vIXT1_EEEvE4typeEPT_S4_S4_S3_,comdat
.Lfunc_end169:
	.size	_Z33warp_exclusive_scan_reduce_kernelIfLj61ELj61EENSt9enable_ifIXntsr10test_utilsE35device_test_enabled_for_warp_size_vIXT1_EEEvE4typeEPT_S4_S4_S3_, .Lfunc_end169-_Z33warp_exclusive_scan_reduce_kernelIfLj61ELj61EENSt9enable_ifIXntsr10test_utilsE35device_test_enabled_for_warp_size_vIXT1_EEEvE4typeEPT_S4_S4_S3_
                                        ; -- End function
	.section	.AMDGPU.csdata,"",@progbits
; Kernel info:
; codeLenInByte = 4
; NumSgprs: 0
; NumVgprs: 0
; ScratchSize: 0
; MemoryBound: 0
; FloatMode: 240
; IeeeMode: 1
; LDSByteSize: 0 bytes/workgroup (compile time only)
; SGPRBlocks: 0
; VGPRBlocks: 0
; NumSGPRsForWavesPerEU: 1
; NumVGPRsForWavesPerEU: 1
; Occupancy: 16
; WaveLimiterHint : 0
; COMPUTE_PGM_RSRC2:SCRATCH_EN: 0
; COMPUTE_PGM_RSRC2:USER_SGPR: 15
; COMPUTE_PGM_RSRC2:TRAP_HANDLER: 0
; COMPUTE_PGM_RSRC2:TGID_X_EN: 1
; COMPUTE_PGM_RSRC2:TGID_Y_EN: 0
; COMPUTE_PGM_RSRC2:TGID_Z_EN: 0
; COMPUTE_PGM_RSRC2:TIDIG_COMP_CNT: 0
	.section	.text._Z33warp_exclusive_scan_reduce_kernelIfLj1ELj37EENSt9enable_ifIXntsr10test_utilsE35device_test_enabled_for_warp_size_vIXT1_EEEvE4typeEPT_S4_S4_S3_,"axG",@progbits,_Z33warp_exclusive_scan_reduce_kernelIfLj1ELj37EENSt9enable_ifIXntsr10test_utilsE35device_test_enabled_for_warp_size_vIXT1_EEEvE4typeEPT_S4_S4_S3_,comdat
	.protected	_Z33warp_exclusive_scan_reduce_kernelIfLj1ELj37EENSt9enable_ifIXntsr10test_utilsE35device_test_enabled_for_warp_size_vIXT1_EEEvE4typeEPT_S4_S4_S3_ ; -- Begin function _Z33warp_exclusive_scan_reduce_kernelIfLj1ELj37EENSt9enable_ifIXntsr10test_utilsE35device_test_enabled_for_warp_size_vIXT1_EEEvE4typeEPT_S4_S4_S3_
	.globl	_Z33warp_exclusive_scan_reduce_kernelIfLj1ELj37EENSt9enable_ifIXntsr10test_utilsE35device_test_enabled_for_warp_size_vIXT1_EEEvE4typeEPT_S4_S4_S3_
	.p2align	8
	.type	_Z33warp_exclusive_scan_reduce_kernelIfLj1ELj37EENSt9enable_ifIXntsr10test_utilsE35device_test_enabled_for_warp_size_vIXT1_EEEvE4typeEPT_S4_S4_S3_,@function
_Z33warp_exclusive_scan_reduce_kernelIfLj1ELj37EENSt9enable_ifIXntsr10test_utilsE35device_test_enabled_for_warp_size_vIXT1_EEEvE4typeEPT_S4_S4_S3_: ; @_Z33warp_exclusive_scan_reduce_kernelIfLj1ELj37EENSt9enable_ifIXntsr10test_utilsE35device_test_enabled_for_warp_size_vIXT1_EEEvE4typeEPT_S4_S4_S3_
; %bb.0:
	s_endpgm
	.section	.rodata,"a",@progbits
	.p2align	6, 0x0
	.amdhsa_kernel _Z33warp_exclusive_scan_reduce_kernelIfLj1ELj37EENSt9enable_ifIXntsr10test_utilsE35device_test_enabled_for_warp_size_vIXT1_EEEvE4typeEPT_S4_S4_S3_
		.amdhsa_group_segment_fixed_size 0
		.amdhsa_private_segment_fixed_size 0
		.amdhsa_kernarg_size 28
		.amdhsa_user_sgpr_count 15
		.amdhsa_user_sgpr_dispatch_ptr 0
		.amdhsa_user_sgpr_queue_ptr 0
		.amdhsa_user_sgpr_kernarg_segment_ptr 1
		.amdhsa_user_sgpr_dispatch_id 0
		.amdhsa_user_sgpr_private_segment_size 0
		.amdhsa_wavefront_size32 1
		.amdhsa_uses_dynamic_stack 0
		.amdhsa_enable_private_segment 0
		.amdhsa_system_sgpr_workgroup_id_x 1
		.amdhsa_system_sgpr_workgroup_id_y 0
		.amdhsa_system_sgpr_workgroup_id_z 0
		.amdhsa_system_sgpr_workgroup_info 0
		.amdhsa_system_vgpr_workitem_id 0
		.amdhsa_next_free_vgpr 1
		.amdhsa_next_free_sgpr 1
		.amdhsa_reserve_vcc 0
		.amdhsa_float_round_mode_32 0
		.amdhsa_float_round_mode_16_64 0
		.amdhsa_float_denorm_mode_32 3
		.amdhsa_float_denorm_mode_16_64 3
		.amdhsa_dx10_clamp 1
		.amdhsa_ieee_mode 1
		.amdhsa_fp16_overflow 0
		.amdhsa_workgroup_processor_mode 1
		.amdhsa_memory_ordered 1
		.amdhsa_forward_progress 0
		.amdhsa_shared_vgpr_count 0
		.amdhsa_exception_fp_ieee_invalid_op 0
		.amdhsa_exception_fp_denorm_src 0
		.amdhsa_exception_fp_ieee_div_zero 0
		.amdhsa_exception_fp_ieee_overflow 0
		.amdhsa_exception_fp_ieee_underflow 0
		.amdhsa_exception_fp_ieee_inexact 0
		.amdhsa_exception_int_div_zero 0
	.end_amdhsa_kernel
	.section	.text._Z33warp_exclusive_scan_reduce_kernelIfLj1ELj37EENSt9enable_ifIXntsr10test_utilsE35device_test_enabled_for_warp_size_vIXT1_EEEvE4typeEPT_S4_S4_S3_,"axG",@progbits,_Z33warp_exclusive_scan_reduce_kernelIfLj1ELj37EENSt9enable_ifIXntsr10test_utilsE35device_test_enabled_for_warp_size_vIXT1_EEEvE4typeEPT_S4_S4_S3_,comdat
.Lfunc_end170:
	.size	_Z33warp_exclusive_scan_reduce_kernelIfLj1ELj37EENSt9enable_ifIXntsr10test_utilsE35device_test_enabled_for_warp_size_vIXT1_EEEvE4typeEPT_S4_S4_S3_, .Lfunc_end170-_Z33warp_exclusive_scan_reduce_kernelIfLj1ELj37EENSt9enable_ifIXntsr10test_utilsE35device_test_enabled_for_warp_size_vIXT1_EEEvE4typeEPT_S4_S4_S3_
                                        ; -- End function
	.section	.AMDGPU.csdata,"",@progbits
; Kernel info:
; codeLenInByte = 4
; NumSgprs: 0
; NumVgprs: 0
; ScratchSize: 0
; MemoryBound: 0
; FloatMode: 240
; IeeeMode: 1
; LDSByteSize: 0 bytes/workgroup (compile time only)
; SGPRBlocks: 0
; VGPRBlocks: 0
; NumSGPRsForWavesPerEU: 1
; NumVGPRsForWavesPerEU: 1
; Occupancy: 16
; WaveLimiterHint : 0
; COMPUTE_PGM_RSRC2:SCRATCH_EN: 0
; COMPUTE_PGM_RSRC2:USER_SGPR: 15
; COMPUTE_PGM_RSRC2:TRAP_HANDLER: 0
; COMPUTE_PGM_RSRC2:TGID_X_EN: 1
; COMPUTE_PGM_RSRC2:TGID_Y_EN: 0
; COMPUTE_PGM_RSRC2:TGID_Z_EN: 0
; COMPUTE_PGM_RSRC2:TIDIG_COMP_CNT: 0
	.section	.text._Z33warp_exclusive_scan_reduce_kernelIfLj37ELj37EENSt9enable_ifIXntsr10test_utilsE35device_test_enabled_for_warp_size_vIXT1_EEEvE4typeEPT_S4_S4_S3_,"axG",@progbits,_Z33warp_exclusive_scan_reduce_kernelIfLj37ELj37EENSt9enable_ifIXntsr10test_utilsE35device_test_enabled_for_warp_size_vIXT1_EEEvE4typeEPT_S4_S4_S3_,comdat
	.protected	_Z33warp_exclusive_scan_reduce_kernelIfLj37ELj37EENSt9enable_ifIXntsr10test_utilsE35device_test_enabled_for_warp_size_vIXT1_EEEvE4typeEPT_S4_S4_S3_ ; -- Begin function _Z33warp_exclusive_scan_reduce_kernelIfLj37ELj37EENSt9enable_ifIXntsr10test_utilsE35device_test_enabled_for_warp_size_vIXT1_EEEvE4typeEPT_S4_S4_S3_
	.globl	_Z33warp_exclusive_scan_reduce_kernelIfLj37ELj37EENSt9enable_ifIXntsr10test_utilsE35device_test_enabled_for_warp_size_vIXT1_EEEvE4typeEPT_S4_S4_S3_
	.p2align	8
	.type	_Z33warp_exclusive_scan_reduce_kernelIfLj37ELj37EENSt9enable_ifIXntsr10test_utilsE35device_test_enabled_for_warp_size_vIXT1_EEEvE4typeEPT_S4_S4_S3_,@function
_Z33warp_exclusive_scan_reduce_kernelIfLj37ELj37EENSt9enable_ifIXntsr10test_utilsE35device_test_enabled_for_warp_size_vIXT1_EEEvE4typeEPT_S4_S4_S3_: ; @_Z33warp_exclusive_scan_reduce_kernelIfLj37ELj37EENSt9enable_ifIXntsr10test_utilsE35device_test_enabled_for_warp_size_vIXT1_EEEvE4typeEPT_S4_S4_S3_
; %bb.0:
	s_endpgm
	.section	.rodata,"a",@progbits
	.p2align	6, 0x0
	.amdhsa_kernel _Z33warp_exclusive_scan_reduce_kernelIfLj37ELj37EENSt9enable_ifIXntsr10test_utilsE35device_test_enabled_for_warp_size_vIXT1_EEEvE4typeEPT_S4_S4_S3_
		.amdhsa_group_segment_fixed_size 0
		.amdhsa_private_segment_fixed_size 0
		.amdhsa_kernarg_size 28
		.amdhsa_user_sgpr_count 15
		.amdhsa_user_sgpr_dispatch_ptr 0
		.amdhsa_user_sgpr_queue_ptr 0
		.amdhsa_user_sgpr_kernarg_segment_ptr 1
		.amdhsa_user_sgpr_dispatch_id 0
		.amdhsa_user_sgpr_private_segment_size 0
		.amdhsa_wavefront_size32 1
		.amdhsa_uses_dynamic_stack 0
		.amdhsa_enable_private_segment 0
		.amdhsa_system_sgpr_workgroup_id_x 1
		.amdhsa_system_sgpr_workgroup_id_y 0
		.amdhsa_system_sgpr_workgroup_id_z 0
		.amdhsa_system_sgpr_workgroup_info 0
		.amdhsa_system_vgpr_workitem_id 0
		.amdhsa_next_free_vgpr 1
		.amdhsa_next_free_sgpr 1
		.amdhsa_reserve_vcc 0
		.amdhsa_float_round_mode_32 0
		.amdhsa_float_round_mode_16_64 0
		.amdhsa_float_denorm_mode_32 3
		.amdhsa_float_denorm_mode_16_64 3
		.amdhsa_dx10_clamp 1
		.amdhsa_ieee_mode 1
		.amdhsa_fp16_overflow 0
		.amdhsa_workgroup_processor_mode 1
		.amdhsa_memory_ordered 1
		.amdhsa_forward_progress 0
		.amdhsa_shared_vgpr_count 0
		.amdhsa_exception_fp_ieee_invalid_op 0
		.amdhsa_exception_fp_denorm_src 0
		.amdhsa_exception_fp_ieee_div_zero 0
		.amdhsa_exception_fp_ieee_overflow 0
		.amdhsa_exception_fp_ieee_underflow 0
		.amdhsa_exception_fp_ieee_inexact 0
		.amdhsa_exception_int_div_zero 0
	.end_amdhsa_kernel
	.section	.text._Z33warp_exclusive_scan_reduce_kernelIfLj37ELj37EENSt9enable_ifIXntsr10test_utilsE35device_test_enabled_for_warp_size_vIXT1_EEEvE4typeEPT_S4_S4_S3_,"axG",@progbits,_Z33warp_exclusive_scan_reduce_kernelIfLj37ELj37EENSt9enable_ifIXntsr10test_utilsE35device_test_enabled_for_warp_size_vIXT1_EEEvE4typeEPT_S4_S4_S3_,comdat
.Lfunc_end171:
	.size	_Z33warp_exclusive_scan_reduce_kernelIfLj37ELj37EENSt9enable_ifIXntsr10test_utilsE35device_test_enabled_for_warp_size_vIXT1_EEEvE4typeEPT_S4_S4_S3_, .Lfunc_end171-_Z33warp_exclusive_scan_reduce_kernelIfLj37ELj37EENSt9enable_ifIXntsr10test_utilsE35device_test_enabled_for_warp_size_vIXT1_EEEvE4typeEPT_S4_S4_S3_
                                        ; -- End function
	.section	.AMDGPU.csdata,"",@progbits
; Kernel info:
; codeLenInByte = 4
; NumSgprs: 0
; NumVgprs: 0
; ScratchSize: 0
; MemoryBound: 0
; FloatMode: 240
; IeeeMode: 1
; LDSByteSize: 0 bytes/workgroup (compile time only)
; SGPRBlocks: 0
; VGPRBlocks: 0
; NumSGPRsForWavesPerEU: 1
; NumVGPRsForWavesPerEU: 1
; Occupancy: 16
; WaveLimiterHint : 0
; COMPUTE_PGM_RSRC2:SCRATCH_EN: 0
; COMPUTE_PGM_RSRC2:USER_SGPR: 15
; COMPUTE_PGM_RSRC2:TRAP_HANDLER: 0
; COMPUTE_PGM_RSRC2:TGID_X_EN: 1
; COMPUTE_PGM_RSRC2:TGID_Y_EN: 0
; COMPUTE_PGM_RSRC2:TGID_Z_EN: 0
; COMPUTE_PGM_RSRC2:TIDIG_COMP_CNT: 0
	.section	.text._Z33warp_exclusive_scan_reduce_kernelIfLj30ELj15EENSt9enable_ifIXsr10test_utilsE35device_test_enabled_for_warp_size_vIXT1_EEEvE4typeEPT_S4_S4_S3_,"axG",@progbits,_Z33warp_exclusive_scan_reduce_kernelIfLj30ELj15EENSt9enable_ifIXsr10test_utilsE35device_test_enabled_for_warp_size_vIXT1_EEEvE4typeEPT_S4_S4_S3_,comdat
	.protected	_Z33warp_exclusive_scan_reduce_kernelIfLj30ELj15EENSt9enable_ifIXsr10test_utilsE35device_test_enabled_for_warp_size_vIXT1_EEEvE4typeEPT_S4_S4_S3_ ; -- Begin function _Z33warp_exclusive_scan_reduce_kernelIfLj30ELj15EENSt9enable_ifIXsr10test_utilsE35device_test_enabled_for_warp_size_vIXT1_EEEvE4typeEPT_S4_S4_S3_
	.globl	_Z33warp_exclusive_scan_reduce_kernelIfLj30ELj15EENSt9enable_ifIXsr10test_utilsE35device_test_enabled_for_warp_size_vIXT1_EEEvE4typeEPT_S4_S4_S3_
	.p2align	8
	.type	_Z33warp_exclusive_scan_reduce_kernelIfLj30ELj15EENSt9enable_ifIXsr10test_utilsE35device_test_enabled_for_warp_size_vIXT1_EEEvE4typeEPT_S4_S4_S3_,@function
_Z33warp_exclusive_scan_reduce_kernelIfLj30ELj15EENSt9enable_ifIXsr10test_utilsE35device_test_enabled_for_warp_size_vIXT1_EEEvE4typeEPT_S4_S4_S3_: ; @_Z33warp_exclusive_scan_reduce_kernelIfLj30ELj15EENSt9enable_ifIXsr10test_utilsE35device_test_enabled_for_warp_size_vIXT1_EEEvE4typeEPT_S4_S4_S3_
; %bb.0:
	s_clause 0x1
	s_load_b32 s2, s[0:1], 0x2c
	s_load_b128 s[4:7], s[0:1], 0x0
	v_mul_u32_u24_e32 v7, 0x1112, v0
	s_waitcnt lgkmcnt(0)
	s_and_b32 s2, s2, 0xffff
	s_delay_alu instid0(SALU_CYCLE_1) | instskip(SKIP_1) | instid1(VALU_DEP_1)
	v_mad_u64_u32 v[1:2], null, s15, s2, v[0:1]
	v_mov_b32_e32 v2, 0
	v_lshlrev_b64 v[2:3], 2, v[1:2]
	s_delay_alu instid0(VALU_DEP_1) | instskip(NEXT) | instid1(VALU_DEP_2)
	v_add_co_u32 v4, vcc_lo, s4, v2
	v_add_co_ci_u32_e32 v5, vcc_lo, s5, v3, vcc_lo
	global_load_b32 v6, v[4:5], off
	v_mbcnt_lo_u32_b32 v4, -1, 0
	s_delay_alu instid0(VALU_DEP_1) | instskip(NEXT) | instid1(VALU_DEP_1)
	v_mul_hi_u32 v5, 0x11111112, v4
	v_mul_u32_u24_e32 v5, 15, v5
	s_delay_alu instid0(VALU_DEP_1) | instskip(SKIP_1) | instid1(VALU_DEP_2)
	v_sub_nc_u32_e32 v8, v4, v5
	v_lshrrev_b32_e32 v4, 16, v7
	v_lshlrev_b32_e32 v5, 2, v8
	v_cmp_ne_u32_e32 vcc_lo, 0, v8
	s_delay_alu instid0(VALU_DEP_2) | instskip(NEXT) | instid1(VALU_DEP_1)
	v_mad_u32_u24 v7, v4, 60, v5
	v_add_nc_u32_e32 v5, -4, v7
	s_waitcnt vmcnt(0)
	ds_store_b32 v7, v6
	; wave barrier
	s_and_saveexec_b32 s2, vcc_lo
	s_cbranch_execz .LBB172_2
; %bb.1:
	ds_load_b32 v9, v5
	s_waitcnt lgkmcnt(0)
	v_add_f32_e32 v6, v6, v9
.LBB172_2:
	s_or_b32 exec_lo, exec_lo, s2
	; wave barrier
	s_and_saveexec_b32 s2, vcc_lo
	s_cbranch_execz .LBB172_4
; %bb.3:
	ds_store_b32 v7, v6
.LBB172_4:
	s_or_b32 exec_lo, exec_lo, s2
	v_cmp_lt_u32_e64 s2, 1, v8
	; wave barrier
	s_delay_alu instid0(VALU_DEP_1)
	s_and_saveexec_b32 s3, s2
	s_cbranch_execz .LBB172_6
; %bb.5:
	v_add_nc_u32_e32 v9, -8, v7
	ds_load_b32 v9, v9
	s_waitcnt lgkmcnt(0)
	v_add_f32_e32 v6, v6, v9
.LBB172_6:
	s_or_b32 exec_lo, exec_lo, s3
	; wave barrier
	s_and_saveexec_b32 s3, s2
	s_cbranch_execz .LBB172_8
; %bb.7:
	ds_store_b32 v7, v6
.LBB172_8:
	s_or_b32 exec_lo, exec_lo, s3
	v_cmp_lt_u32_e64 s2, 3, v8
	; wave barrier
	s_delay_alu instid0(VALU_DEP_1)
	s_and_saveexec_b32 s3, s2
	s_cbranch_execz .LBB172_10
; %bb.9:
	v_add_nc_u32_e32 v9, -16, v7
	ds_load_b32 v9, v9
	s_waitcnt lgkmcnt(0)
	v_add_f32_e32 v6, v6, v9
.LBB172_10:
	s_or_b32 exec_lo, exec_lo, s3
	; wave barrier
	s_and_saveexec_b32 s3, s2
	s_cbranch_execz .LBB172_12
; %bb.11:
	ds_store_b32 v7, v6
.LBB172_12:
	s_or_b32 exec_lo, exec_lo, s3
	s_load_b64 s[4:5], s[0:1], 0x10
	v_cmp_lt_u32_e64 s2, 7, v8
	; wave barrier
	s_delay_alu instid0(VALU_DEP_1)
	s_and_saveexec_b32 s3, s2
	s_cbranch_execz .LBB172_14
; %bb.13:
	v_subrev_nc_u32_e32 v8, 32, v7
	ds_load_b32 v8, v8
	s_waitcnt lgkmcnt(0)
	v_add_f32_e32 v6, v6, v8
.LBB172_14:
	s_or_b32 exec_lo, exec_lo, s3
	v_mul_u32_u24_e32 v8, 60, v4
	; wave barrier
	s_and_saveexec_b32 s3, s2
	s_cbranch_execz .LBB172_16
; %bb.15:
	ds_store_b32 v7, v6
.LBB172_16:
	s_or_b32 exec_lo, exec_lo, s3
	s_load_b32 s0, s[0:1], 0x18
	; wave barrier
	ds_load_b32 v6, v8 offset:56
	s_waitcnt lgkmcnt(0)
	v_mov_b32_e32 v7, s0
	s_and_saveexec_b32 s1, vcc_lo
	s_cbranch_execz .LBB172_18
; %bb.17:
	ds_load_b32 v5, v5
	s_waitcnt lgkmcnt(0)
	v_add_f32_e32 v7, s0, v5
.LBB172_18:
	s_or_b32 exec_lo, exec_lo, s1
	v_mul_lo_u16 v4, v4, 15
	v_add_co_u32 v2, vcc_lo, s6, v2
	v_add_co_ci_u32_e32 v3, vcc_lo, s7, v3, vcc_lo
	s_delay_alu instid0(VALU_DEP_3)
	v_sub_nc_u16 v0, v0, v4
	s_mov_b32 s0, exec_lo
	global_store_b32 v[2:3], v7, off
	v_cmpx_eq_u16_e32 0, v0
	s_cbranch_execz .LBB172_20
; %bb.19:
	v_mul_hi_u32 v0, 0x88888889, v1
	s_delay_alu instid0(VALU_DEP_1) | instskip(NEXT) | instid1(VALU_DEP_1)
	v_lshrrev_b32_e32 v0, 1, v0
	v_and_b32_e32 v0, 0x7ffffffc, v0
	global_store_b32 v0, v6, s[4:5]
.LBB172_20:
	s_nop 0
	s_sendmsg sendmsg(MSG_DEALLOC_VGPRS)
	s_endpgm
	.section	.rodata,"a",@progbits
	.p2align	6, 0x0
	.amdhsa_kernel _Z33warp_exclusive_scan_reduce_kernelIfLj30ELj15EENSt9enable_ifIXsr10test_utilsE35device_test_enabled_for_warp_size_vIXT1_EEEvE4typeEPT_S4_S4_S3_
		.amdhsa_group_segment_fixed_size 120
		.amdhsa_private_segment_fixed_size 0
		.amdhsa_kernarg_size 288
		.amdhsa_user_sgpr_count 15
		.amdhsa_user_sgpr_dispatch_ptr 0
		.amdhsa_user_sgpr_queue_ptr 0
		.amdhsa_user_sgpr_kernarg_segment_ptr 1
		.amdhsa_user_sgpr_dispatch_id 0
		.amdhsa_user_sgpr_private_segment_size 0
		.amdhsa_wavefront_size32 1
		.amdhsa_uses_dynamic_stack 0
		.amdhsa_enable_private_segment 0
		.amdhsa_system_sgpr_workgroup_id_x 1
		.amdhsa_system_sgpr_workgroup_id_y 0
		.amdhsa_system_sgpr_workgroup_id_z 0
		.amdhsa_system_sgpr_workgroup_info 0
		.amdhsa_system_vgpr_workitem_id 0
		.amdhsa_next_free_vgpr 10
		.amdhsa_next_free_sgpr 16
		.amdhsa_reserve_vcc 1
		.amdhsa_float_round_mode_32 0
		.amdhsa_float_round_mode_16_64 0
		.amdhsa_float_denorm_mode_32 3
		.amdhsa_float_denorm_mode_16_64 3
		.amdhsa_dx10_clamp 1
		.amdhsa_ieee_mode 1
		.amdhsa_fp16_overflow 0
		.amdhsa_workgroup_processor_mode 1
		.amdhsa_memory_ordered 1
		.amdhsa_forward_progress 0
		.amdhsa_shared_vgpr_count 0
		.amdhsa_exception_fp_ieee_invalid_op 0
		.amdhsa_exception_fp_denorm_src 0
		.amdhsa_exception_fp_ieee_div_zero 0
		.amdhsa_exception_fp_ieee_overflow 0
		.amdhsa_exception_fp_ieee_underflow 0
		.amdhsa_exception_fp_ieee_inexact 0
		.amdhsa_exception_int_div_zero 0
	.end_amdhsa_kernel
	.section	.text._Z33warp_exclusive_scan_reduce_kernelIfLj30ELj15EENSt9enable_ifIXsr10test_utilsE35device_test_enabled_for_warp_size_vIXT1_EEEvE4typeEPT_S4_S4_S3_,"axG",@progbits,_Z33warp_exclusive_scan_reduce_kernelIfLj30ELj15EENSt9enable_ifIXsr10test_utilsE35device_test_enabled_for_warp_size_vIXT1_EEEvE4typeEPT_S4_S4_S3_,comdat
.Lfunc_end172:
	.size	_Z33warp_exclusive_scan_reduce_kernelIfLj30ELj15EENSt9enable_ifIXsr10test_utilsE35device_test_enabled_for_warp_size_vIXT1_EEEvE4typeEPT_S4_S4_S3_, .Lfunc_end172-_Z33warp_exclusive_scan_reduce_kernelIfLj30ELj15EENSt9enable_ifIXsr10test_utilsE35device_test_enabled_for_warp_size_vIXT1_EEEvE4typeEPT_S4_S4_S3_
                                        ; -- End function
	.section	.AMDGPU.csdata,"",@progbits
; Kernel info:
; codeLenInByte = 568
; NumSgprs: 18
; NumVgprs: 10
; ScratchSize: 0
; MemoryBound: 0
; FloatMode: 240
; IeeeMode: 1
; LDSByteSize: 120 bytes/workgroup (compile time only)
; SGPRBlocks: 2
; VGPRBlocks: 1
; NumSGPRsForWavesPerEU: 18
; NumVGPRsForWavesPerEU: 10
; Occupancy: 16
; WaveLimiterHint : 0
; COMPUTE_PGM_RSRC2:SCRATCH_EN: 0
; COMPUTE_PGM_RSRC2:USER_SGPR: 15
; COMPUTE_PGM_RSRC2:TRAP_HANDLER: 0
; COMPUTE_PGM_RSRC2:TGID_X_EN: 1
; COMPUTE_PGM_RSRC2:TGID_Y_EN: 0
; COMPUTE_PGM_RSRC2:TGID_Z_EN: 0
; COMPUTE_PGM_RSRC2:TIDIG_COMP_CNT: 0
	.section	.text._Z33warp_exclusive_scan_reduce_kernelIfLj60ELj15EENSt9enable_ifIXsr10test_utilsE35device_test_enabled_for_warp_size_vIXT1_EEEvE4typeEPT_S4_S4_S3_,"axG",@progbits,_Z33warp_exclusive_scan_reduce_kernelIfLj60ELj15EENSt9enable_ifIXsr10test_utilsE35device_test_enabled_for_warp_size_vIXT1_EEEvE4typeEPT_S4_S4_S3_,comdat
	.protected	_Z33warp_exclusive_scan_reduce_kernelIfLj60ELj15EENSt9enable_ifIXsr10test_utilsE35device_test_enabled_for_warp_size_vIXT1_EEEvE4typeEPT_S4_S4_S3_ ; -- Begin function _Z33warp_exclusive_scan_reduce_kernelIfLj60ELj15EENSt9enable_ifIXsr10test_utilsE35device_test_enabled_for_warp_size_vIXT1_EEEvE4typeEPT_S4_S4_S3_
	.globl	_Z33warp_exclusive_scan_reduce_kernelIfLj60ELj15EENSt9enable_ifIXsr10test_utilsE35device_test_enabled_for_warp_size_vIXT1_EEEvE4typeEPT_S4_S4_S3_
	.p2align	8
	.type	_Z33warp_exclusive_scan_reduce_kernelIfLj60ELj15EENSt9enable_ifIXsr10test_utilsE35device_test_enabled_for_warp_size_vIXT1_EEEvE4typeEPT_S4_S4_S3_,@function
_Z33warp_exclusive_scan_reduce_kernelIfLj60ELj15EENSt9enable_ifIXsr10test_utilsE35device_test_enabled_for_warp_size_vIXT1_EEEvE4typeEPT_S4_S4_S3_: ; @_Z33warp_exclusive_scan_reduce_kernelIfLj60ELj15EENSt9enable_ifIXsr10test_utilsE35device_test_enabled_for_warp_size_vIXT1_EEEvE4typeEPT_S4_S4_S3_
; %bb.0:
	s_clause 0x1
	s_load_b32 s2, s[0:1], 0x2c
	s_load_b128 s[4:7], s[0:1], 0x0
	v_mul_u32_u24_e32 v7, 0x1112, v0
	s_waitcnt lgkmcnt(0)
	s_and_b32 s2, s2, 0xffff
	s_delay_alu instid0(SALU_CYCLE_1) | instskip(SKIP_1) | instid1(VALU_DEP_1)
	v_mad_u64_u32 v[1:2], null, s15, s2, v[0:1]
	v_mov_b32_e32 v2, 0
	v_lshlrev_b64 v[2:3], 2, v[1:2]
	s_delay_alu instid0(VALU_DEP_1) | instskip(NEXT) | instid1(VALU_DEP_2)
	v_add_co_u32 v4, vcc_lo, s4, v2
	v_add_co_ci_u32_e32 v5, vcc_lo, s5, v3, vcc_lo
	global_load_b32 v6, v[4:5], off
	v_mbcnt_lo_u32_b32 v4, -1, 0
	s_delay_alu instid0(VALU_DEP_1) | instskip(NEXT) | instid1(VALU_DEP_1)
	v_mul_hi_u32 v5, 0x11111112, v4
	v_mul_u32_u24_e32 v5, 15, v5
	s_delay_alu instid0(VALU_DEP_1) | instskip(SKIP_1) | instid1(VALU_DEP_2)
	v_sub_nc_u32_e32 v8, v4, v5
	v_lshrrev_b32_e32 v4, 16, v7
	v_lshlrev_b32_e32 v5, 2, v8
	v_cmp_ne_u32_e32 vcc_lo, 0, v8
	s_delay_alu instid0(VALU_DEP_2) | instskip(NEXT) | instid1(VALU_DEP_1)
	v_mad_u32_u24 v7, v4, 60, v5
	v_add_nc_u32_e32 v5, -4, v7
	s_waitcnt vmcnt(0)
	ds_store_b32 v7, v6
	; wave barrier
	s_and_saveexec_b32 s2, vcc_lo
	s_cbranch_execz .LBB173_2
; %bb.1:
	ds_load_b32 v9, v5
	s_waitcnt lgkmcnt(0)
	v_add_f32_e32 v6, v6, v9
.LBB173_2:
	s_or_b32 exec_lo, exec_lo, s2
	; wave barrier
	s_and_saveexec_b32 s2, vcc_lo
	s_cbranch_execz .LBB173_4
; %bb.3:
	ds_store_b32 v7, v6
.LBB173_4:
	s_or_b32 exec_lo, exec_lo, s2
	v_cmp_lt_u32_e64 s2, 1, v8
	; wave barrier
	s_delay_alu instid0(VALU_DEP_1)
	s_and_saveexec_b32 s3, s2
	s_cbranch_execz .LBB173_6
; %bb.5:
	v_add_nc_u32_e32 v9, -8, v7
	ds_load_b32 v9, v9
	s_waitcnt lgkmcnt(0)
	v_add_f32_e32 v6, v6, v9
.LBB173_6:
	s_or_b32 exec_lo, exec_lo, s3
	; wave barrier
	s_and_saveexec_b32 s3, s2
	s_cbranch_execz .LBB173_8
; %bb.7:
	ds_store_b32 v7, v6
.LBB173_8:
	s_or_b32 exec_lo, exec_lo, s3
	v_cmp_lt_u32_e64 s2, 3, v8
	; wave barrier
	s_delay_alu instid0(VALU_DEP_1)
	s_and_saveexec_b32 s3, s2
	s_cbranch_execz .LBB173_10
; %bb.9:
	v_add_nc_u32_e32 v9, -16, v7
	ds_load_b32 v9, v9
	s_waitcnt lgkmcnt(0)
	v_add_f32_e32 v6, v6, v9
.LBB173_10:
	s_or_b32 exec_lo, exec_lo, s3
	; wave barrier
	s_and_saveexec_b32 s3, s2
	s_cbranch_execz .LBB173_12
; %bb.11:
	ds_store_b32 v7, v6
.LBB173_12:
	s_or_b32 exec_lo, exec_lo, s3
	s_load_b64 s[4:5], s[0:1], 0x10
	v_cmp_lt_u32_e64 s2, 7, v8
	; wave barrier
	s_delay_alu instid0(VALU_DEP_1)
	s_and_saveexec_b32 s3, s2
	s_cbranch_execz .LBB173_14
; %bb.13:
	v_subrev_nc_u32_e32 v8, 32, v7
	ds_load_b32 v8, v8
	s_waitcnt lgkmcnt(0)
	v_add_f32_e32 v6, v6, v8
.LBB173_14:
	s_or_b32 exec_lo, exec_lo, s3
	v_mul_u32_u24_e32 v8, 60, v4
	; wave barrier
	s_and_saveexec_b32 s3, s2
	s_cbranch_execz .LBB173_16
; %bb.15:
	ds_store_b32 v7, v6
.LBB173_16:
	s_or_b32 exec_lo, exec_lo, s3
	s_load_b32 s0, s[0:1], 0x18
	; wave barrier
	ds_load_b32 v6, v8 offset:56
	s_waitcnt lgkmcnt(0)
	v_mov_b32_e32 v7, s0
	s_and_saveexec_b32 s1, vcc_lo
	s_cbranch_execz .LBB173_18
; %bb.17:
	ds_load_b32 v5, v5
	s_waitcnt lgkmcnt(0)
	v_add_f32_e32 v7, s0, v5
.LBB173_18:
	s_or_b32 exec_lo, exec_lo, s1
	v_mul_lo_u16 v4, v4, 15
	v_add_co_u32 v2, vcc_lo, s6, v2
	v_add_co_ci_u32_e32 v3, vcc_lo, s7, v3, vcc_lo
	s_delay_alu instid0(VALU_DEP_3)
	v_sub_nc_u16 v0, v0, v4
	s_mov_b32 s0, exec_lo
	global_store_b32 v[2:3], v7, off
	v_cmpx_eq_u16_e32 0, v0
	s_cbranch_execz .LBB173_20
; %bb.19:
	v_mul_hi_u32 v0, 0x88888889, v1
	s_delay_alu instid0(VALU_DEP_1) | instskip(NEXT) | instid1(VALU_DEP_1)
	v_lshrrev_b32_e32 v0, 1, v0
	v_and_b32_e32 v0, 0x7ffffffc, v0
	global_store_b32 v0, v6, s[4:5]
.LBB173_20:
	s_nop 0
	s_sendmsg sendmsg(MSG_DEALLOC_VGPRS)
	s_endpgm
	.section	.rodata,"a",@progbits
	.p2align	6, 0x0
	.amdhsa_kernel _Z33warp_exclusive_scan_reduce_kernelIfLj60ELj15EENSt9enable_ifIXsr10test_utilsE35device_test_enabled_for_warp_size_vIXT1_EEEvE4typeEPT_S4_S4_S3_
		.amdhsa_group_segment_fixed_size 240
		.amdhsa_private_segment_fixed_size 0
		.amdhsa_kernarg_size 288
		.amdhsa_user_sgpr_count 15
		.amdhsa_user_sgpr_dispatch_ptr 0
		.amdhsa_user_sgpr_queue_ptr 0
		.amdhsa_user_sgpr_kernarg_segment_ptr 1
		.amdhsa_user_sgpr_dispatch_id 0
		.amdhsa_user_sgpr_private_segment_size 0
		.amdhsa_wavefront_size32 1
		.amdhsa_uses_dynamic_stack 0
		.amdhsa_enable_private_segment 0
		.amdhsa_system_sgpr_workgroup_id_x 1
		.amdhsa_system_sgpr_workgroup_id_y 0
		.amdhsa_system_sgpr_workgroup_id_z 0
		.amdhsa_system_sgpr_workgroup_info 0
		.amdhsa_system_vgpr_workitem_id 0
		.amdhsa_next_free_vgpr 10
		.amdhsa_next_free_sgpr 16
		.amdhsa_reserve_vcc 1
		.amdhsa_float_round_mode_32 0
		.amdhsa_float_round_mode_16_64 0
		.amdhsa_float_denorm_mode_32 3
		.amdhsa_float_denorm_mode_16_64 3
		.amdhsa_dx10_clamp 1
		.amdhsa_ieee_mode 1
		.amdhsa_fp16_overflow 0
		.amdhsa_workgroup_processor_mode 1
		.amdhsa_memory_ordered 1
		.amdhsa_forward_progress 0
		.amdhsa_shared_vgpr_count 0
		.amdhsa_exception_fp_ieee_invalid_op 0
		.amdhsa_exception_fp_denorm_src 0
		.amdhsa_exception_fp_ieee_div_zero 0
		.amdhsa_exception_fp_ieee_overflow 0
		.amdhsa_exception_fp_ieee_underflow 0
		.amdhsa_exception_fp_ieee_inexact 0
		.amdhsa_exception_int_div_zero 0
	.end_amdhsa_kernel
	.section	.text._Z33warp_exclusive_scan_reduce_kernelIfLj60ELj15EENSt9enable_ifIXsr10test_utilsE35device_test_enabled_for_warp_size_vIXT1_EEEvE4typeEPT_S4_S4_S3_,"axG",@progbits,_Z33warp_exclusive_scan_reduce_kernelIfLj60ELj15EENSt9enable_ifIXsr10test_utilsE35device_test_enabled_for_warp_size_vIXT1_EEEvE4typeEPT_S4_S4_S3_,comdat
.Lfunc_end173:
	.size	_Z33warp_exclusive_scan_reduce_kernelIfLj60ELj15EENSt9enable_ifIXsr10test_utilsE35device_test_enabled_for_warp_size_vIXT1_EEEvE4typeEPT_S4_S4_S3_, .Lfunc_end173-_Z33warp_exclusive_scan_reduce_kernelIfLj60ELj15EENSt9enable_ifIXsr10test_utilsE35device_test_enabled_for_warp_size_vIXT1_EEEvE4typeEPT_S4_S4_S3_
                                        ; -- End function
	.section	.AMDGPU.csdata,"",@progbits
; Kernel info:
; codeLenInByte = 568
; NumSgprs: 18
; NumVgprs: 10
; ScratchSize: 0
; MemoryBound: 0
; FloatMode: 240
; IeeeMode: 1
; LDSByteSize: 240 bytes/workgroup (compile time only)
; SGPRBlocks: 2
; VGPRBlocks: 1
; NumSGPRsForWavesPerEU: 18
; NumVGPRsForWavesPerEU: 10
; Occupancy: 16
; WaveLimiterHint : 0
; COMPUTE_PGM_RSRC2:SCRATCH_EN: 0
; COMPUTE_PGM_RSRC2:USER_SGPR: 15
; COMPUTE_PGM_RSRC2:TRAP_HANDLER: 0
; COMPUTE_PGM_RSRC2:TGID_X_EN: 1
; COMPUTE_PGM_RSRC2:TGID_Y_EN: 0
; COMPUTE_PGM_RSRC2:TGID_Z_EN: 0
; COMPUTE_PGM_RSRC2:TIDIG_COMP_CNT: 0
	.section	.text._Z33warp_exclusive_scan_reduce_kernelIfLj28ELj7EENSt9enable_ifIXsr10test_utilsE35device_test_enabled_for_warp_size_vIXT1_EEEvE4typeEPT_S4_S4_S3_,"axG",@progbits,_Z33warp_exclusive_scan_reduce_kernelIfLj28ELj7EENSt9enable_ifIXsr10test_utilsE35device_test_enabled_for_warp_size_vIXT1_EEEvE4typeEPT_S4_S4_S3_,comdat
	.protected	_Z33warp_exclusive_scan_reduce_kernelIfLj28ELj7EENSt9enable_ifIXsr10test_utilsE35device_test_enabled_for_warp_size_vIXT1_EEEvE4typeEPT_S4_S4_S3_ ; -- Begin function _Z33warp_exclusive_scan_reduce_kernelIfLj28ELj7EENSt9enable_ifIXsr10test_utilsE35device_test_enabled_for_warp_size_vIXT1_EEEvE4typeEPT_S4_S4_S3_
	.globl	_Z33warp_exclusive_scan_reduce_kernelIfLj28ELj7EENSt9enable_ifIXsr10test_utilsE35device_test_enabled_for_warp_size_vIXT1_EEEvE4typeEPT_S4_S4_S3_
	.p2align	8
	.type	_Z33warp_exclusive_scan_reduce_kernelIfLj28ELj7EENSt9enable_ifIXsr10test_utilsE35device_test_enabled_for_warp_size_vIXT1_EEEvE4typeEPT_S4_S4_S3_,@function
_Z33warp_exclusive_scan_reduce_kernelIfLj28ELj7EENSt9enable_ifIXsr10test_utilsE35device_test_enabled_for_warp_size_vIXT1_EEEvE4typeEPT_S4_S4_S3_: ; @_Z33warp_exclusive_scan_reduce_kernelIfLj28ELj7EENSt9enable_ifIXsr10test_utilsE35device_test_enabled_for_warp_size_vIXT1_EEEvE4typeEPT_S4_S4_S3_
; %bb.0:
	s_clause 0x1
	s_load_b32 s2, s[0:1], 0x2c
	s_load_b128 s[4:7], s[0:1], 0x0
	v_mul_u32_u24_e32 v7, 0x2493, v0
	s_waitcnt lgkmcnt(0)
	s_and_b32 s2, s2, 0xffff
	s_delay_alu instid0(SALU_CYCLE_1) | instskip(SKIP_1) | instid1(VALU_DEP_1)
	v_mad_u64_u32 v[1:2], null, s15, s2, v[0:1]
	v_mov_b32_e32 v2, 0
	v_lshlrev_b64 v[2:3], 2, v[1:2]
	s_delay_alu instid0(VALU_DEP_1) | instskip(NEXT) | instid1(VALU_DEP_2)
	v_add_co_u32 v4, vcc_lo, s4, v2
	v_add_co_ci_u32_e32 v5, vcc_lo, s5, v3, vcc_lo
	global_load_b32 v6, v[4:5], off
	v_mbcnt_lo_u32_b32 v4, -1, 0
	s_delay_alu instid0(VALU_DEP_1) | instskip(NEXT) | instid1(VALU_DEP_1)
	v_mul_hi_u32 v5, 0x24924925, v4
	v_mul_u32_u24_e32 v5, 7, v5
	s_delay_alu instid0(VALU_DEP_1) | instskip(SKIP_1) | instid1(VALU_DEP_2)
	v_sub_nc_u32_e32 v8, v4, v5
	v_lshrrev_b32_e32 v4, 16, v7
	v_lshlrev_b32_e32 v5, 2, v8
	v_cmp_ne_u32_e32 vcc_lo, 0, v8
	s_delay_alu instid0(VALU_DEP_2) | instskip(NEXT) | instid1(VALU_DEP_1)
	v_mad_u32_u24 v7, v4, 28, v5
	v_add_nc_u32_e32 v5, -4, v7
	s_waitcnt vmcnt(0)
	ds_store_b32 v7, v6
	; wave barrier
	s_and_saveexec_b32 s2, vcc_lo
	s_cbranch_execz .LBB174_2
; %bb.1:
	ds_load_b32 v9, v5
	s_waitcnt lgkmcnt(0)
	v_add_f32_e32 v6, v6, v9
.LBB174_2:
	s_or_b32 exec_lo, exec_lo, s2
	; wave barrier
	s_and_saveexec_b32 s2, vcc_lo
	s_cbranch_execz .LBB174_4
; %bb.3:
	ds_store_b32 v7, v6
.LBB174_4:
	s_or_b32 exec_lo, exec_lo, s2
	v_cmp_lt_u32_e64 s2, 1, v8
	; wave barrier
	s_delay_alu instid0(VALU_DEP_1)
	s_and_saveexec_b32 s3, s2
	s_cbranch_execz .LBB174_6
; %bb.5:
	v_add_nc_u32_e32 v9, -8, v7
	ds_load_b32 v9, v9
	s_waitcnt lgkmcnt(0)
	v_add_f32_e32 v6, v6, v9
.LBB174_6:
	s_or_b32 exec_lo, exec_lo, s3
	; wave barrier
	s_and_saveexec_b32 s3, s2
	s_cbranch_execz .LBB174_8
; %bb.7:
	ds_store_b32 v7, v6
.LBB174_8:
	s_or_b32 exec_lo, exec_lo, s3
	s_load_b64 s[4:5], s[0:1], 0x10
	v_cmp_lt_u32_e64 s2, 3, v8
	; wave barrier
	s_delay_alu instid0(VALU_DEP_1)
	s_and_saveexec_b32 s3, s2
	s_cbranch_execz .LBB174_10
; %bb.9:
	v_add_nc_u32_e32 v8, -16, v7
	ds_load_b32 v8, v8
	s_waitcnt lgkmcnt(0)
	v_add_f32_e32 v6, v6, v8
.LBB174_10:
	s_or_b32 exec_lo, exec_lo, s3
	v_mul_u32_u24_e32 v8, 28, v4
	; wave barrier
	s_and_saveexec_b32 s3, s2
	s_cbranch_execz .LBB174_12
; %bb.11:
	ds_store_b32 v7, v6
.LBB174_12:
	s_or_b32 exec_lo, exec_lo, s3
	s_load_b32 s0, s[0:1], 0x18
	; wave barrier
	ds_load_b32 v6, v8 offset:24
	s_waitcnt lgkmcnt(0)
	v_mov_b32_e32 v7, s0
	s_and_saveexec_b32 s1, vcc_lo
	s_cbranch_execz .LBB174_14
; %bb.13:
	ds_load_b32 v5, v5
	s_waitcnt lgkmcnt(0)
	v_add_f32_e32 v7, s0, v5
.LBB174_14:
	s_or_b32 exec_lo, exec_lo, s1
	v_mul_lo_u16 v4, v4, 7
	v_add_co_u32 v2, vcc_lo, s6, v2
	v_add_co_ci_u32_e32 v3, vcc_lo, s7, v3, vcc_lo
	s_delay_alu instid0(VALU_DEP_3)
	v_sub_nc_u16 v0, v0, v4
	s_mov_b32 s0, exec_lo
	global_store_b32 v[2:3], v7, off
	v_cmpx_eq_u16_e32 0, v0
	s_cbranch_execz .LBB174_16
; %bb.15:
	v_mul_hi_u32 v0, 0x24924925, v1
	s_delay_alu instid0(VALU_DEP_1) | instskip(NEXT) | instid1(VALU_DEP_1)
	v_sub_nc_u32_e32 v1, v1, v0
	v_lshrrev_b32_e32 v1, 1, v1
	s_delay_alu instid0(VALU_DEP_1) | instskip(NEXT) | instid1(VALU_DEP_1)
	v_add_nc_u32_e32 v0, v1, v0
	v_and_b32_e32 v0, -4, v0
	global_store_b32 v0, v6, s[4:5]
.LBB174_16:
	s_nop 0
	s_sendmsg sendmsg(MSG_DEALLOC_VGPRS)
	s_endpgm
	.section	.rodata,"a",@progbits
	.p2align	6, 0x0
	.amdhsa_kernel _Z33warp_exclusive_scan_reduce_kernelIfLj28ELj7EENSt9enable_ifIXsr10test_utilsE35device_test_enabled_for_warp_size_vIXT1_EEEvE4typeEPT_S4_S4_S3_
		.amdhsa_group_segment_fixed_size 112
		.amdhsa_private_segment_fixed_size 0
		.amdhsa_kernarg_size 288
		.amdhsa_user_sgpr_count 15
		.amdhsa_user_sgpr_dispatch_ptr 0
		.amdhsa_user_sgpr_queue_ptr 0
		.amdhsa_user_sgpr_kernarg_segment_ptr 1
		.amdhsa_user_sgpr_dispatch_id 0
		.amdhsa_user_sgpr_private_segment_size 0
		.amdhsa_wavefront_size32 1
		.amdhsa_uses_dynamic_stack 0
		.amdhsa_enable_private_segment 0
		.amdhsa_system_sgpr_workgroup_id_x 1
		.amdhsa_system_sgpr_workgroup_id_y 0
		.amdhsa_system_sgpr_workgroup_id_z 0
		.amdhsa_system_sgpr_workgroup_info 0
		.amdhsa_system_vgpr_workitem_id 0
		.amdhsa_next_free_vgpr 10
		.amdhsa_next_free_sgpr 16
		.amdhsa_reserve_vcc 1
		.amdhsa_float_round_mode_32 0
		.amdhsa_float_round_mode_16_64 0
		.amdhsa_float_denorm_mode_32 3
		.amdhsa_float_denorm_mode_16_64 3
		.amdhsa_dx10_clamp 1
		.amdhsa_ieee_mode 1
		.amdhsa_fp16_overflow 0
		.amdhsa_workgroup_processor_mode 1
		.amdhsa_memory_ordered 1
		.amdhsa_forward_progress 0
		.amdhsa_shared_vgpr_count 0
		.amdhsa_exception_fp_ieee_invalid_op 0
		.amdhsa_exception_fp_denorm_src 0
		.amdhsa_exception_fp_ieee_div_zero 0
		.amdhsa_exception_fp_ieee_overflow 0
		.amdhsa_exception_fp_ieee_underflow 0
		.amdhsa_exception_fp_ieee_inexact 0
		.amdhsa_exception_int_div_zero 0
	.end_amdhsa_kernel
	.section	.text._Z33warp_exclusive_scan_reduce_kernelIfLj28ELj7EENSt9enable_ifIXsr10test_utilsE35device_test_enabled_for_warp_size_vIXT1_EEEvE4typeEPT_S4_S4_S3_,"axG",@progbits,_Z33warp_exclusive_scan_reduce_kernelIfLj28ELj7EENSt9enable_ifIXsr10test_utilsE35device_test_enabled_for_warp_size_vIXT1_EEEvE4typeEPT_S4_S4_S3_,comdat
.Lfunc_end174:
	.size	_Z33warp_exclusive_scan_reduce_kernelIfLj28ELj7EENSt9enable_ifIXsr10test_utilsE35device_test_enabled_for_warp_size_vIXT1_EEEvE4typeEPT_S4_S4_S3_, .Lfunc_end174-_Z33warp_exclusive_scan_reduce_kernelIfLj28ELj7EENSt9enable_ifIXsr10test_utilsE35device_test_enabled_for_warp_size_vIXT1_EEEvE4typeEPT_S4_S4_S3_
                                        ; -- End function
	.section	.AMDGPU.csdata,"",@progbits
; Kernel info:
; codeLenInByte = 512
; NumSgprs: 18
; NumVgprs: 10
; ScratchSize: 0
; MemoryBound: 0
; FloatMode: 240
; IeeeMode: 1
; LDSByteSize: 112 bytes/workgroup (compile time only)
; SGPRBlocks: 2
; VGPRBlocks: 1
; NumSGPRsForWavesPerEU: 18
; NumVGPRsForWavesPerEU: 10
; Occupancy: 16
; WaveLimiterHint : 0
; COMPUTE_PGM_RSRC2:SCRATCH_EN: 0
; COMPUTE_PGM_RSRC2:USER_SGPR: 15
; COMPUTE_PGM_RSRC2:TRAP_HANDLER: 0
; COMPUTE_PGM_RSRC2:TGID_X_EN: 1
; COMPUTE_PGM_RSRC2:TGID_Y_EN: 0
; COMPUTE_PGM_RSRC2:TGID_Z_EN: 0
; COMPUTE_PGM_RSRC2:TIDIG_COMP_CNT: 0
	.section	.text._Z33warp_exclusive_scan_reduce_kernelIfLj63ELj7EENSt9enable_ifIXsr10test_utilsE35device_test_enabled_for_warp_size_vIXT1_EEEvE4typeEPT_S4_S4_S3_,"axG",@progbits,_Z33warp_exclusive_scan_reduce_kernelIfLj63ELj7EENSt9enable_ifIXsr10test_utilsE35device_test_enabled_for_warp_size_vIXT1_EEEvE4typeEPT_S4_S4_S3_,comdat
	.protected	_Z33warp_exclusive_scan_reduce_kernelIfLj63ELj7EENSt9enable_ifIXsr10test_utilsE35device_test_enabled_for_warp_size_vIXT1_EEEvE4typeEPT_S4_S4_S3_ ; -- Begin function _Z33warp_exclusive_scan_reduce_kernelIfLj63ELj7EENSt9enable_ifIXsr10test_utilsE35device_test_enabled_for_warp_size_vIXT1_EEEvE4typeEPT_S4_S4_S3_
	.globl	_Z33warp_exclusive_scan_reduce_kernelIfLj63ELj7EENSt9enable_ifIXsr10test_utilsE35device_test_enabled_for_warp_size_vIXT1_EEEvE4typeEPT_S4_S4_S3_
	.p2align	8
	.type	_Z33warp_exclusive_scan_reduce_kernelIfLj63ELj7EENSt9enable_ifIXsr10test_utilsE35device_test_enabled_for_warp_size_vIXT1_EEEvE4typeEPT_S4_S4_S3_,@function
_Z33warp_exclusive_scan_reduce_kernelIfLj63ELj7EENSt9enable_ifIXsr10test_utilsE35device_test_enabled_for_warp_size_vIXT1_EEEvE4typeEPT_S4_S4_S3_: ; @_Z33warp_exclusive_scan_reduce_kernelIfLj63ELj7EENSt9enable_ifIXsr10test_utilsE35device_test_enabled_for_warp_size_vIXT1_EEEvE4typeEPT_S4_S4_S3_
; %bb.0:
	s_clause 0x1
	s_load_b32 s2, s[0:1], 0x2c
	s_load_b128 s[4:7], s[0:1], 0x0
	v_mul_u32_u24_e32 v7, 0x2493, v0
	s_waitcnt lgkmcnt(0)
	s_and_b32 s2, s2, 0xffff
	s_delay_alu instid0(SALU_CYCLE_1) | instskip(SKIP_1) | instid1(VALU_DEP_1)
	v_mad_u64_u32 v[1:2], null, s15, s2, v[0:1]
	v_mov_b32_e32 v2, 0
	v_lshlrev_b64 v[2:3], 2, v[1:2]
	s_delay_alu instid0(VALU_DEP_1) | instskip(NEXT) | instid1(VALU_DEP_2)
	v_add_co_u32 v4, vcc_lo, s4, v2
	v_add_co_ci_u32_e32 v5, vcc_lo, s5, v3, vcc_lo
	global_load_b32 v6, v[4:5], off
	v_mbcnt_lo_u32_b32 v4, -1, 0
	s_delay_alu instid0(VALU_DEP_1) | instskip(NEXT) | instid1(VALU_DEP_1)
	v_mul_hi_u32 v5, 0x24924925, v4
	v_mul_u32_u24_e32 v5, 7, v5
	s_delay_alu instid0(VALU_DEP_1) | instskip(SKIP_1) | instid1(VALU_DEP_2)
	v_sub_nc_u32_e32 v8, v4, v5
	v_lshrrev_b32_e32 v4, 16, v7
	v_lshlrev_b32_e32 v5, 2, v8
	v_cmp_ne_u32_e32 vcc_lo, 0, v8
	s_delay_alu instid0(VALU_DEP_2) | instskip(NEXT) | instid1(VALU_DEP_1)
	v_mad_u32_u24 v7, v4, 28, v5
	v_add_nc_u32_e32 v5, -4, v7
	s_waitcnt vmcnt(0)
	ds_store_b32 v7, v6
	; wave barrier
	s_and_saveexec_b32 s2, vcc_lo
	s_cbranch_execz .LBB175_2
; %bb.1:
	ds_load_b32 v9, v5
	s_waitcnt lgkmcnt(0)
	v_add_f32_e32 v6, v6, v9
.LBB175_2:
	s_or_b32 exec_lo, exec_lo, s2
	; wave barrier
	s_and_saveexec_b32 s2, vcc_lo
	s_cbranch_execz .LBB175_4
; %bb.3:
	ds_store_b32 v7, v6
.LBB175_4:
	s_or_b32 exec_lo, exec_lo, s2
	v_cmp_lt_u32_e64 s2, 1, v8
	; wave barrier
	s_delay_alu instid0(VALU_DEP_1)
	s_and_saveexec_b32 s3, s2
	s_cbranch_execz .LBB175_6
; %bb.5:
	v_add_nc_u32_e32 v9, -8, v7
	ds_load_b32 v9, v9
	s_waitcnt lgkmcnt(0)
	v_add_f32_e32 v6, v6, v9
.LBB175_6:
	s_or_b32 exec_lo, exec_lo, s3
	; wave barrier
	s_and_saveexec_b32 s3, s2
	s_cbranch_execz .LBB175_8
; %bb.7:
	ds_store_b32 v7, v6
.LBB175_8:
	s_or_b32 exec_lo, exec_lo, s3
	s_load_b64 s[4:5], s[0:1], 0x10
	v_cmp_lt_u32_e64 s2, 3, v8
	; wave barrier
	s_delay_alu instid0(VALU_DEP_1)
	s_and_saveexec_b32 s3, s2
	s_cbranch_execz .LBB175_10
; %bb.9:
	v_add_nc_u32_e32 v8, -16, v7
	ds_load_b32 v8, v8
	s_waitcnt lgkmcnt(0)
	v_add_f32_e32 v6, v6, v8
.LBB175_10:
	s_or_b32 exec_lo, exec_lo, s3
	v_mul_u32_u24_e32 v8, 28, v4
	; wave barrier
	s_and_saveexec_b32 s3, s2
	s_cbranch_execz .LBB175_12
; %bb.11:
	ds_store_b32 v7, v6
.LBB175_12:
	s_or_b32 exec_lo, exec_lo, s3
	s_load_b32 s0, s[0:1], 0x18
	; wave barrier
	ds_load_b32 v6, v8 offset:24
	s_waitcnt lgkmcnt(0)
	v_mov_b32_e32 v7, s0
	s_and_saveexec_b32 s1, vcc_lo
	s_cbranch_execz .LBB175_14
; %bb.13:
	ds_load_b32 v5, v5
	s_waitcnt lgkmcnt(0)
	v_add_f32_e32 v7, s0, v5
.LBB175_14:
	s_or_b32 exec_lo, exec_lo, s1
	v_mul_lo_u16 v4, v4, 7
	v_add_co_u32 v2, vcc_lo, s6, v2
	v_add_co_ci_u32_e32 v3, vcc_lo, s7, v3, vcc_lo
	s_delay_alu instid0(VALU_DEP_3)
	v_sub_nc_u16 v0, v0, v4
	s_mov_b32 s0, exec_lo
	global_store_b32 v[2:3], v7, off
	v_cmpx_eq_u16_e32 0, v0
	s_cbranch_execz .LBB175_16
; %bb.15:
	v_mul_hi_u32 v0, 0x24924925, v1
	s_delay_alu instid0(VALU_DEP_1) | instskip(NEXT) | instid1(VALU_DEP_1)
	v_sub_nc_u32_e32 v1, v1, v0
	v_lshrrev_b32_e32 v1, 1, v1
	s_delay_alu instid0(VALU_DEP_1) | instskip(NEXT) | instid1(VALU_DEP_1)
	v_add_nc_u32_e32 v0, v1, v0
	v_and_b32_e32 v0, -4, v0
	global_store_b32 v0, v6, s[4:5]
.LBB175_16:
	s_nop 0
	s_sendmsg sendmsg(MSG_DEALLOC_VGPRS)
	s_endpgm
	.section	.rodata,"a",@progbits
	.p2align	6, 0x0
	.amdhsa_kernel _Z33warp_exclusive_scan_reduce_kernelIfLj63ELj7EENSt9enable_ifIXsr10test_utilsE35device_test_enabled_for_warp_size_vIXT1_EEEvE4typeEPT_S4_S4_S3_
		.amdhsa_group_segment_fixed_size 252
		.amdhsa_private_segment_fixed_size 0
		.amdhsa_kernarg_size 288
		.amdhsa_user_sgpr_count 15
		.amdhsa_user_sgpr_dispatch_ptr 0
		.amdhsa_user_sgpr_queue_ptr 0
		.amdhsa_user_sgpr_kernarg_segment_ptr 1
		.amdhsa_user_sgpr_dispatch_id 0
		.amdhsa_user_sgpr_private_segment_size 0
		.amdhsa_wavefront_size32 1
		.amdhsa_uses_dynamic_stack 0
		.amdhsa_enable_private_segment 0
		.amdhsa_system_sgpr_workgroup_id_x 1
		.amdhsa_system_sgpr_workgroup_id_y 0
		.amdhsa_system_sgpr_workgroup_id_z 0
		.amdhsa_system_sgpr_workgroup_info 0
		.amdhsa_system_vgpr_workitem_id 0
		.amdhsa_next_free_vgpr 10
		.amdhsa_next_free_sgpr 16
		.amdhsa_reserve_vcc 1
		.amdhsa_float_round_mode_32 0
		.amdhsa_float_round_mode_16_64 0
		.amdhsa_float_denorm_mode_32 3
		.amdhsa_float_denorm_mode_16_64 3
		.amdhsa_dx10_clamp 1
		.amdhsa_ieee_mode 1
		.amdhsa_fp16_overflow 0
		.amdhsa_workgroup_processor_mode 1
		.amdhsa_memory_ordered 1
		.amdhsa_forward_progress 0
		.amdhsa_shared_vgpr_count 0
		.amdhsa_exception_fp_ieee_invalid_op 0
		.amdhsa_exception_fp_denorm_src 0
		.amdhsa_exception_fp_ieee_div_zero 0
		.amdhsa_exception_fp_ieee_overflow 0
		.amdhsa_exception_fp_ieee_underflow 0
		.amdhsa_exception_fp_ieee_inexact 0
		.amdhsa_exception_int_div_zero 0
	.end_amdhsa_kernel
	.section	.text._Z33warp_exclusive_scan_reduce_kernelIfLj63ELj7EENSt9enable_ifIXsr10test_utilsE35device_test_enabled_for_warp_size_vIXT1_EEEvE4typeEPT_S4_S4_S3_,"axG",@progbits,_Z33warp_exclusive_scan_reduce_kernelIfLj63ELj7EENSt9enable_ifIXsr10test_utilsE35device_test_enabled_for_warp_size_vIXT1_EEEvE4typeEPT_S4_S4_S3_,comdat
.Lfunc_end175:
	.size	_Z33warp_exclusive_scan_reduce_kernelIfLj63ELj7EENSt9enable_ifIXsr10test_utilsE35device_test_enabled_for_warp_size_vIXT1_EEEvE4typeEPT_S4_S4_S3_, .Lfunc_end175-_Z33warp_exclusive_scan_reduce_kernelIfLj63ELj7EENSt9enable_ifIXsr10test_utilsE35device_test_enabled_for_warp_size_vIXT1_EEEvE4typeEPT_S4_S4_S3_
                                        ; -- End function
	.section	.AMDGPU.csdata,"",@progbits
; Kernel info:
; codeLenInByte = 512
; NumSgprs: 18
; NumVgprs: 10
; ScratchSize: 0
; MemoryBound: 0
; FloatMode: 240
; IeeeMode: 1
; LDSByteSize: 252 bytes/workgroup (compile time only)
; SGPRBlocks: 2
; VGPRBlocks: 1
; NumSGPRsForWavesPerEU: 18
; NumVGPRsForWavesPerEU: 10
; Occupancy: 16
; WaveLimiterHint : 0
; COMPUTE_PGM_RSRC2:SCRATCH_EN: 0
; COMPUTE_PGM_RSRC2:USER_SGPR: 15
; COMPUTE_PGM_RSRC2:TRAP_HANDLER: 0
; COMPUTE_PGM_RSRC2:TGID_X_EN: 1
; COMPUTE_PGM_RSRC2:TGID_Y_EN: 0
; COMPUTE_PGM_RSRC2:TGID_Z_EN: 0
; COMPUTE_PGM_RSRC2:TIDIG_COMP_CNT: 0
	.section	.text._Z33warp_exclusive_scan_reduce_kernelIfLj30ELj3EENSt9enable_ifIXsr10test_utilsE35device_test_enabled_for_warp_size_vIXT1_EEEvE4typeEPT_S4_S4_S3_,"axG",@progbits,_Z33warp_exclusive_scan_reduce_kernelIfLj30ELj3EENSt9enable_ifIXsr10test_utilsE35device_test_enabled_for_warp_size_vIXT1_EEEvE4typeEPT_S4_S4_S3_,comdat
	.protected	_Z33warp_exclusive_scan_reduce_kernelIfLj30ELj3EENSt9enable_ifIXsr10test_utilsE35device_test_enabled_for_warp_size_vIXT1_EEEvE4typeEPT_S4_S4_S3_ ; -- Begin function _Z33warp_exclusive_scan_reduce_kernelIfLj30ELj3EENSt9enable_ifIXsr10test_utilsE35device_test_enabled_for_warp_size_vIXT1_EEEvE4typeEPT_S4_S4_S3_
	.globl	_Z33warp_exclusive_scan_reduce_kernelIfLj30ELj3EENSt9enable_ifIXsr10test_utilsE35device_test_enabled_for_warp_size_vIXT1_EEEvE4typeEPT_S4_S4_S3_
	.p2align	8
	.type	_Z33warp_exclusive_scan_reduce_kernelIfLj30ELj3EENSt9enable_ifIXsr10test_utilsE35device_test_enabled_for_warp_size_vIXT1_EEEvE4typeEPT_S4_S4_S3_,@function
_Z33warp_exclusive_scan_reduce_kernelIfLj30ELj3EENSt9enable_ifIXsr10test_utilsE35device_test_enabled_for_warp_size_vIXT1_EEEvE4typeEPT_S4_S4_S3_: ; @_Z33warp_exclusive_scan_reduce_kernelIfLj30ELj3EENSt9enable_ifIXsr10test_utilsE35device_test_enabled_for_warp_size_vIXT1_EEEvE4typeEPT_S4_S4_S3_
; %bb.0:
	s_clause 0x1
	s_load_b32 s2, s[0:1], 0x2c
	s_load_b128 s[4:7], s[0:1], 0x0
	v_mul_u32_u24_e32 v7, 0x5556, v0
	s_waitcnt lgkmcnt(0)
	s_and_b32 s2, s2, 0xffff
	s_delay_alu instid0(SALU_CYCLE_1) | instskip(SKIP_1) | instid1(VALU_DEP_1)
	v_mad_u64_u32 v[1:2], null, s15, s2, v[0:1]
	v_mov_b32_e32 v2, 0
	v_lshlrev_b64 v[2:3], 2, v[1:2]
	s_delay_alu instid0(VALU_DEP_1) | instskip(NEXT) | instid1(VALU_DEP_2)
	v_add_co_u32 v4, vcc_lo, s4, v2
	v_add_co_ci_u32_e32 v5, vcc_lo, s5, v3, vcc_lo
	global_load_b32 v6, v[4:5], off
	v_mbcnt_lo_u32_b32 v4, -1, 0
	s_delay_alu instid0(VALU_DEP_1) | instskip(NEXT) | instid1(VALU_DEP_1)
	v_mul_hi_u32 v5, 0x55555556, v4
	v_mul_u32_u24_e32 v5, 3, v5
	s_delay_alu instid0(VALU_DEP_1) | instskip(SKIP_1) | instid1(VALU_DEP_2)
	v_sub_nc_u32_e32 v8, v4, v5
	v_lshrrev_b32_e32 v4, 16, v7
	v_lshlrev_b32_e32 v5, 2, v8
	v_cmp_ne_u32_e32 vcc_lo, 0, v8
	s_delay_alu instid0(VALU_DEP_2) | instskip(NEXT) | instid1(VALU_DEP_1)
	v_mad_u32_u24 v7, v4, 12, v5
	v_add_nc_u32_e32 v5, -4, v7
	s_waitcnt vmcnt(0)
	ds_store_b32 v7, v6
	; wave barrier
	s_and_saveexec_b32 s2, vcc_lo
	s_cbranch_execz .LBB176_2
; %bb.1:
	ds_load_b32 v9, v5
	s_waitcnt lgkmcnt(0)
	v_add_f32_e32 v6, v6, v9
.LBB176_2:
	s_or_b32 exec_lo, exec_lo, s2
	; wave barrier
	s_and_saveexec_b32 s2, vcc_lo
	s_cbranch_execz .LBB176_4
; %bb.3:
	ds_store_b32 v7, v6
.LBB176_4:
	s_or_b32 exec_lo, exec_lo, s2
	s_load_b64 s[4:5], s[0:1], 0x10
	v_cmp_lt_u32_e64 s2, 1, v8
	; wave barrier
	s_delay_alu instid0(VALU_DEP_1)
	s_and_saveexec_b32 s3, s2
	s_cbranch_execz .LBB176_6
; %bb.5:
	v_add_nc_u32_e32 v8, -8, v7
	ds_load_b32 v8, v8
	s_waitcnt lgkmcnt(0)
	v_add_f32_e32 v6, v6, v8
.LBB176_6:
	s_or_b32 exec_lo, exec_lo, s3
	v_mul_u32_u24_e32 v8, 12, v4
	; wave barrier
	s_and_saveexec_b32 s3, s2
	s_cbranch_execz .LBB176_8
; %bb.7:
	ds_store_b32 v7, v6
.LBB176_8:
	s_or_b32 exec_lo, exec_lo, s3
	s_load_b32 s0, s[0:1], 0x18
	; wave barrier
	ds_load_b32 v6, v8 offset:8
	s_waitcnt lgkmcnt(0)
	v_mov_b32_e32 v7, s0
	s_and_saveexec_b32 s1, vcc_lo
	s_cbranch_execz .LBB176_10
; %bb.9:
	ds_load_b32 v5, v5
	s_waitcnt lgkmcnt(0)
	v_add_f32_e32 v7, s0, v5
.LBB176_10:
	s_or_b32 exec_lo, exec_lo, s1
	v_mul_lo_u16 v4, v4, 3
	v_add_co_u32 v2, vcc_lo, s6, v2
	v_add_co_ci_u32_e32 v3, vcc_lo, s7, v3, vcc_lo
	s_delay_alu instid0(VALU_DEP_3)
	v_sub_nc_u16 v0, v0, v4
	s_mov_b32 s0, exec_lo
	global_store_b32 v[2:3], v7, off
	v_cmpx_eq_u16_e32 0, v0
	s_cbranch_execz .LBB176_12
; %bb.11:
	v_mul_hi_u32 v0, 0xaaaaaaab, v1
	v_mov_b32_e32 v1, 0
	s_delay_alu instid0(VALU_DEP_2) | instskip(NEXT) | instid1(VALU_DEP_1)
	v_lshrrev_b32_e32 v0, 1, v0
	v_lshlrev_b64 v[0:1], 2, v[0:1]
	s_delay_alu instid0(VALU_DEP_1) | instskip(NEXT) | instid1(VALU_DEP_2)
	v_add_co_u32 v0, vcc_lo, s4, v0
	v_add_co_ci_u32_e32 v1, vcc_lo, s5, v1, vcc_lo
	global_store_b32 v[0:1], v6, off
.LBB176_12:
	s_nop 0
	s_sendmsg sendmsg(MSG_DEALLOC_VGPRS)
	s_endpgm
	.section	.rodata,"a",@progbits
	.p2align	6, 0x0
	.amdhsa_kernel _Z33warp_exclusive_scan_reduce_kernelIfLj30ELj3EENSt9enable_ifIXsr10test_utilsE35device_test_enabled_for_warp_size_vIXT1_EEEvE4typeEPT_S4_S4_S3_
		.amdhsa_group_segment_fixed_size 120
		.amdhsa_private_segment_fixed_size 0
		.amdhsa_kernarg_size 288
		.amdhsa_user_sgpr_count 15
		.amdhsa_user_sgpr_dispatch_ptr 0
		.amdhsa_user_sgpr_queue_ptr 0
		.amdhsa_user_sgpr_kernarg_segment_ptr 1
		.amdhsa_user_sgpr_dispatch_id 0
		.amdhsa_user_sgpr_private_segment_size 0
		.amdhsa_wavefront_size32 1
		.amdhsa_uses_dynamic_stack 0
		.amdhsa_enable_private_segment 0
		.amdhsa_system_sgpr_workgroup_id_x 1
		.amdhsa_system_sgpr_workgroup_id_y 0
		.amdhsa_system_sgpr_workgroup_id_z 0
		.amdhsa_system_sgpr_workgroup_info 0
		.amdhsa_system_vgpr_workitem_id 0
		.amdhsa_next_free_vgpr 10
		.amdhsa_next_free_sgpr 16
		.amdhsa_reserve_vcc 1
		.amdhsa_float_round_mode_32 0
		.amdhsa_float_round_mode_16_64 0
		.amdhsa_float_denorm_mode_32 3
		.amdhsa_float_denorm_mode_16_64 3
		.amdhsa_dx10_clamp 1
		.amdhsa_ieee_mode 1
		.amdhsa_fp16_overflow 0
		.amdhsa_workgroup_processor_mode 1
		.amdhsa_memory_ordered 1
		.amdhsa_forward_progress 0
		.amdhsa_shared_vgpr_count 0
		.amdhsa_exception_fp_ieee_invalid_op 0
		.amdhsa_exception_fp_denorm_src 0
		.amdhsa_exception_fp_ieee_div_zero 0
		.amdhsa_exception_fp_ieee_overflow 0
		.amdhsa_exception_fp_ieee_underflow 0
		.amdhsa_exception_fp_ieee_inexact 0
		.amdhsa_exception_int_div_zero 0
	.end_amdhsa_kernel
	.section	.text._Z33warp_exclusive_scan_reduce_kernelIfLj30ELj3EENSt9enable_ifIXsr10test_utilsE35device_test_enabled_for_warp_size_vIXT1_EEEvE4typeEPT_S4_S4_S3_,"axG",@progbits,_Z33warp_exclusive_scan_reduce_kernelIfLj30ELj3EENSt9enable_ifIXsr10test_utilsE35device_test_enabled_for_warp_size_vIXT1_EEEvE4typeEPT_S4_S4_S3_,comdat
.Lfunc_end176:
	.size	_Z33warp_exclusive_scan_reduce_kernelIfLj30ELj3EENSt9enable_ifIXsr10test_utilsE35device_test_enabled_for_warp_size_vIXT1_EEEvE4typeEPT_S4_S4_S3_, .Lfunc_end176-_Z33warp_exclusive_scan_reduce_kernelIfLj30ELj3EENSt9enable_ifIXsr10test_utilsE35device_test_enabled_for_warp_size_vIXT1_EEEvE4typeEPT_S4_S4_S3_
                                        ; -- End function
	.section	.AMDGPU.csdata,"",@progbits
; Kernel info:
; codeLenInByte = 460
; NumSgprs: 18
; NumVgprs: 10
; ScratchSize: 0
; MemoryBound: 0
; FloatMode: 240
; IeeeMode: 1
; LDSByteSize: 120 bytes/workgroup (compile time only)
; SGPRBlocks: 2
; VGPRBlocks: 1
; NumSGPRsForWavesPerEU: 18
; NumVGPRsForWavesPerEU: 10
; Occupancy: 16
; WaveLimiterHint : 0
; COMPUTE_PGM_RSRC2:SCRATCH_EN: 0
; COMPUTE_PGM_RSRC2:USER_SGPR: 15
; COMPUTE_PGM_RSRC2:TRAP_HANDLER: 0
; COMPUTE_PGM_RSRC2:TGID_X_EN: 1
; COMPUTE_PGM_RSRC2:TGID_Y_EN: 0
; COMPUTE_PGM_RSRC2:TGID_Z_EN: 0
; COMPUTE_PGM_RSRC2:TIDIG_COMP_CNT: 0
	.section	.text._Z33warp_exclusive_scan_reduce_kernelIfLj63ELj3EENSt9enable_ifIXsr10test_utilsE35device_test_enabled_for_warp_size_vIXT1_EEEvE4typeEPT_S4_S4_S3_,"axG",@progbits,_Z33warp_exclusive_scan_reduce_kernelIfLj63ELj3EENSt9enable_ifIXsr10test_utilsE35device_test_enabled_for_warp_size_vIXT1_EEEvE4typeEPT_S4_S4_S3_,comdat
	.protected	_Z33warp_exclusive_scan_reduce_kernelIfLj63ELj3EENSt9enable_ifIXsr10test_utilsE35device_test_enabled_for_warp_size_vIXT1_EEEvE4typeEPT_S4_S4_S3_ ; -- Begin function _Z33warp_exclusive_scan_reduce_kernelIfLj63ELj3EENSt9enable_ifIXsr10test_utilsE35device_test_enabled_for_warp_size_vIXT1_EEEvE4typeEPT_S4_S4_S3_
	.globl	_Z33warp_exclusive_scan_reduce_kernelIfLj63ELj3EENSt9enable_ifIXsr10test_utilsE35device_test_enabled_for_warp_size_vIXT1_EEEvE4typeEPT_S4_S4_S3_
	.p2align	8
	.type	_Z33warp_exclusive_scan_reduce_kernelIfLj63ELj3EENSt9enable_ifIXsr10test_utilsE35device_test_enabled_for_warp_size_vIXT1_EEEvE4typeEPT_S4_S4_S3_,@function
_Z33warp_exclusive_scan_reduce_kernelIfLj63ELj3EENSt9enable_ifIXsr10test_utilsE35device_test_enabled_for_warp_size_vIXT1_EEEvE4typeEPT_S4_S4_S3_: ; @_Z33warp_exclusive_scan_reduce_kernelIfLj63ELj3EENSt9enable_ifIXsr10test_utilsE35device_test_enabled_for_warp_size_vIXT1_EEEvE4typeEPT_S4_S4_S3_
; %bb.0:
	s_clause 0x1
	s_load_b32 s2, s[0:1], 0x2c
	s_load_b128 s[4:7], s[0:1], 0x0
	v_mul_u32_u24_e32 v7, 0x5556, v0
	s_waitcnt lgkmcnt(0)
	s_and_b32 s2, s2, 0xffff
	s_delay_alu instid0(SALU_CYCLE_1) | instskip(SKIP_1) | instid1(VALU_DEP_1)
	v_mad_u64_u32 v[1:2], null, s15, s2, v[0:1]
	v_mov_b32_e32 v2, 0
	v_lshlrev_b64 v[2:3], 2, v[1:2]
	s_delay_alu instid0(VALU_DEP_1) | instskip(NEXT) | instid1(VALU_DEP_2)
	v_add_co_u32 v4, vcc_lo, s4, v2
	v_add_co_ci_u32_e32 v5, vcc_lo, s5, v3, vcc_lo
	global_load_b32 v6, v[4:5], off
	v_mbcnt_lo_u32_b32 v4, -1, 0
	s_delay_alu instid0(VALU_DEP_1) | instskip(NEXT) | instid1(VALU_DEP_1)
	v_mul_hi_u32 v5, 0x55555556, v4
	v_mul_u32_u24_e32 v5, 3, v5
	s_delay_alu instid0(VALU_DEP_1) | instskip(SKIP_1) | instid1(VALU_DEP_2)
	v_sub_nc_u32_e32 v8, v4, v5
	v_lshrrev_b32_e32 v4, 16, v7
	v_lshlrev_b32_e32 v5, 2, v8
	v_cmp_ne_u32_e32 vcc_lo, 0, v8
	s_delay_alu instid0(VALU_DEP_2) | instskip(NEXT) | instid1(VALU_DEP_1)
	v_mad_u32_u24 v7, v4, 12, v5
	v_add_nc_u32_e32 v5, -4, v7
	s_waitcnt vmcnt(0)
	ds_store_b32 v7, v6
	; wave barrier
	s_and_saveexec_b32 s2, vcc_lo
	s_cbranch_execz .LBB177_2
; %bb.1:
	ds_load_b32 v9, v5
	s_waitcnt lgkmcnt(0)
	v_add_f32_e32 v6, v6, v9
.LBB177_2:
	s_or_b32 exec_lo, exec_lo, s2
	; wave barrier
	s_and_saveexec_b32 s2, vcc_lo
	s_cbranch_execz .LBB177_4
; %bb.3:
	ds_store_b32 v7, v6
.LBB177_4:
	s_or_b32 exec_lo, exec_lo, s2
	s_load_b64 s[4:5], s[0:1], 0x10
	v_cmp_lt_u32_e64 s2, 1, v8
	; wave barrier
	s_delay_alu instid0(VALU_DEP_1)
	s_and_saveexec_b32 s3, s2
	s_cbranch_execz .LBB177_6
; %bb.5:
	v_add_nc_u32_e32 v8, -8, v7
	ds_load_b32 v8, v8
	s_waitcnt lgkmcnt(0)
	v_add_f32_e32 v6, v6, v8
.LBB177_6:
	s_or_b32 exec_lo, exec_lo, s3
	v_mul_u32_u24_e32 v8, 12, v4
	; wave barrier
	s_and_saveexec_b32 s3, s2
	s_cbranch_execz .LBB177_8
; %bb.7:
	ds_store_b32 v7, v6
.LBB177_8:
	s_or_b32 exec_lo, exec_lo, s3
	s_load_b32 s0, s[0:1], 0x18
	; wave barrier
	ds_load_b32 v6, v8 offset:8
	s_waitcnt lgkmcnt(0)
	v_mov_b32_e32 v7, s0
	s_and_saveexec_b32 s1, vcc_lo
	s_cbranch_execz .LBB177_10
; %bb.9:
	ds_load_b32 v5, v5
	s_waitcnt lgkmcnt(0)
	v_add_f32_e32 v7, s0, v5
.LBB177_10:
	s_or_b32 exec_lo, exec_lo, s1
	v_mul_lo_u16 v4, v4, 3
	v_add_co_u32 v2, vcc_lo, s6, v2
	v_add_co_ci_u32_e32 v3, vcc_lo, s7, v3, vcc_lo
	s_delay_alu instid0(VALU_DEP_3)
	v_sub_nc_u16 v0, v0, v4
	s_mov_b32 s0, exec_lo
	global_store_b32 v[2:3], v7, off
	v_cmpx_eq_u16_e32 0, v0
	s_cbranch_execz .LBB177_12
; %bb.11:
	v_mul_hi_u32 v0, 0xaaaaaaab, v1
	v_mov_b32_e32 v1, 0
	s_delay_alu instid0(VALU_DEP_2) | instskip(NEXT) | instid1(VALU_DEP_1)
	v_lshrrev_b32_e32 v0, 1, v0
	v_lshlrev_b64 v[0:1], 2, v[0:1]
	s_delay_alu instid0(VALU_DEP_1) | instskip(NEXT) | instid1(VALU_DEP_2)
	v_add_co_u32 v0, vcc_lo, s4, v0
	v_add_co_ci_u32_e32 v1, vcc_lo, s5, v1, vcc_lo
	global_store_b32 v[0:1], v6, off
.LBB177_12:
	s_nop 0
	s_sendmsg sendmsg(MSG_DEALLOC_VGPRS)
	s_endpgm
	.section	.rodata,"a",@progbits
	.p2align	6, 0x0
	.amdhsa_kernel _Z33warp_exclusive_scan_reduce_kernelIfLj63ELj3EENSt9enable_ifIXsr10test_utilsE35device_test_enabled_for_warp_size_vIXT1_EEEvE4typeEPT_S4_S4_S3_
		.amdhsa_group_segment_fixed_size 252
		.amdhsa_private_segment_fixed_size 0
		.amdhsa_kernarg_size 288
		.amdhsa_user_sgpr_count 15
		.amdhsa_user_sgpr_dispatch_ptr 0
		.amdhsa_user_sgpr_queue_ptr 0
		.amdhsa_user_sgpr_kernarg_segment_ptr 1
		.amdhsa_user_sgpr_dispatch_id 0
		.amdhsa_user_sgpr_private_segment_size 0
		.amdhsa_wavefront_size32 1
		.amdhsa_uses_dynamic_stack 0
		.amdhsa_enable_private_segment 0
		.amdhsa_system_sgpr_workgroup_id_x 1
		.amdhsa_system_sgpr_workgroup_id_y 0
		.amdhsa_system_sgpr_workgroup_id_z 0
		.amdhsa_system_sgpr_workgroup_info 0
		.amdhsa_system_vgpr_workitem_id 0
		.amdhsa_next_free_vgpr 10
		.amdhsa_next_free_sgpr 16
		.amdhsa_reserve_vcc 1
		.amdhsa_float_round_mode_32 0
		.amdhsa_float_round_mode_16_64 0
		.amdhsa_float_denorm_mode_32 3
		.amdhsa_float_denorm_mode_16_64 3
		.amdhsa_dx10_clamp 1
		.amdhsa_ieee_mode 1
		.amdhsa_fp16_overflow 0
		.amdhsa_workgroup_processor_mode 1
		.amdhsa_memory_ordered 1
		.amdhsa_forward_progress 0
		.amdhsa_shared_vgpr_count 0
		.amdhsa_exception_fp_ieee_invalid_op 0
		.amdhsa_exception_fp_denorm_src 0
		.amdhsa_exception_fp_ieee_div_zero 0
		.amdhsa_exception_fp_ieee_overflow 0
		.amdhsa_exception_fp_ieee_underflow 0
		.amdhsa_exception_fp_ieee_inexact 0
		.amdhsa_exception_int_div_zero 0
	.end_amdhsa_kernel
	.section	.text._Z33warp_exclusive_scan_reduce_kernelIfLj63ELj3EENSt9enable_ifIXsr10test_utilsE35device_test_enabled_for_warp_size_vIXT1_EEEvE4typeEPT_S4_S4_S3_,"axG",@progbits,_Z33warp_exclusive_scan_reduce_kernelIfLj63ELj3EENSt9enable_ifIXsr10test_utilsE35device_test_enabled_for_warp_size_vIXT1_EEEvE4typeEPT_S4_S4_S3_,comdat
.Lfunc_end177:
	.size	_Z33warp_exclusive_scan_reduce_kernelIfLj63ELj3EENSt9enable_ifIXsr10test_utilsE35device_test_enabled_for_warp_size_vIXT1_EEEvE4typeEPT_S4_S4_S3_, .Lfunc_end177-_Z33warp_exclusive_scan_reduce_kernelIfLj63ELj3EENSt9enable_ifIXsr10test_utilsE35device_test_enabled_for_warp_size_vIXT1_EEEvE4typeEPT_S4_S4_S3_
                                        ; -- End function
	.section	.AMDGPU.csdata,"",@progbits
; Kernel info:
; codeLenInByte = 460
; NumSgprs: 18
; NumVgprs: 10
; ScratchSize: 0
; MemoryBound: 0
; FloatMode: 240
; IeeeMode: 1
; LDSByteSize: 252 bytes/workgroup (compile time only)
; SGPRBlocks: 2
; VGPRBlocks: 1
; NumSGPRsForWavesPerEU: 18
; NumVGPRsForWavesPerEU: 10
; Occupancy: 16
; WaveLimiterHint : 0
; COMPUTE_PGM_RSRC2:SCRATCH_EN: 0
; COMPUTE_PGM_RSRC2:USER_SGPR: 15
; COMPUTE_PGM_RSRC2:TRAP_HANDLER: 0
; COMPUTE_PGM_RSRC2:TGID_X_EN: 1
; COMPUTE_PGM_RSRC2:TGID_Y_EN: 0
; COMPUTE_PGM_RSRC2:TGID_Z_EN: 0
; COMPUTE_PGM_RSRC2:TIDIG_COMP_CNT: 0
	.section	.text._Z33warp_exclusive_scan_reduce_kernelIiLj1ELj61EENSt9enable_ifIXntsr10test_utilsE35device_test_enabled_for_warp_size_vIXT1_EEEvE4typeEPT_S4_S4_S3_,"axG",@progbits,_Z33warp_exclusive_scan_reduce_kernelIiLj1ELj61EENSt9enable_ifIXntsr10test_utilsE35device_test_enabled_for_warp_size_vIXT1_EEEvE4typeEPT_S4_S4_S3_,comdat
	.protected	_Z33warp_exclusive_scan_reduce_kernelIiLj1ELj61EENSt9enable_ifIXntsr10test_utilsE35device_test_enabled_for_warp_size_vIXT1_EEEvE4typeEPT_S4_S4_S3_ ; -- Begin function _Z33warp_exclusive_scan_reduce_kernelIiLj1ELj61EENSt9enable_ifIXntsr10test_utilsE35device_test_enabled_for_warp_size_vIXT1_EEEvE4typeEPT_S4_S4_S3_
	.globl	_Z33warp_exclusive_scan_reduce_kernelIiLj1ELj61EENSt9enable_ifIXntsr10test_utilsE35device_test_enabled_for_warp_size_vIXT1_EEEvE4typeEPT_S4_S4_S3_
	.p2align	8
	.type	_Z33warp_exclusive_scan_reduce_kernelIiLj1ELj61EENSt9enable_ifIXntsr10test_utilsE35device_test_enabled_for_warp_size_vIXT1_EEEvE4typeEPT_S4_S4_S3_,@function
_Z33warp_exclusive_scan_reduce_kernelIiLj1ELj61EENSt9enable_ifIXntsr10test_utilsE35device_test_enabled_for_warp_size_vIXT1_EEEvE4typeEPT_S4_S4_S3_: ; @_Z33warp_exclusive_scan_reduce_kernelIiLj1ELj61EENSt9enable_ifIXntsr10test_utilsE35device_test_enabled_for_warp_size_vIXT1_EEEvE4typeEPT_S4_S4_S3_
; %bb.0:
	s_endpgm
	.section	.rodata,"a",@progbits
	.p2align	6, 0x0
	.amdhsa_kernel _Z33warp_exclusive_scan_reduce_kernelIiLj1ELj61EENSt9enable_ifIXntsr10test_utilsE35device_test_enabled_for_warp_size_vIXT1_EEEvE4typeEPT_S4_S4_S3_
		.amdhsa_group_segment_fixed_size 0
		.amdhsa_private_segment_fixed_size 0
		.amdhsa_kernarg_size 28
		.amdhsa_user_sgpr_count 15
		.amdhsa_user_sgpr_dispatch_ptr 0
		.amdhsa_user_sgpr_queue_ptr 0
		.amdhsa_user_sgpr_kernarg_segment_ptr 1
		.amdhsa_user_sgpr_dispatch_id 0
		.amdhsa_user_sgpr_private_segment_size 0
		.amdhsa_wavefront_size32 1
		.amdhsa_uses_dynamic_stack 0
		.amdhsa_enable_private_segment 0
		.amdhsa_system_sgpr_workgroup_id_x 1
		.amdhsa_system_sgpr_workgroup_id_y 0
		.amdhsa_system_sgpr_workgroup_id_z 0
		.amdhsa_system_sgpr_workgroup_info 0
		.amdhsa_system_vgpr_workitem_id 0
		.amdhsa_next_free_vgpr 1
		.amdhsa_next_free_sgpr 1
		.amdhsa_reserve_vcc 0
		.amdhsa_float_round_mode_32 0
		.amdhsa_float_round_mode_16_64 0
		.amdhsa_float_denorm_mode_32 3
		.amdhsa_float_denorm_mode_16_64 3
		.amdhsa_dx10_clamp 1
		.amdhsa_ieee_mode 1
		.amdhsa_fp16_overflow 0
		.amdhsa_workgroup_processor_mode 1
		.amdhsa_memory_ordered 1
		.amdhsa_forward_progress 0
		.amdhsa_shared_vgpr_count 0
		.amdhsa_exception_fp_ieee_invalid_op 0
		.amdhsa_exception_fp_denorm_src 0
		.amdhsa_exception_fp_ieee_div_zero 0
		.amdhsa_exception_fp_ieee_overflow 0
		.amdhsa_exception_fp_ieee_underflow 0
		.amdhsa_exception_fp_ieee_inexact 0
		.amdhsa_exception_int_div_zero 0
	.end_amdhsa_kernel
	.section	.text._Z33warp_exclusive_scan_reduce_kernelIiLj1ELj61EENSt9enable_ifIXntsr10test_utilsE35device_test_enabled_for_warp_size_vIXT1_EEEvE4typeEPT_S4_S4_S3_,"axG",@progbits,_Z33warp_exclusive_scan_reduce_kernelIiLj1ELj61EENSt9enable_ifIXntsr10test_utilsE35device_test_enabled_for_warp_size_vIXT1_EEEvE4typeEPT_S4_S4_S3_,comdat
.Lfunc_end178:
	.size	_Z33warp_exclusive_scan_reduce_kernelIiLj1ELj61EENSt9enable_ifIXntsr10test_utilsE35device_test_enabled_for_warp_size_vIXT1_EEEvE4typeEPT_S4_S4_S3_, .Lfunc_end178-_Z33warp_exclusive_scan_reduce_kernelIiLj1ELj61EENSt9enable_ifIXntsr10test_utilsE35device_test_enabled_for_warp_size_vIXT1_EEEvE4typeEPT_S4_S4_S3_
                                        ; -- End function
	.section	.AMDGPU.csdata,"",@progbits
; Kernel info:
; codeLenInByte = 4
; NumSgprs: 0
; NumVgprs: 0
; ScratchSize: 0
; MemoryBound: 0
; FloatMode: 240
; IeeeMode: 1
; LDSByteSize: 0 bytes/workgroup (compile time only)
; SGPRBlocks: 0
; VGPRBlocks: 0
; NumSGPRsForWavesPerEU: 1
; NumVGPRsForWavesPerEU: 1
; Occupancy: 16
; WaveLimiterHint : 0
; COMPUTE_PGM_RSRC2:SCRATCH_EN: 0
; COMPUTE_PGM_RSRC2:USER_SGPR: 15
; COMPUTE_PGM_RSRC2:TRAP_HANDLER: 0
; COMPUTE_PGM_RSRC2:TGID_X_EN: 1
; COMPUTE_PGM_RSRC2:TGID_Y_EN: 0
; COMPUTE_PGM_RSRC2:TGID_Z_EN: 0
; COMPUTE_PGM_RSRC2:TIDIG_COMP_CNT: 0
	.section	.text._Z33warp_exclusive_scan_reduce_kernelIiLj61ELj61EENSt9enable_ifIXntsr10test_utilsE35device_test_enabled_for_warp_size_vIXT1_EEEvE4typeEPT_S4_S4_S3_,"axG",@progbits,_Z33warp_exclusive_scan_reduce_kernelIiLj61ELj61EENSt9enable_ifIXntsr10test_utilsE35device_test_enabled_for_warp_size_vIXT1_EEEvE4typeEPT_S4_S4_S3_,comdat
	.protected	_Z33warp_exclusive_scan_reduce_kernelIiLj61ELj61EENSt9enable_ifIXntsr10test_utilsE35device_test_enabled_for_warp_size_vIXT1_EEEvE4typeEPT_S4_S4_S3_ ; -- Begin function _Z33warp_exclusive_scan_reduce_kernelIiLj61ELj61EENSt9enable_ifIXntsr10test_utilsE35device_test_enabled_for_warp_size_vIXT1_EEEvE4typeEPT_S4_S4_S3_
	.globl	_Z33warp_exclusive_scan_reduce_kernelIiLj61ELj61EENSt9enable_ifIXntsr10test_utilsE35device_test_enabled_for_warp_size_vIXT1_EEEvE4typeEPT_S4_S4_S3_
	.p2align	8
	.type	_Z33warp_exclusive_scan_reduce_kernelIiLj61ELj61EENSt9enable_ifIXntsr10test_utilsE35device_test_enabled_for_warp_size_vIXT1_EEEvE4typeEPT_S4_S4_S3_,@function
_Z33warp_exclusive_scan_reduce_kernelIiLj61ELj61EENSt9enable_ifIXntsr10test_utilsE35device_test_enabled_for_warp_size_vIXT1_EEEvE4typeEPT_S4_S4_S3_: ; @_Z33warp_exclusive_scan_reduce_kernelIiLj61ELj61EENSt9enable_ifIXntsr10test_utilsE35device_test_enabled_for_warp_size_vIXT1_EEEvE4typeEPT_S4_S4_S3_
; %bb.0:
	s_endpgm
	.section	.rodata,"a",@progbits
	.p2align	6, 0x0
	.amdhsa_kernel _Z33warp_exclusive_scan_reduce_kernelIiLj61ELj61EENSt9enable_ifIXntsr10test_utilsE35device_test_enabled_for_warp_size_vIXT1_EEEvE4typeEPT_S4_S4_S3_
		.amdhsa_group_segment_fixed_size 0
		.amdhsa_private_segment_fixed_size 0
		.amdhsa_kernarg_size 28
		.amdhsa_user_sgpr_count 15
		.amdhsa_user_sgpr_dispatch_ptr 0
		.amdhsa_user_sgpr_queue_ptr 0
		.amdhsa_user_sgpr_kernarg_segment_ptr 1
		.amdhsa_user_sgpr_dispatch_id 0
		.amdhsa_user_sgpr_private_segment_size 0
		.amdhsa_wavefront_size32 1
		.amdhsa_uses_dynamic_stack 0
		.amdhsa_enable_private_segment 0
		.amdhsa_system_sgpr_workgroup_id_x 1
		.amdhsa_system_sgpr_workgroup_id_y 0
		.amdhsa_system_sgpr_workgroup_id_z 0
		.amdhsa_system_sgpr_workgroup_info 0
		.amdhsa_system_vgpr_workitem_id 0
		.amdhsa_next_free_vgpr 1
		.amdhsa_next_free_sgpr 1
		.amdhsa_reserve_vcc 0
		.amdhsa_float_round_mode_32 0
		.amdhsa_float_round_mode_16_64 0
		.amdhsa_float_denorm_mode_32 3
		.amdhsa_float_denorm_mode_16_64 3
		.amdhsa_dx10_clamp 1
		.amdhsa_ieee_mode 1
		.amdhsa_fp16_overflow 0
		.amdhsa_workgroup_processor_mode 1
		.amdhsa_memory_ordered 1
		.amdhsa_forward_progress 0
		.amdhsa_shared_vgpr_count 0
		.amdhsa_exception_fp_ieee_invalid_op 0
		.amdhsa_exception_fp_denorm_src 0
		.amdhsa_exception_fp_ieee_div_zero 0
		.amdhsa_exception_fp_ieee_overflow 0
		.amdhsa_exception_fp_ieee_underflow 0
		.amdhsa_exception_fp_ieee_inexact 0
		.amdhsa_exception_int_div_zero 0
	.end_amdhsa_kernel
	.section	.text._Z33warp_exclusive_scan_reduce_kernelIiLj61ELj61EENSt9enable_ifIXntsr10test_utilsE35device_test_enabled_for_warp_size_vIXT1_EEEvE4typeEPT_S4_S4_S3_,"axG",@progbits,_Z33warp_exclusive_scan_reduce_kernelIiLj61ELj61EENSt9enable_ifIXntsr10test_utilsE35device_test_enabled_for_warp_size_vIXT1_EEEvE4typeEPT_S4_S4_S3_,comdat
.Lfunc_end179:
	.size	_Z33warp_exclusive_scan_reduce_kernelIiLj61ELj61EENSt9enable_ifIXntsr10test_utilsE35device_test_enabled_for_warp_size_vIXT1_EEEvE4typeEPT_S4_S4_S3_, .Lfunc_end179-_Z33warp_exclusive_scan_reduce_kernelIiLj61ELj61EENSt9enable_ifIXntsr10test_utilsE35device_test_enabled_for_warp_size_vIXT1_EEEvE4typeEPT_S4_S4_S3_
                                        ; -- End function
	.section	.AMDGPU.csdata,"",@progbits
; Kernel info:
; codeLenInByte = 4
; NumSgprs: 0
; NumVgprs: 0
; ScratchSize: 0
; MemoryBound: 0
; FloatMode: 240
; IeeeMode: 1
; LDSByteSize: 0 bytes/workgroup (compile time only)
; SGPRBlocks: 0
; VGPRBlocks: 0
; NumSGPRsForWavesPerEU: 1
; NumVGPRsForWavesPerEU: 1
; Occupancy: 16
; WaveLimiterHint : 0
; COMPUTE_PGM_RSRC2:SCRATCH_EN: 0
; COMPUTE_PGM_RSRC2:USER_SGPR: 15
; COMPUTE_PGM_RSRC2:TRAP_HANDLER: 0
; COMPUTE_PGM_RSRC2:TGID_X_EN: 1
; COMPUTE_PGM_RSRC2:TGID_Y_EN: 0
; COMPUTE_PGM_RSRC2:TGID_Z_EN: 0
; COMPUTE_PGM_RSRC2:TIDIG_COMP_CNT: 0
	.section	.text._Z33warp_exclusive_scan_reduce_kernelIiLj1ELj37EENSt9enable_ifIXntsr10test_utilsE35device_test_enabled_for_warp_size_vIXT1_EEEvE4typeEPT_S4_S4_S3_,"axG",@progbits,_Z33warp_exclusive_scan_reduce_kernelIiLj1ELj37EENSt9enable_ifIXntsr10test_utilsE35device_test_enabled_for_warp_size_vIXT1_EEEvE4typeEPT_S4_S4_S3_,comdat
	.protected	_Z33warp_exclusive_scan_reduce_kernelIiLj1ELj37EENSt9enable_ifIXntsr10test_utilsE35device_test_enabled_for_warp_size_vIXT1_EEEvE4typeEPT_S4_S4_S3_ ; -- Begin function _Z33warp_exclusive_scan_reduce_kernelIiLj1ELj37EENSt9enable_ifIXntsr10test_utilsE35device_test_enabled_for_warp_size_vIXT1_EEEvE4typeEPT_S4_S4_S3_
	.globl	_Z33warp_exclusive_scan_reduce_kernelIiLj1ELj37EENSt9enable_ifIXntsr10test_utilsE35device_test_enabled_for_warp_size_vIXT1_EEEvE4typeEPT_S4_S4_S3_
	.p2align	8
	.type	_Z33warp_exclusive_scan_reduce_kernelIiLj1ELj37EENSt9enable_ifIXntsr10test_utilsE35device_test_enabled_for_warp_size_vIXT1_EEEvE4typeEPT_S4_S4_S3_,@function
_Z33warp_exclusive_scan_reduce_kernelIiLj1ELj37EENSt9enable_ifIXntsr10test_utilsE35device_test_enabled_for_warp_size_vIXT1_EEEvE4typeEPT_S4_S4_S3_: ; @_Z33warp_exclusive_scan_reduce_kernelIiLj1ELj37EENSt9enable_ifIXntsr10test_utilsE35device_test_enabled_for_warp_size_vIXT1_EEEvE4typeEPT_S4_S4_S3_
; %bb.0:
	s_endpgm
	.section	.rodata,"a",@progbits
	.p2align	6, 0x0
	.amdhsa_kernel _Z33warp_exclusive_scan_reduce_kernelIiLj1ELj37EENSt9enable_ifIXntsr10test_utilsE35device_test_enabled_for_warp_size_vIXT1_EEEvE4typeEPT_S4_S4_S3_
		.amdhsa_group_segment_fixed_size 0
		.amdhsa_private_segment_fixed_size 0
		.amdhsa_kernarg_size 28
		.amdhsa_user_sgpr_count 15
		.amdhsa_user_sgpr_dispatch_ptr 0
		.amdhsa_user_sgpr_queue_ptr 0
		.amdhsa_user_sgpr_kernarg_segment_ptr 1
		.amdhsa_user_sgpr_dispatch_id 0
		.amdhsa_user_sgpr_private_segment_size 0
		.amdhsa_wavefront_size32 1
		.amdhsa_uses_dynamic_stack 0
		.amdhsa_enable_private_segment 0
		.amdhsa_system_sgpr_workgroup_id_x 1
		.amdhsa_system_sgpr_workgroup_id_y 0
		.amdhsa_system_sgpr_workgroup_id_z 0
		.amdhsa_system_sgpr_workgroup_info 0
		.amdhsa_system_vgpr_workitem_id 0
		.amdhsa_next_free_vgpr 1
		.amdhsa_next_free_sgpr 1
		.amdhsa_reserve_vcc 0
		.amdhsa_float_round_mode_32 0
		.amdhsa_float_round_mode_16_64 0
		.amdhsa_float_denorm_mode_32 3
		.amdhsa_float_denorm_mode_16_64 3
		.amdhsa_dx10_clamp 1
		.amdhsa_ieee_mode 1
		.amdhsa_fp16_overflow 0
		.amdhsa_workgroup_processor_mode 1
		.amdhsa_memory_ordered 1
		.amdhsa_forward_progress 0
		.amdhsa_shared_vgpr_count 0
		.amdhsa_exception_fp_ieee_invalid_op 0
		.amdhsa_exception_fp_denorm_src 0
		.amdhsa_exception_fp_ieee_div_zero 0
		.amdhsa_exception_fp_ieee_overflow 0
		.amdhsa_exception_fp_ieee_underflow 0
		.amdhsa_exception_fp_ieee_inexact 0
		.amdhsa_exception_int_div_zero 0
	.end_amdhsa_kernel
	.section	.text._Z33warp_exclusive_scan_reduce_kernelIiLj1ELj37EENSt9enable_ifIXntsr10test_utilsE35device_test_enabled_for_warp_size_vIXT1_EEEvE4typeEPT_S4_S4_S3_,"axG",@progbits,_Z33warp_exclusive_scan_reduce_kernelIiLj1ELj37EENSt9enable_ifIXntsr10test_utilsE35device_test_enabled_for_warp_size_vIXT1_EEEvE4typeEPT_S4_S4_S3_,comdat
.Lfunc_end180:
	.size	_Z33warp_exclusive_scan_reduce_kernelIiLj1ELj37EENSt9enable_ifIXntsr10test_utilsE35device_test_enabled_for_warp_size_vIXT1_EEEvE4typeEPT_S4_S4_S3_, .Lfunc_end180-_Z33warp_exclusive_scan_reduce_kernelIiLj1ELj37EENSt9enable_ifIXntsr10test_utilsE35device_test_enabled_for_warp_size_vIXT1_EEEvE4typeEPT_S4_S4_S3_
                                        ; -- End function
	.section	.AMDGPU.csdata,"",@progbits
; Kernel info:
; codeLenInByte = 4
; NumSgprs: 0
; NumVgprs: 0
; ScratchSize: 0
; MemoryBound: 0
; FloatMode: 240
; IeeeMode: 1
; LDSByteSize: 0 bytes/workgroup (compile time only)
; SGPRBlocks: 0
; VGPRBlocks: 0
; NumSGPRsForWavesPerEU: 1
; NumVGPRsForWavesPerEU: 1
; Occupancy: 16
; WaveLimiterHint : 0
; COMPUTE_PGM_RSRC2:SCRATCH_EN: 0
; COMPUTE_PGM_RSRC2:USER_SGPR: 15
; COMPUTE_PGM_RSRC2:TRAP_HANDLER: 0
; COMPUTE_PGM_RSRC2:TGID_X_EN: 1
; COMPUTE_PGM_RSRC2:TGID_Y_EN: 0
; COMPUTE_PGM_RSRC2:TGID_Z_EN: 0
; COMPUTE_PGM_RSRC2:TIDIG_COMP_CNT: 0
	.section	.text._Z33warp_exclusive_scan_reduce_kernelIiLj37ELj37EENSt9enable_ifIXntsr10test_utilsE35device_test_enabled_for_warp_size_vIXT1_EEEvE4typeEPT_S4_S4_S3_,"axG",@progbits,_Z33warp_exclusive_scan_reduce_kernelIiLj37ELj37EENSt9enable_ifIXntsr10test_utilsE35device_test_enabled_for_warp_size_vIXT1_EEEvE4typeEPT_S4_S4_S3_,comdat
	.protected	_Z33warp_exclusive_scan_reduce_kernelIiLj37ELj37EENSt9enable_ifIXntsr10test_utilsE35device_test_enabled_for_warp_size_vIXT1_EEEvE4typeEPT_S4_S4_S3_ ; -- Begin function _Z33warp_exclusive_scan_reduce_kernelIiLj37ELj37EENSt9enable_ifIXntsr10test_utilsE35device_test_enabled_for_warp_size_vIXT1_EEEvE4typeEPT_S4_S4_S3_
	.globl	_Z33warp_exclusive_scan_reduce_kernelIiLj37ELj37EENSt9enable_ifIXntsr10test_utilsE35device_test_enabled_for_warp_size_vIXT1_EEEvE4typeEPT_S4_S4_S3_
	.p2align	8
	.type	_Z33warp_exclusive_scan_reduce_kernelIiLj37ELj37EENSt9enable_ifIXntsr10test_utilsE35device_test_enabled_for_warp_size_vIXT1_EEEvE4typeEPT_S4_S4_S3_,@function
_Z33warp_exclusive_scan_reduce_kernelIiLj37ELj37EENSt9enable_ifIXntsr10test_utilsE35device_test_enabled_for_warp_size_vIXT1_EEEvE4typeEPT_S4_S4_S3_: ; @_Z33warp_exclusive_scan_reduce_kernelIiLj37ELj37EENSt9enable_ifIXntsr10test_utilsE35device_test_enabled_for_warp_size_vIXT1_EEEvE4typeEPT_S4_S4_S3_
; %bb.0:
	s_endpgm
	.section	.rodata,"a",@progbits
	.p2align	6, 0x0
	.amdhsa_kernel _Z33warp_exclusive_scan_reduce_kernelIiLj37ELj37EENSt9enable_ifIXntsr10test_utilsE35device_test_enabled_for_warp_size_vIXT1_EEEvE4typeEPT_S4_S4_S3_
		.amdhsa_group_segment_fixed_size 0
		.amdhsa_private_segment_fixed_size 0
		.amdhsa_kernarg_size 28
		.amdhsa_user_sgpr_count 15
		.amdhsa_user_sgpr_dispatch_ptr 0
		.amdhsa_user_sgpr_queue_ptr 0
		.amdhsa_user_sgpr_kernarg_segment_ptr 1
		.amdhsa_user_sgpr_dispatch_id 0
		.amdhsa_user_sgpr_private_segment_size 0
		.amdhsa_wavefront_size32 1
		.amdhsa_uses_dynamic_stack 0
		.amdhsa_enable_private_segment 0
		.amdhsa_system_sgpr_workgroup_id_x 1
		.amdhsa_system_sgpr_workgroup_id_y 0
		.amdhsa_system_sgpr_workgroup_id_z 0
		.amdhsa_system_sgpr_workgroup_info 0
		.amdhsa_system_vgpr_workitem_id 0
		.amdhsa_next_free_vgpr 1
		.amdhsa_next_free_sgpr 1
		.amdhsa_reserve_vcc 0
		.amdhsa_float_round_mode_32 0
		.amdhsa_float_round_mode_16_64 0
		.amdhsa_float_denorm_mode_32 3
		.amdhsa_float_denorm_mode_16_64 3
		.amdhsa_dx10_clamp 1
		.amdhsa_ieee_mode 1
		.amdhsa_fp16_overflow 0
		.amdhsa_workgroup_processor_mode 1
		.amdhsa_memory_ordered 1
		.amdhsa_forward_progress 0
		.amdhsa_shared_vgpr_count 0
		.amdhsa_exception_fp_ieee_invalid_op 0
		.amdhsa_exception_fp_denorm_src 0
		.amdhsa_exception_fp_ieee_div_zero 0
		.amdhsa_exception_fp_ieee_overflow 0
		.amdhsa_exception_fp_ieee_underflow 0
		.amdhsa_exception_fp_ieee_inexact 0
		.amdhsa_exception_int_div_zero 0
	.end_amdhsa_kernel
	.section	.text._Z33warp_exclusive_scan_reduce_kernelIiLj37ELj37EENSt9enable_ifIXntsr10test_utilsE35device_test_enabled_for_warp_size_vIXT1_EEEvE4typeEPT_S4_S4_S3_,"axG",@progbits,_Z33warp_exclusive_scan_reduce_kernelIiLj37ELj37EENSt9enable_ifIXntsr10test_utilsE35device_test_enabled_for_warp_size_vIXT1_EEEvE4typeEPT_S4_S4_S3_,comdat
.Lfunc_end181:
	.size	_Z33warp_exclusive_scan_reduce_kernelIiLj37ELj37EENSt9enable_ifIXntsr10test_utilsE35device_test_enabled_for_warp_size_vIXT1_EEEvE4typeEPT_S4_S4_S3_, .Lfunc_end181-_Z33warp_exclusive_scan_reduce_kernelIiLj37ELj37EENSt9enable_ifIXntsr10test_utilsE35device_test_enabled_for_warp_size_vIXT1_EEEvE4typeEPT_S4_S4_S3_
                                        ; -- End function
	.section	.AMDGPU.csdata,"",@progbits
; Kernel info:
; codeLenInByte = 4
; NumSgprs: 0
; NumVgprs: 0
; ScratchSize: 0
; MemoryBound: 0
; FloatMode: 240
; IeeeMode: 1
; LDSByteSize: 0 bytes/workgroup (compile time only)
; SGPRBlocks: 0
; VGPRBlocks: 0
; NumSGPRsForWavesPerEU: 1
; NumVGPRsForWavesPerEU: 1
; Occupancy: 16
; WaveLimiterHint : 0
; COMPUTE_PGM_RSRC2:SCRATCH_EN: 0
; COMPUTE_PGM_RSRC2:USER_SGPR: 15
; COMPUTE_PGM_RSRC2:TRAP_HANDLER: 0
; COMPUTE_PGM_RSRC2:TGID_X_EN: 1
; COMPUTE_PGM_RSRC2:TGID_Y_EN: 0
; COMPUTE_PGM_RSRC2:TGID_Z_EN: 0
; COMPUTE_PGM_RSRC2:TIDIG_COMP_CNT: 0
	.section	.text._Z33warp_exclusive_scan_reduce_kernelIiLj30ELj15EENSt9enable_ifIXsr10test_utilsE35device_test_enabled_for_warp_size_vIXT1_EEEvE4typeEPT_S4_S4_S3_,"axG",@progbits,_Z33warp_exclusive_scan_reduce_kernelIiLj30ELj15EENSt9enable_ifIXsr10test_utilsE35device_test_enabled_for_warp_size_vIXT1_EEEvE4typeEPT_S4_S4_S3_,comdat
	.protected	_Z33warp_exclusive_scan_reduce_kernelIiLj30ELj15EENSt9enable_ifIXsr10test_utilsE35device_test_enabled_for_warp_size_vIXT1_EEEvE4typeEPT_S4_S4_S3_ ; -- Begin function _Z33warp_exclusive_scan_reduce_kernelIiLj30ELj15EENSt9enable_ifIXsr10test_utilsE35device_test_enabled_for_warp_size_vIXT1_EEEvE4typeEPT_S4_S4_S3_
	.globl	_Z33warp_exclusive_scan_reduce_kernelIiLj30ELj15EENSt9enable_ifIXsr10test_utilsE35device_test_enabled_for_warp_size_vIXT1_EEEvE4typeEPT_S4_S4_S3_
	.p2align	8
	.type	_Z33warp_exclusive_scan_reduce_kernelIiLj30ELj15EENSt9enable_ifIXsr10test_utilsE35device_test_enabled_for_warp_size_vIXT1_EEEvE4typeEPT_S4_S4_S3_,@function
_Z33warp_exclusive_scan_reduce_kernelIiLj30ELj15EENSt9enable_ifIXsr10test_utilsE35device_test_enabled_for_warp_size_vIXT1_EEEvE4typeEPT_S4_S4_S3_: ; @_Z33warp_exclusive_scan_reduce_kernelIiLj30ELj15EENSt9enable_ifIXsr10test_utilsE35device_test_enabled_for_warp_size_vIXT1_EEEvE4typeEPT_S4_S4_S3_
; %bb.0:
	s_clause 0x1
	s_load_b32 s2, s[0:1], 0x2c
	s_load_b128 s[4:7], s[0:1], 0x0
	v_mul_u32_u24_e32 v7, 0x1112, v0
	s_waitcnt lgkmcnt(0)
	s_and_b32 s2, s2, 0xffff
	s_delay_alu instid0(SALU_CYCLE_1) | instskip(SKIP_1) | instid1(VALU_DEP_1)
	v_mad_u64_u32 v[1:2], null, s15, s2, v[0:1]
	v_mov_b32_e32 v2, 0
	v_lshlrev_b64 v[2:3], 2, v[1:2]
	s_delay_alu instid0(VALU_DEP_1) | instskip(NEXT) | instid1(VALU_DEP_2)
	v_add_co_u32 v4, vcc_lo, s4, v2
	v_add_co_ci_u32_e32 v5, vcc_lo, s5, v3, vcc_lo
	global_load_b32 v6, v[4:5], off
	v_mbcnt_lo_u32_b32 v4, -1, 0
	s_delay_alu instid0(VALU_DEP_1) | instskip(NEXT) | instid1(VALU_DEP_1)
	v_mul_hi_u32 v5, 0x11111112, v4
	v_mul_u32_u24_e32 v5, 15, v5
	s_delay_alu instid0(VALU_DEP_1) | instskip(SKIP_1) | instid1(VALU_DEP_2)
	v_sub_nc_u32_e32 v8, v4, v5
	v_lshrrev_b32_e32 v4, 16, v7
	v_lshlrev_b32_e32 v5, 2, v8
	v_cmp_ne_u32_e32 vcc_lo, 0, v8
	s_delay_alu instid0(VALU_DEP_2) | instskip(NEXT) | instid1(VALU_DEP_1)
	v_mad_u32_u24 v7, v4, 60, v5
	v_add_nc_u32_e32 v5, -4, v7
	s_waitcnt vmcnt(0)
	ds_store_b32 v7, v6
	; wave barrier
	s_and_saveexec_b32 s2, vcc_lo
	s_cbranch_execz .LBB182_2
; %bb.1:
	ds_load_b32 v9, v5
	s_waitcnt lgkmcnt(0)
	v_add_nc_u32_e32 v6, v9, v6
.LBB182_2:
	s_or_b32 exec_lo, exec_lo, s2
	; wave barrier
	s_and_saveexec_b32 s2, vcc_lo
	s_cbranch_execz .LBB182_4
; %bb.3:
	ds_store_b32 v7, v6
.LBB182_4:
	s_or_b32 exec_lo, exec_lo, s2
	v_cmp_lt_u32_e64 s2, 1, v8
	; wave barrier
	s_delay_alu instid0(VALU_DEP_1)
	s_and_saveexec_b32 s3, s2
	s_cbranch_execz .LBB182_6
; %bb.5:
	v_add_nc_u32_e32 v9, -8, v7
	ds_load_b32 v9, v9
	s_waitcnt lgkmcnt(0)
	v_add_nc_u32_e32 v6, v9, v6
.LBB182_6:
	s_or_b32 exec_lo, exec_lo, s3
	; wave barrier
	s_and_saveexec_b32 s3, s2
	s_cbranch_execz .LBB182_8
; %bb.7:
	ds_store_b32 v7, v6
.LBB182_8:
	s_or_b32 exec_lo, exec_lo, s3
	v_cmp_lt_u32_e64 s2, 3, v8
	; wave barrier
	s_delay_alu instid0(VALU_DEP_1)
	s_and_saveexec_b32 s3, s2
	s_cbranch_execz .LBB182_10
; %bb.9:
	v_add_nc_u32_e32 v9, -16, v7
	ds_load_b32 v9, v9
	s_waitcnt lgkmcnt(0)
	v_add_nc_u32_e32 v6, v9, v6
.LBB182_10:
	s_or_b32 exec_lo, exec_lo, s3
	; wave barrier
	s_and_saveexec_b32 s3, s2
	s_cbranch_execz .LBB182_12
; %bb.11:
	ds_store_b32 v7, v6
.LBB182_12:
	s_or_b32 exec_lo, exec_lo, s3
	s_load_b64 s[4:5], s[0:1], 0x10
	v_cmp_lt_u32_e64 s2, 7, v8
	; wave barrier
	s_delay_alu instid0(VALU_DEP_1)
	s_and_saveexec_b32 s3, s2
	s_cbranch_execz .LBB182_14
; %bb.13:
	v_subrev_nc_u32_e32 v8, 32, v7
	ds_load_b32 v8, v8
	s_waitcnt lgkmcnt(0)
	v_add_nc_u32_e32 v6, v8, v6
.LBB182_14:
	s_or_b32 exec_lo, exec_lo, s3
	v_mul_u32_u24_e32 v8, 60, v4
	; wave barrier
	s_and_saveexec_b32 s3, s2
	s_cbranch_execz .LBB182_16
; %bb.15:
	ds_store_b32 v7, v6
.LBB182_16:
	s_or_b32 exec_lo, exec_lo, s3
	s_load_b32 s0, s[0:1], 0x18
	; wave barrier
	ds_load_b32 v6, v8 offset:56
	s_waitcnt lgkmcnt(0)
	v_mov_b32_e32 v7, s0
	s_and_saveexec_b32 s1, vcc_lo
	s_cbranch_execz .LBB182_18
; %bb.17:
	ds_load_b32 v5, v5
	s_waitcnt lgkmcnt(0)
	v_add_nc_u32_e32 v7, s0, v5
.LBB182_18:
	s_or_b32 exec_lo, exec_lo, s1
	v_mul_lo_u16 v4, v4, 15
	v_add_co_u32 v2, vcc_lo, s6, v2
	v_add_co_ci_u32_e32 v3, vcc_lo, s7, v3, vcc_lo
	s_delay_alu instid0(VALU_DEP_3)
	v_sub_nc_u16 v0, v0, v4
	s_mov_b32 s0, exec_lo
	global_store_b32 v[2:3], v7, off
	v_cmpx_eq_u16_e32 0, v0
	s_cbranch_execz .LBB182_20
; %bb.19:
	v_mul_hi_u32 v0, 0x88888889, v1
	s_delay_alu instid0(VALU_DEP_1) | instskip(NEXT) | instid1(VALU_DEP_1)
	v_lshrrev_b32_e32 v0, 1, v0
	v_and_b32_e32 v0, 0x7ffffffc, v0
	global_store_b32 v0, v6, s[4:5]
.LBB182_20:
	s_nop 0
	s_sendmsg sendmsg(MSG_DEALLOC_VGPRS)
	s_endpgm
	.section	.rodata,"a",@progbits
	.p2align	6, 0x0
	.amdhsa_kernel _Z33warp_exclusive_scan_reduce_kernelIiLj30ELj15EENSt9enable_ifIXsr10test_utilsE35device_test_enabled_for_warp_size_vIXT1_EEEvE4typeEPT_S4_S4_S3_
		.amdhsa_group_segment_fixed_size 120
		.amdhsa_private_segment_fixed_size 0
		.amdhsa_kernarg_size 288
		.amdhsa_user_sgpr_count 15
		.amdhsa_user_sgpr_dispatch_ptr 0
		.amdhsa_user_sgpr_queue_ptr 0
		.amdhsa_user_sgpr_kernarg_segment_ptr 1
		.amdhsa_user_sgpr_dispatch_id 0
		.amdhsa_user_sgpr_private_segment_size 0
		.amdhsa_wavefront_size32 1
		.amdhsa_uses_dynamic_stack 0
		.amdhsa_enable_private_segment 0
		.amdhsa_system_sgpr_workgroup_id_x 1
		.amdhsa_system_sgpr_workgroup_id_y 0
		.amdhsa_system_sgpr_workgroup_id_z 0
		.amdhsa_system_sgpr_workgroup_info 0
		.amdhsa_system_vgpr_workitem_id 0
		.amdhsa_next_free_vgpr 10
		.amdhsa_next_free_sgpr 16
		.amdhsa_reserve_vcc 1
		.amdhsa_float_round_mode_32 0
		.amdhsa_float_round_mode_16_64 0
		.amdhsa_float_denorm_mode_32 3
		.amdhsa_float_denorm_mode_16_64 3
		.amdhsa_dx10_clamp 1
		.amdhsa_ieee_mode 1
		.amdhsa_fp16_overflow 0
		.amdhsa_workgroup_processor_mode 1
		.amdhsa_memory_ordered 1
		.amdhsa_forward_progress 0
		.amdhsa_shared_vgpr_count 0
		.amdhsa_exception_fp_ieee_invalid_op 0
		.amdhsa_exception_fp_denorm_src 0
		.amdhsa_exception_fp_ieee_div_zero 0
		.amdhsa_exception_fp_ieee_overflow 0
		.amdhsa_exception_fp_ieee_underflow 0
		.amdhsa_exception_fp_ieee_inexact 0
		.amdhsa_exception_int_div_zero 0
	.end_amdhsa_kernel
	.section	.text._Z33warp_exclusive_scan_reduce_kernelIiLj30ELj15EENSt9enable_ifIXsr10test_utilsE35device_test_enabled_for_warp_size_vIXT1_EEEvE4typeEPT_S4_S4_S3_,"axG",@progbits,_Z33warp_exclusive_scan_reduce_kernelIiLj30ELj15EENSt9enable_ifIXsr10test_utilsE35device_test_enabled_for_warp_size_vIXT1_EEEvE4typeEPT_S4_S4_S3_,comdat
.Lfunc_end182:
	.size	_Z33warp_exclusive_scan_reduce_kernelIiLj30ELj15EENSt9enable_ifIXsr10test_utilsE35device_test_enabled_for_warp_size_vIXT1_EEEvE4typeEPT_S4_S4_S3_, .Lfunc_end182-_Z33warp_exclusive_scan_reduce_kernelIiLj30ELj15EENSt9enable_ifIXsr10test_utilsE35device_test_enabled_for_warp_size_vIXT1_EEEvE4typeEPT_S4_S4_S3_
                                        ; -- End function
	.section	.AMDGPU.csdata,"",@progbits
; Kernel info:
; codeLenInByte = 568
; NumSgprs: 18
; NumVgprs: 10
; ScratchSize: 0
; MemoryBound: 0
; FloatMode: 240
; IeeeMode: 1
; LDSByteSize: 120 bytes/workgroup (compile time only)
; SGPRBlocks: 2
; VGPRBlocks: 1
; NumSGPRsForWavesPerEU: 18
; NumVGPRsForWavesPerEU: 10
; Occupancy: 16
; WaveLimiterHint : 0
; COMPUTE_PGM_RSRC2:SCRATCH_EN: 0
; COMPUTE_PGM_RSRC2:USER_SGPR: 15
; COMPUTE_PGM_RSRC2:TRAP_HANDLER: 0
; COMPUTE_PGM_RSRC2:TGID_X_EN: 1
; COMPUTE_PGM_RSRC2:TGID_Y_EN: 0
; COMPUTE_PGM_RSRC2:TGID_Z_EN: 0
; COMPUTE_PGM_RSRC2:TIDIG_COMP_CNT: 0
	.section	.text._Z33warp_exclusive_scan_reduce_kernelIiLj60ELj15EENSt9enable_ifIXsr10test_utilsE35device_test_enabled_for_warp_size_vIXT1_EEEvE4typeEPT_S4_S4_S3_,"axG",@progbits,_Z33warp_exclusive_scan_reduce_kernelIiLj60ELj15EENSt9enable_ifIXsr10test_utilsE35device_test_enabled_for_warp_size_vIXT1_EEEvE4typeEPT_S4_S4_S3_,comdat
	.protected	_Z33warp_exclusive_scan_reduce_kernelIiLj60ELj15EENSt9enable_ifIXsr10test_utilsE35device_test_enabled_for_warp_size_vIXT1_EEEvE4typeEPT_S4_S4_S3_ ; -- Begin function _Z33warp_exclusive_scan_reduce_kernelIiLj60ELj15EENSt9enable_ifIXsr10test_utilsE35device_test_enabled_for_warp_size_vIXT1_EEEvE4typeEPT_S4_S4_S3_
	.globl	_Z33warp_exclusive_scan_reduce_kernelIiLj60ELj15EENSt9enable_ifIXsr10test_utilsE35device_test_enabled_for_warp_size_vIXT1_EEEvE4typeEPT_S4_S4_S3_
	.p2align	8
	.type	_Z33warp_exclusive_scan_reduce_kernelIiLj60ELj15EENSt9enable_ifIXsr10test_utilsE35device_test_enabled_for_warp_size_vIXT1_EEEvE4typeEPT_S4_S4_S3_,@function
_Z33warp_exclusive_scan_reduce_kernelIiLj60ELj15EENSt9enable_ifIXsr10test_utilsE35device_test_enabled_for_warp_size_vIXT1_EEEvE4typeEPT_S4_S4_S3_: ; @_Z33warp_exclusive_scan_reduce_kernelIiLj60ELj15EENSt9enable_ifIXsr10test_utilsE35device_test_enabled_for_warp_size_vIXT1_EEEvE4typeEPT_S4_S4_S3_
; %bb.0:
	s_clause 0x1
	s_load_b32 s2, s[0:1], 0x2c
	s_load_b128 s[4:7], s[0:1], 0x0
	v_mul_u32_u24_e32 v7, 0x1112, v0
	s_waitcnt lgkmcnt(0)
	s_and_b32 s2, s2, 0xffff
	s_delay_alu instid0(SALU_CYCLE_1) | instskip(SKIP_1) | instid1(VALU_DEP_1)
	v_mad_u64_u32 v[1:2], null, s15, s2, v[0:1]
	v_mov_b32_e32 v2, 0
	v_lshlrev_b64 v[2:3], 2, v[1:2]
	s_delay_alu instid0(VALU_DEP_1) | instskip(NEXT) | instid1(VALU_DEP_2)
	v_add_co_u32 v4, vcc_lo, s4, v2
	v_add_co_ci_u32_e32 v5, vcc_lo, s5, v3, vcc_lo
	global_load_b32 v6, v[4:5], off
	v_mbcnt_lo_u32_b32 v4, -1, 0
	s_delay_alu instid0(VALU_DEP_1) | instskip(NEXT) | instid1(VALU_DEP_1)
	v_mul_hi_u32 v5, 0x11111112, v4
	v_mul_u32_u24_e32 v5, 15, v5
	s_delay_alu instid0(VALU_DEP_1) | instskip(SKIP_1) | instid1(VALU_DEP_2)
	v_sub_nc_u32_e32 v8, v4, v5
	v_lshrrev_b32_e32 v4, 16, v7
	v_lshlrev_b32_e32 v5, 2, v8
	v_cmp_ne_u32_e32 vcc_lo, 0, v8
	s_delay_alu instid0(VALU_DEP_2) | instskip(NEXT) | instid1(VALU_DEP_1)
	v_mad_u32_u24 v7, v4, 60, v5
	v_add_nc_u32_e32 v5, -4, v7
	s_waitcnt vmcnt(0)
	ds_store_b32 v7, v6
	; wave barrier
	s_and_saveexec_b32 s2, vcc_lo
	s_cbranch_execz .LBB183_2
; %bb.1:
	ds_load_b32 v9, v5
	s_waitcnt lgkmcnt(0)
	v_add_nc_u32_e32 v6, v9, v6
.LBB183_2:
	s_or_b32 exec_lo, exec_lo, s2
	; wave barrier
	s_and_saveexec_b32 s2, vcc_lo
	s_cbranch_execz .LBB183_4
; %bb.3:
	ds_store_b32 v7, v6
.LBB183_4:
	s_or_b32 exec_lo, exec_lo, s2
	v_cmp_lt_u32_e64 s2, 1, v8
	; wave barrier
	s_delay_alu instid0(VALU_DEP_1)
	s_and_saveexec_b32 s3, s2
	s_cbranch_execz .LBB183_6
; %bb.5:
	v_add_nc_u32_e32 v9, -8, v7
	ds_load_b32 v9, v9
	s_waitcnt lgkmcnt(0)
	v_add_nc_u32_e32 v6, v9, v6
.LBB183_6:
	s_or_b32 exec_lo, exec_lo, s3
	; wave barrier
	s_and_saveexec_b32 s3, s2
	s_cbranch_execz .LBB183_8
; %bb.7:
	ds_store_b32 v7, v6
.LBB183_8:
	s_or_b32 exec_lo, exec_lo, s3
	v_cmp_lt_u32_e64 s2, 3, v8
	; wave barrier
	s_delay_alu instid0(VALU_DEP_1)
	s_and_saveexec_b32 s3, s2
	s_cbranch_execz .LBB183_10
; %bb.9:
	v_add_nc_u32_e32 v9, -16, v7
	ds_load_b32 v9, v9
	s_waitcnt lgkmcnt(0)
	v_add_nc_u32_e32 v6, v9, v6
.LBB183_10:
	s_or_b32 exec_lo, exec_lo, s3
	; wave barrier
	s_and_saveexec_b32 s3, s2
	s_cbranch_execz .LBB183_12
; %bb.11:
	ds_store_b32 v7, v6
.LBB183_12:
	s_or_b32 exec_lo, exec_lo, s3
	s_load_b64 s[4:5], s[0:1], 0x10
	v_cmp_lt_u32_e64 s2, 7, v8
	; wave barrier
	s_delay_alu instid0(VALU_DEP_1)
	s_and_saveexec_b32 s3, s2
	s_cbranch_execz .LBB183_14
; %bb.13:
	v_subrev_nc_u32_e32 v8, 32, v7
	ds_load_b32 v8, v8
	s_waitcnt lgkmcnt(0)
	v_add_nc_u32_e32 v6, v8, v6
.LBB183_14:
	s_or_b32 exec_lo, exec_lo, s3
	v_mul_u32_u24_e32 v8, 60, v4
	; wave barrier
	s_and_saveexec_b32 s3, s2
	s_cbranch_execz .LBB183_16
; %bb.15:
	ds_store_b32 v7, v6
.LBB183_16:
	s_or_b32 exec_lo, exec_lo, s3
	s_load_b32 s0, s[0:1], 0x18
	; wave barrier
	ds_load_b32 v6, v8 offset:56
	s_waitcnt lgkmcnt(0)
	v_mov_b32_e32 v7, s0
	s_and_saveexec_b32 s1, vcc_lo
	s_cbranch_execz .LBB183_18
; %bb.17:
	ds_load_b32 v5, v5
	s_waitcnt lgkmcnt(0)
	v_add_nc_u32_e32 v7, s0, v5
.LBB183_18:
	s_or_b32 exec_lo, exec_lo, s1
	v_mul_lo_u16 v4, v4, 15
	v_add_co_u32 v2, vcc_lo, s6, v2
	v_add_co_ci_u32_e32 v3, vcc_lo, s7, v3, vcc_lo
	s_delay_alu instid0(VALU_DEP_3)
	v_sub_nc_u16 v0, v0, v4
	s_mov_b32 s0, exec_lo
	global_store_b32 v[2:3], v7, off
	v_cmpx_eq_u16_e32 0, v0
	s_cbranch_execz .LBB183_20
; %bb.19:
	v_mul_hi_u32 v0, 0x88888889, v1
	s_delay_alu instid0(VALU_DEP_1) | instskip(NEXT) | instid1(VALU_DEP_1)
	v_lshrrev_b32_e32 v0, 1, v0
	v_and_b32_e32 v0, 0x7ffffffc, v0
	global_store_b32 v0, v6, s[4:5]
.LBB183_20:
	s_nop 0
	s_sendmsg sendmsg(MSG_DEALLOC_VGPRS)
	s_endpgm
	.section	.rodata,"a",@progbits
	.p2align	6, 0x0
	.amdhsa_kernel _Z33warp_exclusive_scan_reduce_kernelIiLj60ELj15EENSt9enable_ifIXsr10test_utilsE35device_test_enabled_for_warp_size_vIXT1_EEEvE4typeEPT_S4_S4_S3_
		.amdhsa_group_segment_fixed_size 240
		.amdhsa_private_segment_fixed_size 0
		.amdhsa_kernarg_size 288
		.amdhsa_user_sgpr_count 15
		.amdhsa_user_sgpr_dispatch_ptr 0
		.amdhsa_user_sgpr_queue_ptr 0
		.amdhsa_user_sgpr_kernarg_segment_ptr 1
		.amdhsa_user_sgpr_dispatch_id 0
		.amdhsa_user_sgpr_private_segment_size 0
		.amdhsa_wavefront_size32 1
		.amdhsa_uses_dynamic_stack 0
		.amdhsa_enable_private_segment 0
		.amdhsa_system_sgpr_workgroup_id_x 1
		.amdhsa_system_sgpr_workgroup_id_y 0
		.amdhsa_system_sgpr_workgroup_id_z 0
		.amdhsa_system_sgpr_workgroup_info 0
		.amdhsa_system_vgpr_workitem_id 0
		.amdhsa_next_free_vgpr 10
		.amdhsa_next_free_sgpr 16
		.amdhsa_reserve_vcc 1
		.amdhsa_float_round_mode_32 0
		.amdhsa_float_round_mode_16_64 0
		.amdhsa_float_denorm_mode_32 3
		.amdhsa_float_denorm_mode_16_64 3
		.amdhsa_dx10_clamp 1
		.amdhsa_ieee_mode 1
		.amdhsa_fp16_overflow 0
		.amdhsa_workgroup_processor_mode 1
		.amdhsa_memory_ordered 1
		.amdhsa_forward_progress 0
		.amdhsa_shared_vgpr_count 0
		.amdhsa_exception_fp_ieee_invalid_op 0
		.amdhsa_exception_fp_denorm_src 0
		.amdhsa_exception_fp_ieee_div_zero 0
		.amdhsa_exception_fp_ieee_overflow 0
		.amdhsa_exception_fp_ieee_underflow 0
		.amdhsa_exception_fp_ieee_inexact 0
		.amdhsa_exception_int_div_zero 0
	.end_amdhsa_kernel
	.section	.text._Z33warp_exclusive_scan_reduce_kernelIiLj60ELj15EENSt9enable_ifIXsr10test_utilsE35device_test_enabled_for_warp_size_vIXT1_EEEvE4typeEPT_S4_S4_S3_,"axG",@progbits,_Z33warp_exclusive_scan_reduce_kernelIiLj60ELj15EENSt9enable_ifIXsr10test_utilsE35device_test_enabled_for_warp_size_vIXT1_EEEvE4typeEPT_S4_S4_S3_,comdat
.Lfunc_end183:
	.size	_Z33warp_exclusive_scan_reduce_kernelIiLj60ELj15EENSt9enable_ifIXsr10test_utilsE35device_test_enabled_for_warp_size_vIXT1_EEEvE4typeEPT_S4_S4_S3_, .Lfunc_end183-_Z33warp_exclusive_scan_reduce_kernelIiLj60ELj15EENSt9enable_ifIXsr10test_utilsE35device_test_enabled_for_warp_size_vIXT1_EEEvE4typeEPT_S4_S4_S3_
                                        ; -- End function
	.section	.AMDGPU.csdata,"",@progbits
; Kernel info:
; codeLenInByte = 568
; NumSgprs: 18
; NumVgprs: 10
; ScratchSize: 0
; MemoryBound: 0
; FloatMode: 240
; IeeeMode: 1
; LDSByteSize: 240 bytes/workgroup (compile time only)
; SGPRBlocks: 2
; VGPRBlocks: 1
; NumSGPRsForWavesPerEU: 18
; NumVGPRsForWavesPerEU: 10
; Occupancy: 16
; WaveLimiterHint : 0
; COMPUTE_PGM_RSRC2:SCRATCH_EN: 0
; COMPUTE_PGM_RSRC2:USER_SGPR: 15
; COMPUTE_PGM_RSRC2:TRAP_HANDLER: 0
; COMPUTE_PGM_RSRC2:TGID_X_EN: 1
; COMPUTE_PGM_RSRC2:TGID_Y_EN: 0
; COMPUTE_PGM_RSRC2:TGID_Z_EN: 0
; COMPUTE_PGM_RSRC2:TIDIG_COMP_CNT: 0
	.section	.text._Z33warp_exclusive_scan_reduce_kernelIiLj28ELj7EENSt9enable_ifIXsr10test_utilsE35device_test_enabled_for_warp_size_vIXT1_EEEvE4typeEPT_S4_S4_S3_,"axG",@progbits,_Z33warp_exclusive_scan_reduce_kernelIiLj28ELj7EENSt9enable_ifIXsr10test_utilsE35device_test_enabled_for_warp_size_vIXT1_EEEvE4typeEPT_S4_S4_S3_,comdat
	.protected	_Z33warp_exclusive_scan_reduce_kernelIiLj28ELj7EENSt9enable_ifIXsr10test_utilsE35device_test_enabled_for_warp_size_vIXT1_EEEvE4typeEPT_S4_S4_S3_ ; -- Begin function _Z33warp_exclusive_scan_reduce_kernelIiLj28ELj7EENSt9enable_ifIXsr10test_utilsE35device_test_enabled_for_warp_size_vIXT1_EEEvE4typeEPT_S4_S4_S3_
	.globl	_Z33warp_exclusive_scan_reduce_kernelIiLj28ELj7EENSt9enable_ifIXsr10test_utilsE35device_test_enabled_for_warp_size_vIXT1_EEEvE4typeEPT_S4_S4_S3_
	.p2align	8
	.type	_Z33warp_exclusive_scan_reduce_kernelIiLj28ELj7EENSt9enable_ifIXsr10test_utilsE35device_test_enabled_for_warp_size_vIXT1_EEEvE4typeEPT_S4_S4_S3_,@function
_Z33warp_exclusive_scan_reduce_kernelIiLj28ELj7EENSt9enable_ifIXsr10test_utilsE35device_test_enabled_for_warp_size_vIXT1_EEEvE4typeEPT_S4_S4_S3_: ; @_Z33warp_exclusive_scan_reduce_kernelIiLj28ELj7EENSt9enable_ifIXsr10test_utilsE35device_test_enabled_for_warp_size_vIXT1_EEEvE4typeEPT_S4_S4_S3_
; %bb.0:
	s_clause 0x1
	s_load_b32 s2, s[0:1], 0x2c
	s_load_b128 s[4:7], s[0:1], 0x0
	v_mul_u32_u24_e32 v7, 0x2493, v0
	s_waitcnt lgkmcnt(0)
	s_and_b32 s2, s2, 0xffff
	s_delay_alu instid0(SALU_CYCLE_1) | instskip(SKIP_1) | instid1(VALU_DEP_1)
	v_mad_u64_u32 v[1:2], null, s15, s2, v[0:1]
	v_mov_b32_e32 v2, 0
	v_lshlrev_b64 v[2:3], 2, v[1:2]
	s_delay_alu instid0(VALU_DEP_1) | instskip(NEXT) | instid1(VALU_DEP_2)
	v_add_co_u32 v4, vcc_lo, s4, v2
	v_add_co_ci_u32_e32 v5, vcc_lo, s5, v3, vcc_lo
	global_load_b32 v6, v[4:5], off
	v_mbcnt_lo_u32_b32 v4, -1, 0
	s_delay_alu instid0(VALU_DEP_1) | instskip(NEXT) | instid1(VALU_DEP_1)
	v_mul_hi_u32 v5, 0x24924925, v4
	v_mul_u32_u24_e32 v5, 7, v5
	s_delay_alu instid0(VALU_DEP_1) | instskip(SKIP_1) | instid1(VALU_DEP_2)
	v_sub_nc_u32_e32 v8, v4, v5
	v_lshrrev_b32_e32 v4, 16, v7
	v_lshlrev_b32_e32 v5, 2, v8
	v_cmp_ne_u32_e32 vcc_lo, 0, v8
	s_delay_alu instid0(VALU_DEP_2) | instskip(NEXT) | instid1(VALU_DEP_1)
	v_mad_u32_u24 v7, v4, 28, v5
	v_add_nc_u32_e32 v5, -4, v7
	s_waitcnt vmcnt(0)
	ds_store_b32 v7, v6
	; wave barrier
	s_and_saveexec_b32 s2, vcc_lo
	s_cbranch_execz .LBB184_2
; %bb.1:
	ds_load_b32 v9, v5
	s_waitcnt lgkmcnt(0)
	v_add_nc_u32_e32 v6, v9, v6
.LBB184_2:
	s_or_b32 exec_lo, exec_lo, s2
	; wave barrier
	s_and_saveexec_b32 s2, vcc_lo
	s_cbranch_execz .LBB184_4
; %bb.3:
	ds_store_b32 v7, v6
.LBB184_4:
	s_or_b32 exec_lo, exec_lo, s2
	v_cmp_lt_u32_e64 s2, 1, v8
	; wave barrier
	s_delay_alu instid0(VALU_DEP_1)
	s_and_saveexec_b32 s3, s2
	s_cbranch_execz .LBB184_6
; %bb.5:
	v_add_nc_u32_e32 v9, -8, v7
	ds_load_b32 v9, v9
	s_waitcnt lgkmcnt(0)
	v_add_nc_u32_e32 v6, v9, v6
.LBB184_6:
	s_or_b32 exec_lo, exec_lo, s3
	; wave barrier
	s_and_saveexec_b32 s3, s2
	s_cbranch_execz .LBB184_8
; %bb.7:
	ds_store_b32 v7, v6
.LBB184_8:
	s_or_b32 exec_lo, exec_lo, s3
	s_load_b64 s[4:5], s[0:1], 0x10
	v_cmp_lt_u32_e64 s2, 3, v8
	; wave barrier
	s_delay_alu instid0(VALU_DEP_1)
	s_and_saveexec_b32 s3, s2
	s_cbranch_execz .LBB184_10
; %bb.9:
	v_add_nc_u32_e32 v8, -16, v7
	ds_load_b32 v8, v8
	s_waitcnt lgkmcnt(0)
	v_add_nc_u32_e32 v6, v8, v6
.LBB184_10:
	s_or_b32 exec_lo, exec_lo, s3
	v_mul_u32_u24_e32 v8, 28, v4
	; wave barrier
	s_and_saveexec_b32 s3, s2
	s_cbranch_execz .LBB184_12
; %bb.11:
	ds_store_b32 v7, v6
.LBB184_12:
	s_or_b32 exec_lo, exec_lo, s3
	s_load_b32 s0, s[0:1], 0x18
	; wave barrier
	ds_load_b32 v6, v8 offset:24
	s_waitcnt lgkmcnt(0)
	v_mov_b32_e32 v7, s0
	s_and_saveexec_b32 s1, vcc_lo
	s_cbranch_execz .LBB184_14
; %bb.13:
	ds_load_b32 v5, v5
	s_waitcnt lgkmcnt(0)
	v_add_nc_u32_e32 v7, s0, v5
.LBB184_14:
	s_or_b32 exec_lo, exec_lo, s1
	v_mul_lo_u16 v4, v4, 7
	v_add_co_u32 v2, vcc_lo, s6, v2
	v_add_co_ci_u32_e32 v3, vcc_lo, s7, v3, vcc_lo
	s_delay_alu instid0(VALU_DEP_3)
	v_sub_nc_u16 v0, v0, v4
	s_mov_b32 s0, exec_lo
	global_store_b32 v[2:3], v7, off
	v_cmpx_eq_u16_e32 0, v0
	s_cbranch_execz .LBB184_16
; %bb.15:
	v_mul_hi_u32 v0, 0x24924925, v1
	s_delay_alu instid0(VALU_DEP_1) | instskip(NEXT) | instid1(VALU_DEP_1)
	v_sub_nc_u32_e32 v1, v1, v0
	v_lshrrev_b32_e32 v1, 1, v1
	s_delay_alu instid0(VALU_DEP_1) | instskip(NEXT) | instid1(VALU_DEP_1)
	v_add_nc_u32_e32 v0, v1, v0
	v_and_b32_e32 v0, -4, v0
	global_store_b32 v0, v6, s[4:5]
.LBB184_16:
	s_nop 0
	s_sendmsg sendmsg(MSG_DEALLOC_VGPRS)
	s_endpgm
	.section	.rodata,"a",@progbits
	.p2align	6, 0x0
	.amdhsa_kernel _Z33warp_exclusive_scan_reduce_kernelIiLj28ELj7EENSt9enable_ifIXsr10test_utilsE35device_test_enabled_for_warp_size_vIXT1_EEEvE4typeEPT_S4_S4_S3_
		.amdhsa_group_segment_fixed_size 112
		.amdhsa_private_segment_fixed_size 0
		.amdhsa_kernarg_size 288
		.amdhsa_user_sgpr_count 15
		.amdhsa_user_sgpr_dispatch_ptr 0
		.amdhsa_user_sgpr_queue_ptr 0
		.amdhsa_user_sgpr_kernarg_segment_ptr 1
		.amdhsa_user_sgpr_dispatch_id 0
		.amdhsa_user_sgpr_private_segment_size 0
		.amdhsa_wavefront_size32 1
		.amdhsa_uses_dynamic_stack 0
		.amdhsa_enable_private_segment 0
		.amdhsa_system_sgpr_workgroup_id_x 1
		.amdhsa_system_sgpr_workgroup_id_y 0
		.amdhsa_system_sgpr_workgroup_id_z 0
		.amdhsa_system_sgpr_workgroup_info 0
		.amdhsa_system_vgpr_workitem_id 0
		.amdhsa_next_free_vgpr 10
		.amdhsa_next_free_sgpr 16
		.amdhsa_reserve_vcc 1
		.amdhsa_float_round_mode_32 0
		.amdhsa_float_round_mode_16_64 0
		.amdhsa_float_denorm_mode_32 3
		.amdhsa_float_denorm_mode_16_64 3
		.amdhsa_dx10_clamp 1
		.amdhsa_ieee_mode 1
		.amdhsa_fp16_overflow 0
		.amdhsa_workgroup_processor_mode 1
		.amdhsa_memory_ordered 1
		.amdhsa_forward_progress 0
		.amdhsa_shared_vgpr_count 0
		.amdhsa_exception_fp_ieee_invalid_op 0
		.amdhsa_exception_fp_denorm_src 0
		.amdhsa_exception_fp_ieee_div_zero 0
		.amdhsa_exception_fp_ieee_overflow 0
		.amdhsa_exception_fp_ieee_underflow 0
		.amdhsa_exception_fp_ieee_inexact 0
		.amdhsa_exception_int_div_zero 0
	.end_amdhsa_kernel
	.section	.text._Z33warp_exclusive_scan_reduce_kernelIiLj28ELj7EENSt9enable_ifIXsr10test_utilsE35device_test_enabled_for_warp_size_vIXT1_EEEvE4typeEPT_S4_S4_S3_,"axG",@progbits,_Z33warp_exclusive_scan_reduce_kernelIiLj28ELj7EENSt9enable_ifIXsr10test_utilsE35device_test_enabled_for_warp_size_vIXT1_EEEvE4typeEPT_S4_S4_S3_,comdat
.Lfunc_end184:
	.size	_Z33warp_exclusive_scan_reduce_kernelIiLj28ELj7EENSt9enable_ifIXsr10test_utilsE35device_test_enabled_for_warp_size_vIXT1_EEEvE4typeEPT_S4_S4_S3_, .Lfunc_end184-_Z33warp_exclusive_scan_reduce_kernelIiLj28ELj7EENSt9enable_ifIXsr10test_utilsE35device_test_enabled_for_warp_size_vIXT1_EEEvE4typeEPT_S4_S4_S3_
                                        ; -- End function
	.section	.AMDGPU.csdata,"",@progbits
; Kernel info:
; codeLenInByte = 512
; NumSgprs: 18
; NumVgprs: 10
; ScratchSize: 0
; MemoryBound: 0
; FloatMode: 240
; IeeeMode: 1
; LDSByteSize: 112 bytes/workgroup (compile time only)
; SGPRBlocks: 2
; VGPRBlocks: 1
; NumSGPRsForWavesPerEU: 18
; NumVGPRsForWavesPerEU: 10
; Occupancy: 16
; WaveLimiterHint : 0
; COMPUTE_PGM_RSRC2:SCRATCH_EN: 0
; COMPUTE_PGM_RSRC2:USER_SGPR: 15
; COMPUTE_PGM_RSRC2:TRAP_HANDLER: 0
; COMPUTE_PGM_RSRC2:TGID_X_EN: 1
; COMPUTE_PGM_RSRC2:TGID_Y_EN: 0
; COMPUTE_PGM_RSRC2:TGID_Z_EN: 0
; COMPUTE_PGM_RSRC2:TIDIG_COMP_CNT: 0
	.section	.text._Z33warp_exclusive_scan_reduce_kernelIiLj63ELj7EENSt9enable_ifIXsr10test_utilsE35device_test_enabled_for_warp_size_vIXT1_EEEvE4typeEPT_S4_S4_S3_,"axG",@progbits,_Z33warp_exclusive_scan_reduce_kernelIiLj63ELj7EENSt9enable_ifIXsr10test_utilsE35device_test_enabled_for_warp_size_vIXT1_EEEvE4typeEPT_S4_S4_S3_,comdat
	.protected	_Z33warp_exclusive_scan_reduce_kernelIiLj63ELj7EENSt9enable_ifIXsr10test_utilsE35device_test_enabled_for_warp_size_vIXT1_EEEvE4typeEPT_S4_S4_S3_ ; -- Begin function _Z33warp_exclusive_scan_reduce_kernelIiLj63ELj7EENSt9enable_ifIXsr10test_utilsE35device_test_enabled_for_warp_size_vIXT1_EEEvE4typeEPT_S4_S4_S3_
	.globl	_Z33warp_exclusive_scan_reduce_kernelIiLj63ELj7EENSt9enable_ifIXsr10test_utilsE35device_test_enabled_for_warp_size_vIXT1_EEEvE4typeEPT_S4_S4_S3_
	.p2align	8
	.type	_Z33warp_exclusive_scan_reduce_kernelIiLj63ELj7EENSt9enable_ifIXsr10test_utilsE35device_test_enabled_for_warp_size_vIXT1_EEEvE4typeEPT_S4_S4_S3_,@function
_Z33warp_exclusive_scan_reduce_kernelIiLj63ELj7EENSt9enable_ifIXsr10test_utilsE35device_test_enabled_for_warp_size_vIXT1_EEEvE4typeEPT_S4_S4_S3_: ; @_Z33warp_exclusive_scan_reduce_kernelIiLj63ELj7EENSt9enable_ifIXsr10test_utilsE35device_test_enabled_for_warp_size_vIXT1_EEEvE4typeEPT_S4_S4_S3_
; %bb.0:
	s_clause 0x1
	s_load_b32 s2, s[0:1], 0x2c
	s_load_b128 s[4:7], s[0:1], 0x0
	v_mul_u32_u24_e32 v7, 0x2493, v0
	s_waitcnt lgkmcnt(0)
	s_and_b32 s2, s2, 0xffff
	s_delay_alu instid0(SALU_CYCLE_1) | instskip(SKIP_1) | instid1(VALU_DEP_1)
	v_mad_u64_u32 v[1:2], null, s15, s2, v[0:1]
	v_mov_b32_e32 v2, 0
	v_lshlrev_b64 v[2:3], 2, v[1:2]
	s_delay_alu instid0(VALU_DEP_1) | instskip(NEXT) | instid1(VALU_DEP_2)
	v_add_co_u32 v4, vcc_lo, s4, v2
	v_add_co_ci_u32_e32 v5, vcc_lo, s5, v3, vcc_lo
	global_load_b32 v6, v[4:5], off
	v_mbcnt_lo_u32_b32 v4, -1, 0
	s_delay_alu instid0(VALU_DEP_1) | instskip(NEXT) | instid1(VALU_DEP_1)
	v_mul_hi_u32 v5, 0x24924925, v4
	v_mul_u32_u24_e32 v5, 7, v5
	s_delay_alu instid0(VALU_DEP_1) | instskip(SKIP_1) | instid1(VALU_DEP_2)
	v_sub_nc_u32_e32 v8, v4, v5
	v_lshrrev_b32_e32 v4, 16, v7
	v_lshlrev_b32_e32 v5, 2, v8
	v_cmp_ne_u32_e32 vcc_lo, 0, v8
	s_delay_alu instid0(VALU_DEP_2) | instskip(NEXT) | instid1(VALU_DEP_1)
	v_mad_u32_u24 v7, v4, 28, v5
	v_add_nc_u32_e32 v5, -4, v7
	s_waitcnt vmcnt(0)
	ds_store_b32 v7, v6
	; wave barrier
	s_and_saveexec_b32 s2, vcc_lo
	s_cbranch_execz .LBB185_2
; %bb.1:
	ds_load_b32 v9, v5
	s_waitcnt lgkmcnt(0)
	v_add_nc_u32_e32 v6, v9, v6
.LBB185_2:
	s_or_b32 exec_lo, exec_lo, s2
	; wave barrier
	s_and_saveexec_b32 s2, vcc_lo
	s_cbranch_execz .LBB185_4
; %bb.3:
	ds_store_b32 v7, v6
.LBB185_4:
	s_or_b32 exec_lo, exec_lo, s2
	v_cmp_lt_u32_e64 s2, 1, v8
	; wave barrier
	s_delay_alu instid0(VALU_DEP_1)
	s_and_saveexec_b32 s3, s2
	s_cbranch_execz .LBB185_6
; %bb.5:
	v_add_nc_u32_e32 v9, -8, v7
	ds_load_b32 v9, v9
	s_waitcnt lgkmcnt(0)
	v_add_nc_u32_e32 v6, v9, v6
.LBB185_6:
	s_or_b32 exec_lo, exec_lo, s3
	; wave barrier
	s_and_saveexec_b32 s3, s2
	s_cbranch_execz .LBB185_8
; %bb.7:
	ds_store_b32 v7, v6
.LBB185_8:
	s_or_b32 exec_lo, exec_lo, s3
	s_load_b64 s[4:5], s[0:1], 0x10
	v_cmp_lt_u32_e64 s2, 3, v8
	; wave barrier
	s_delay_alu instid0(VALU_DEP_1)
	s_and_saveexec_b32 s3, s2
	s_cbranch_execz .LBB185_10
; %bb.9:
	v_add_nc_u32_e32 v8, -16, v7
	ds_load_b32 v8, v8
	s_waitcnt lgkmcnt(0)
	v_add_nc_u32_e32 v6, v8, v6
.LBB185_10:
	s_or_b32 exec_lo, exec_lo, s3
	v_mul_u32_u24_e32 v8, 28, v4
	; wave barrier
	s_and_saveexec_b32 s3, s2
	s_cbranch_execz .LBB185_12
; %bb.11:
	ds_store_b32 v7, v6
.LBB185_12:
	s_or_b32 exec_lo, exec_lo, s3
	s_load_b32 s0, s[0:1], 0x18
	; wave barrier
	ds_load_b32 v6, v8 offset:24
	s_waitcnt lgkmcnt(0)
	v_mov_b32_e32 v7, s0
	s_and_saveexec_b32 s1, vcc_lo
	s_cbranch_execz .LBB185_14
; %bb.13:
	ds_load_b32 v5, v5
	s_waitcnt lgkmcnt(0)
	v_add_nc_u32_e32 v7, s0, v5
.LBB185_14:
	s_or_b32 exec_lo, exec_lo, s1
	v_mul_lo_u16 v4, v4, 7
	v_add_co_u32 v2, vcc_lo, s6, v2
	v_add_co_ci_u32_e32 v3, vcc_lo, s7, v3, vcc_lo
	s_delay_alu instid0(VALU_DEP_3)
	v_sub_nc_u16 v0, v0, v4
	s_mov_b32 s0, exec_lo
	global_store_b32 v[2:3], v7, off
	v_cmpx_eq_u16_e32 0, v0
	s_cbranch_execz .LBB185_16
; %bb.15:
	v_mul_hi_u32 v0, 0x24924925, v1
	s_delay_alu instid0(VALU_DEP_1) | instskip(NEXT) | instid1(VALU_DEP_1)
	v_sub_nc_u32_e32 v1, v1, v0
	v_lshrrev_b32_e32 v1, 1, v1
	s_delay_alu instid0(VALU_DEP_1) | instskip(NEXT) | instid1(VALU_DEP_1)
	v_add_nc_u32_e32 v0, v1, v0
	v_and_b32_e32 v0, -4, v0
	global_store_b32 v0, v6, s[4:5]
.LBB185_16:
	s_nop 0
	s_sendmsg sendmsg(MSG_DEALLOC_VGPRS)
	s_endpgm
	.section	.rodata,"a",@progbits
	.p2align	6, 0x0
	.amdhsa_kernel _Z33warp_exclusive_scan_reduce_kernelIiLj63ELj7EENSt9enable_ifIXsr10test_utilsE35device_test_enabled_for_warp_size_vIXT1_EEEvE4typeEPT_S4_S4_S3_
		.amdhsa_group_segment_fixed_size 252
		.amdhsa_private_segment_fixed_size 0
		.amdhsa_kernarg_size 288
		.amdhsa_user_sgpr_count 15
		.amdhsa_user_sgpr_dispatch_ptr 0
		.amdhsa_user_sgpr_queue_ptr 0
		.amdhsa_user_sgpr_kernarg_segment_ptr 1
		.amdhsa_user_sgpr_dispatch_id 0
		.amdhsa_user_sgpr_private_segment_size 0
		.amdhsa_wavefront_size32 1
		.amdhsa_uses_dynamic_stack 0
		.amdhsa_enable_private_segment 0
		.amdhsa_system_sgpr_workgroup_id_x 1
		.amdhsa_system_sgpr_workgroup_id_y 0
		.amdhsa_system_sgpr_workgroup_id_z 0
		.amdhsa_system_sgpr_workgroup_info 0
		.amdhsa_system_vgpr_workitem_id 0
		.amdhsa_next_free_vgpr 10
		.amdhsa_next_free_sgpr 16
		.amdhsa_reserve_vcc 1
		.amdhsa_float_round_mode_32 0
		.amdhsa_float_round_mode_16_64 0
		.amdhsa_float_denorm_mode_32 3
		.amdhsa_float_denorm_mode_16_64 3
		.amdhsa_dx10_clamp 1
		.amdhsa_ieee_mode 1
		.amdhsa_fp16_overflow 0
		.amdhsa_workgroup_processor_mode 1
		.amdhsa_memory_ordered 1
		.amdhsa_forward_progress 0
		.amdhsa_shared_vgpr_count 0
		.amdhsa_exception_fp_ieee_invalid_op 0
		.amdhsa_exception_fp_denorm_src 0
		.amdhsa_exception_fp_ieee_div_zero 0
		.amdhsa_exception_fp_ieee_overflow 0
		.amdhsa_exception_fp_ieee_underflow 0
		.amdhsa_exception_fp_ieee_inexact 0
		.amdhsa_exception_int_div_zero 0
	.end_amdhsa_kernel
	.section	.text._Z33warp_exclusive_scan_reduce_kernelIiLj63ELj7EENSt9enable_ifIXsr10test_utilsE35device_test_enabled_for_warp_size_vIXT1_EEEvE4typeEPT_S4_S4_S3_,"axG",@progbits,_Z33warp_exclusive_scan_reduce_kernelIiLj63ELj7EENSt9enable_ifIXsr10test_utilsE35device_test_enabled_for_warp_size_vIXT1_EEEvE4typeEPT_S4_S4_S3_,comdat
.Lfunc_end185:
	.size	_Z33warp_exclusive_scan_reduce_kernelIiLj63ELj7EENSt9enable_ifIXsr10test_utilsE35device_test_enabled_for_warp_size_vIXT1_EEEvE4typeEPT_S4_S4_S3_, .Lfunc_end185-_Z33warp_exclusive_scan_reduce_kernelIiLj63ELj7EENSt9enable_ifIXsr10test_utilsE35device_test_enabled_for_warp_size_vIXT1_EEEvE4typeEPT_S4_S4_S3_
                                        ; -- End function
	.section	.AMDGPU.csdata,"",@progbits
; Kernel info:
; codeLenInByte = 512
; NumSgprs: 18
; NumVgprs: 10
; ScratchSize: 0
; MemoryBound: 0
; FloatMode: 240
; IeeeMode: 1
; LDSByteSize: 252 bytes/workgroup (compile time only)
; SGPRBlocks: 2
; VGPRBlocks: 1
; NumSGPRsForWavesPerEU: 18
; NumVGPRsForWavesPerEU: 10
; Occupancy: 16
; WaveLimiterHint : 0
; COMPUTE_PGM_RSRC2:SCRATCH_EN: 0
; COMPUTE_PGM_RSRC2:USER_SGPR: 15
; COMPUTE_PGM_RSRC2:TRAP_HANDLER: 0
; COMPUTE_PGM_RSRC2:TGID_X_EN: 1
; COMPUTE_PGM_RSRC2:TGID_Y_EN: 0
; COMPUTE_PGM_RSRC2:TGID_Z_EN: 0
; COMPUTE_PGM_RSRC2:TIDIG_COMP_CNT: 0
	.section	.text._Z33warp_exclusive_scan_reduce_kernelIiLj30ELj3EENSt9enable_ifIXsr10test_utilsE35device_test_enabled_for_warp_size_vIXT1_EEEvE4typeEPT_S4_S4_S3_,"axG",@progbits,_Z33warp_exclusive_scan_reduce_kernelIiLj30ELj3EENSt9enable_ifIXsr10test_utilsE35device_test_enabled_for_warp_size_vIXT1_EEEvE4typeEPT_S4_S4_S3_,comdat
	.protected	_Z33warp_exclusive_scan_reduce_kernelIiLj30ELj3EENSt9enable_ifIXsr10test_utilsE35device_test_enabled_for_warp_size_vIXT1_EEEvE4typeEPT_S4_S4_S3_ ; -- Begin function _Z33warp_exclusive_scan_reduce_kernelIiLj30ELj3EENSt9enable_ifIXsr10test_utilsE35device_test_enabled_for_warp_size_vIXT1_EEEvE4typeEPT_S4_S4_S3_
	.globl	_Z33warp_exclusive_scan_reduce_kernelIiLj30ELj3EENSt9enable_ifIXsr10test_utilsE35device_test_enabled_for_warp_size_vIXT1_EEEvE4typeEPT_S4_S4_S3_
	.p2align	8
	.type	_Z33warp_exclusive_scan_reduce_kernelIiLj30ELj3EENSt9enable_ifIXsr10test_utilsE35device_test_enabled_for_warp_size_vIXT1_EEEvE4typeEPT_S4_S4_S3_,@function
_Z33warp_exclusive_scan_reduce_kernelIiLj30ELj3EENSt9enable_ifIXsr10test_utilsE35device_test_enabled_for_warp_size_vIXT1_EEEvE4typeEPT_S4_S4_S3_: ; @_Z33warp_exclusive_scan_reduce_kernelIiLj30ELj3EENSt9enable_ifIXsr10test_utilsE35device_test_enabled_for_warp_size_vIXT1_EEEvE4typeEPT_S4_S4_S3_
; %bb.0:
	s_clause 0x1
	s_load_b32 s2, s[0:1], 0x2c
	s_load_b128 s[4:7], s[0:1], 0x0
	v_mul_u32_u24_e32 v7, 0x5556, v0
	s_waitcnt lgkmcnt(0)
	s_and_b32 s2, s2, 0xffff
	s_delay_alu instid0(SALU_CYCLE_1) | instskip(SKIP_1) | instid1(VALU_DEP_1)
	v_mad_u64_u32 v[1:2], null, s15, s2, v[0:1]
	v_mov_b32_e32 v2, 0
	v_lshlrev_b64 v[2:3], 2, v[1:2]
	s_delay_alu instid0(VALU_DEP_1) | instskip(NEXT) | instid1(VALU_DEP_2)
	v_add_co_u32 v4, vcc_lo, s4, v2
	v_add_co_ci_u32_e32 v5, vcc_lo, s5, v3, vcc_lo
	global_load_b32 v6, v[4:5], off
	v_mbcnt_lo_u32_b32 v4, -1, 0
	s_delay_alu instid0(VALU_DEP_1) | instskip(NEXT) | instid1(VALU_DEP_1)
	v_mul_hi_u32 v5, 0x55555556, v4
	v_mul_u32_u24_e32 v5, 3, v5
	s_delay_alu instid0(VALU_DEP_1) | instskip(SKIP_1) | instid1(VALU_DEP_2)
	v_sub_nc_u32_e32 v8, v4, v5
	v_lshrrev_b32_e32 v4, 16, v7
	v_lshlrev_b32_e32 v5, 2, v8
	v_cmp_ne_u32_e32 vcc_lo, 0, v8
	s_delay_alu instid0(VALU_DEP_2) | instskip(NEXT) | instid1(VALU_DEP_1)
	v_mad_u32_u24 v7, v4, 12, v5
	v_add_nc_u32_e32 v5, -4, v7
	s_waitcnt vmcnt(0)
	ds_store_b32 v7, v6
	; wave barrier
	s_and_saveexec_b32 s2, vcc_lo
	s_cbranch_execz .LBB186_2
; %bb.1:
	ds_load_b32 v9, v5
	s_waitcnt lgkmcnt(0)
	v_add_nc_u32_e32 v6, v9, v6
.LBB186_2:
	s_or_b32 exec_lo, exec_lo, s2
	; wave barrier
	s_and_saveexec_b32 s2, vcc_lo
	s_cbranch_execz .LBB186_4
; %bb.3:
	ds_store_b32 v7, v6
.LBB186_4:
	s_or_b32 exec_lo, exec_lo, s2
	s_load_b64 s[4:5], s[0:1], 0x10
	v_cmp_lt_u32_e64 s2, 1, v8
	; wave barrier
	s_delay_alu instid0(VALU_DEP_1)
	s_and_saveexec_b32 s3, s2
	s_cbranch_execz .LBB186_6
; %bb.5:
	v_add_nc_u32_e32 v8, -8, v7
	ds_load_b32 v8, v8
	s_waitcnt lgkmcnt(0)
	v_add_nc_u32_e32 v6, v8, v6
.LBB186_6:
	s_or_b32 exec_lo, exec_lo, s3
	v_mul_u32_u24_e32 v8, 12, v4
	; wave barrier
	s_and_saveexec_b32 s3, s2
	s_cbranch_execz .LBB186_8
; %bb.7:
	ds_store_b32 v7, v6
.LBB186_8:
	s_or_b32 exec_lo, exec_lo, s3
	s_load_b32 s0, s[0:1], 0x18
	; wave barrier
	ds_load_b32 v6, v8 offset:8
	s_waitcnt lgkmcnt(0)
	v_mov_b32_e32 v7, s0
	s_and_saveexec_b32 s1, vcc_lo
	s_cbranch_execz .LBB186_10
; %bb.9:
	ds_load_b32 v5, v5
	s_waitcnt lgkmcnt(0)
	v_add_nc_u32_e32 v7, s0, v5
.LBB186_10:
	s_or_b32 exec_lo, exec_lo, s1
	v_mul_lo_u16 v4, v4, 3
	v_add_co_u32 v2, vcc_lo, s6, v2
	v_add_co_ci_u32_e32 v3, vcc_lo, s7, v3, vcc_lo
	s_delay_alu instid0(VALU_DEP_3)
	v_sub_nc_u16 v0, v0, v4
	s_mov_b32 s0, exec_lo
	global_store_b32 v[2:3], v7, off
	v_cmpx_eq_u16_e32 0, v0
	s_cbranch_execz .LBB186_12
; %bb.11:
	v_mul_hi_u32 v0, 0xaaaaaaab, v1
	v_mov_b32_e32 v1, 0
	s_delay_alu instid0(VALU_DEP_2) | instskip(NEXT) | instid1(VALU_DEP_1)
	v_lshrrev_b32_e32 v0, 1, v0
	v_lshlrev_b64 v[0:1], 2, v[0:1]
	s_delay_alu instid0(VALU_DEP_1) | instskip(NEXT) | instid1(VALU_DEP_2)
	v_add_co_u32 v0, vcc_lo, s4, v0
	v_add_co_ci_u32_e32 v1, vcc_lo, s5, v1, vcc_lo
	global_store_b32 v[0:1], v6, off
.LBB186_12:
	s_nop 0
	s_sendmsg sendmsg(MSG_DEALLOC_VGPRS)
	s_endpgm
	.section	.rodata,"a",@progbits
	.p2align	6, 0x0
	.amdhsa_kernel _Z33warp_exclusive_scan_reduce_kernelIiLj30ELj3EENSt9enable_ifIXsr10test_utilsE35device_test_enabled_for_warp_size_vIXT1_EEEvE4typeEPT_S4_S4_S3_
		.amdhsa_group_segment_fixed_size 120
		.amdhsa_private_segment_fixed_size 0
		.amdhsa_kernarg_size 288
		.amdhsa_user_sgpr_count 15
		.amdhsa_user_sgpr_dispatch_ptr 0
		.amdhsa_user_sgpr_queue_ptr 0
		.amdhsa_user_sgpr_kernarg_segment_ptr 1
		.amdhsa_user_sgpr_dispatch_id 0
		.amdhsa_user_sgpr_private_segment_size 0
		.amdhsa_wavefront_size32 1
		.amdhsa_uses_dynamic_stack 0
		.amdhsa_enable_private_segment 0
		.amdhsa_system_sgpr_workgroup_id_x 1
		.amdhsa_system_sgpr_workgroup_id_y 0
		.amdhsa_system_sgpr_workgroup_id_z 0
		.amdhsa_system_sgpr_workgroup_info 0
		.amdhsa_system_vgpr_workitem_id 0
		.amdhsa_next_free_vgpr 10
		.amdhsa_next_free_sgpr 16
		.amdhsa_reserve_vcc 1
		.amdhsa_float_round_mode_32 0
		.amdhsa_float_round_mode_16_64 0
		.amdhsa_float_denorm_mode_32 3
		.amdhsa_float_denorm_mode_16_64 3
		.amdhsa_dx10_clamp 1
		.amdhsa_ieee_mode 1
		.amdhsa_fp16_overflow 0
		.amdhsa_workgroup_processor_mode 1
		.amdhsa_memory_ordered 1
		.amdhsa_forward_progress 0
		.amdhsa_shared_vgpr_count 0
		.amdhsa_exception_fp_ieee_invalid_op 0
		.amdhsa_exception_fp_denorm_src 0
		.amdhsa_exception_fp_ieee_div_zero 0
		.amdhsa_exception_fp_ieee_overflow 0
		.amdhsa_exception_fp_ieee_underflow 0
		.amdhsa_exception_fp_ieee_inexact 0
		.amdhsa_exception_int_div_zero 0
	.end_amdhsa_kernel
	.section	.text._Z33warp_exclusive_scan_reduce_kernelIiLj30ELj3EENSt9enable_ifIXsr10test_utilsE35device_test_enabled_for_warp_size_vIXT1_EEEvE4typeEPT_S4_S4_S3_,"axG",@progbits,_Z33warp_exclusive_scan_reduce_kernelIiLj30ELj3EENSt9enable_ifIXsr10test_utilsE35device_test_enabled_for_warp_size_vIXT1_EEEvE4typeEPT_S4_S4_S3_,comdat
.Lfunc_end186:
	.size	_Z33warp_exclusive_scan_reduce_kernelIiLj30ELj3EENSt9enable_ifIXsr10test_utilsE35device_test_enabled_for_warp_size_vIXT1_EEEvE4typeEPT_S4_S4_S3_, .Lfunc_end186-_Z33warp_exclusive_scan_reduce_kernelIiLj30ELj3EENSt9enable_ifIXsr10test_utilsE35device_test_enabled_for_warp_size_vIXT1_EEEvE4typeEPT_S4_S4_S3_
                                        ; -- End function
	.section	.AMDGPU.csdata,"",@progbits
; Kernel info:
; codeLenInByte = 460
; NumSgprs: 18
; NumVgprs: 10
; ScratchSize: 0
; MemoryBound: 0
; FloatMode: 240
; IeeeMode: 1
; LDSByteSize: 120 bytes/workgroup (compile time only)
; SGPRBlocks: 2
; VGPRBlocks: 1
; NumSGPRsForWavesPerEU: 18
; NumVGPRsForWavesPerEU: 10
; Occupancy: 16
; WaveLimiterHint : 0
; COMPUTE_PGM_RSRC2:SCRATCH_EN: 0
; COMPUTE_PGM_RSRC2:USER_SGPR: 15
; COMPUTE_PGM_RSRC2:TRAP_HANDLER: 0
; COMPUTE_PGM_RSRC2:TGID_X_EN: 1
; COMPUTE_PGM_RSRC2:TGID_Y_EN: 0
; COMPUTE_PGM_RSRC2:TGID_Z_EN: 0
; COMPUTE_PGM_RSRC2:TIDIG_COMP_CNT: 0
	.section	.text._Z33warp_exclusive_scan_reduce_kernelIiLj63ELj3EENSt9enable_ifIXsr10test_utilsE35device_test_enabled_for_warp_size_vIXT1_EEEvE4typeEPT_S4_S4_S3_,"axG",@progbits,_Z33warp_exclusive_scan_reduce_kernelIiLj63ELj3EENSt9enable_ifIXsr10test_utilsE35device_test_enabled_for_warp_size_vIXT1_EEEvE4typeEPT_S4_S4_S3_,comdat
	.protected	_Z33warp_exclusive_scan_reduce_kernelIiLj63ELj3EENSt9enable_ifIXsr10test_utilsE35device_test_enabled_for_warp_size_vIXT1_EEEvE4typeEPT_S4_S4_S3_ ; -- Begin function _Z33warp_exclusive_scan_reduce_kernelIiLj63ELj3EENSt9enable_ifIXsr10test_utilsE35device_test_enabled_for_warp_size_vIXT1_EEEvE4typeEPT_S4_S4_S3_
	.globl	_Z33warp_exclusive_scan_reduce_kernelIiLj63ELj3EENSt9enable_ifIXsr10test_utilsE35device_test_enabled_for_warp_size_vIXT1_EEEvE4typeEPT_S4_S4_S3_
	.p2align	8
	.type	_Z33warp_exclusive_scan_reduce_kernelIiLj63ELj3EENSt9enable_ifIXsr10test_utilsE35device_test_enabled_for_warp_size_vIXT1_EEEvE4typeEPT_S4_S4_S3_,@function
_Z33warp_exclusive_scan_reduce_kernelIiLj63ELj3EENSt9enable_ifIXsr10test_utilsE35device_test_enabled_for_warp_size_vIXT1_EEEvE4typeEPT_S4_S4_S3_: ; @_Z33warp_exclusive_scan_reduce_kernelIiLj63ELj3EENSt9enable_ifIXsr10test_utilsE35device_test_enabled_for_warp_size_vIXT1_EEEvE4typeEPT_S4_S4_S3_
; %bb.0:
	s_clause 0x1
	s_load_b32 s2, s[0:1], 0x2c
	s_load_b128 s[4:7], s[0:1], 0x0
	v_mul_u32_u24_e32 v7, 0x5556, v0
	s_waitcnt lgkmcnt(0)
	s_and_b32 s2, s2, 0xffff
	s_delay_alu instid0(SALU_CYCLE_1) | instskip(SKIP_1) | instid1(VALU_DEP_1)
	v_mad_u64_u32 v[1:2], null, s15, s2, v[0:1]
	v_mov_b32_e32 v2, 0
	v_lshlrev_b64 v[2:3], 2, v[1:2]
	s_delay_alu instid0(VALU_DEP_1) | instskip(NEXT) | instid1(VALU_DEP_2)
	v_add_co_u32 v4, vcc_lo, s4, v2
	v_add_co_ci_u32_e32 v5, vcc_lo, s5, v3, vcc_lo
	global_load_b32 v6, v[4:5], off
	v_mbcnt_lo_u32_b32 v4, -1, 0
	s_delay_alu instid0(VALU_DEP_1) | instskip(NEXT) | instid1(VALU_DEP_1)
	v_mul_hi_u32 v5, 0x55555556, v4
	v_mul_u32_u24_e32 v5, 3, v5
	s_delay_alu instid0(VALU_DEP_1) | instskip(SKIP_1) | instid1(VALU_DEP_2)
	v_sub_nc_u32_e32 v8, v4, v5
	v_lshrrev_b32_e32 v4, 16, v7
	v_lshlrev_b32_e32 v5, 2, v8
	v_cmp_ne_u32_e32 vcc_lo, 0, v8
	s_delay_alu instid0(VALU_DEP_2) | instskip(NEXT) | instid1(VALU_DEP_1)
	v_mad_u32_u24 v7, v4, 12, v5
	v_add_nc_u32_e32 v5, -4, v7
	s_waitcnt vmcnt(0)
	ds_store_b32 v7, v6
	; wave barrier
	s_and_saveexec_b32 s2, vcc_lo
	s_cbranch_execz .LBB187_2
; %bb.1:
	ds_load_b32 v9, v5
	s_waitcnt lgkmcnt(0)
	v_add_nc_u32_e32 v6, v9, v6
.LBB187_2:
	s_or_b32 exec_lo, exec_lo, s2
	; wave barrier
	s_and_saveexec_b32 s2, vcc_lo
	s_cbranch_execz .LBB187_4
; %bb.3:
	ds_store_b32 v7, v6
.LBB187_4:
	s_or_b32 exec_lo, exec_lo, s2
	s_load_b64 s[4:5], s[0:1], 0x10
	v_cmp_lt_u32_e64 s2, 1, v8
	; wave barrier
	s_delay_alu instid0(VALU_DEP_1)
	s_and_saveexec_b32 s3, s2
	s_cbranch_execz .LBB187_6
; %bb.5:
	v_add_nc_u32_e32 v8, -8, v7
	ds_load_b32 v8, v8
	s_waitcnt lgkmcnt(0)
	v_add_nc_u32_e32 v6, v8, v6
.LBB187_6:
	s_or_b32 exec_lo, exec_lo, s3
	v_mul_u32_u24_e32 v8, 12, v4
	; wave barrier
	s_and_saveexec_b32 s3, s2
	s_cbranch_execz .LBB187_8
; %bb.7:
	ds_store_b32 v7, v6
.LBB187_8:
	s_or_b32 exec_lo, exec_lo, s3
	s_load_b32 s0, s[0:1], 0x18
	; wave barrier
	ds_load_b32 v6, v8 offset:8
	s_waitcnt lgkmcnt(0)
	v_mov_b32_e32 v7, s0
	s_and_saveexec_b32 s1, vcc_lo
	s_cbranch_execz .LBB187_10
; %bb.9:
	ds_load_b32 v5, v5
	s_waitcnt lgkmcnt(0)
	v_add_nc_u32_e32 v7, s0, v5
.LBB187_10:
	s_or_b32 exec_lo, exec_lo, s1
	v_mul_lo_u16 v4, v4, 3
	v_add_co_u32 v2, vcc_lo, s6, v2
	v_add_co_ci_u32_e32 v3, vcc_lo, s7, v3, vcc_lo
	s_delay_alu instid0(VALU_DEP_3)
	v_sub_nc_u16 v0, v0, v4
	s_mov_b32 s0, exec_lo
	global_store_b32 v[2:3], v7, off
	v_cmpx_eq_u16_e32 0, v0
	s_cbranch_execz .LBB187_12
; %bb.11:
	v_mul_hi_u32 v0, 0xaaaaaaab, v1
	v_mov_b32_e32 v1, 0
	s_delay_alu instid0(VALU_DEP_2) | instskip(NEXT) | instid1(VALU_DEP_1)
	v_lshrrev_b32_e32 v0, 1, v0
	v_lshlrev_b64 v[0:1], 2, v[0:1]
	s_delay_alu instid0(VALU_DEP_1) | instskip(NEXT) | instid1(VALU_DEP_2)
	v_add_co_u32 v0, vcc_lo, s4, v0
	v_add_co_ci_u32_e32 v1, vcc_lo, s5, v1, vcc_lo
	global_store_b32 v[0:1], v6, off
.LBB187_12:
	s_nop 0
	s_sendmsg sendmsg(MSG_DEALLOC_VGPRS)
	s_endpgm
	.section	.rodata,"a",@progbits
	.p2align	6, 0x0
	.amdhsa_kernel _Z33warp_exclusive_scan_reduce_kernelIiLj63ELj3EENSt9enable_ifIXsr10test_utilsE35device_test_enabled_for_warp_size_vIXT1_EEEvE4typeEPT_S4_S4_S3_
		.amdhsa_group_segment_fixed_size 252
		.amdhsa_private_segment_fixed_size 0
		.amdhsa_kernarg_size 288
		.amdhsa_user_sgpr_count 15
		.amdhsa_user_sgpr_dispatch_ptr 0
		.amdhsa_user_sgpr_queue_ptr 0
		.amdhsa_user_sgpr_kernarg_segment_ptr 1
		.amdhsa_user_sgpr_dispatch_id 0
		.amdhsa_user_sgpr_private_segment_size 0
		.amdhsa_wavefront_size32 1
		.amdhsa_uses_dynamic_stack 0
		.amdhsa_enable_private_segment 0
		.amdhsa_system_sgpr_workgroup_id_x 1
		.amdhsa_system_sgpr_workgroup_id_y 0
		.amdhsa_system_sgpr_workgroup_id_z 0
		.amdhsa_system_sgpr_workgroup_info 0
		.amdhsa_system_vgpr_workitem_id 0
		.amdhsa_next_free_vgpr 10
		.amdhsa_next_free_sgpr 16
		.amdhsa_reserve_vcc 1
		.amdhsa_float_round_mode_32 0
		.amdhsa_float_round_mode_16_64 0
		.amdhsa_float_denorm_mode_32 3
		.amdhsa_float_denorm_mode_16_64 3
		.amdhsa_dx10_clamp 1
		.amdhsa_ieee_mode 1
		.amdhsa_fp16_overflow 0
		.amdhsa_workgroup_processor_mode 1
		.amdhsa_memory_ordered 1
		.amdhsa_forward_progress 0
		.amdhsa_shared_vgpr_count 0
		.amdhsa_exception_fp_ieee_invalid_op 0
		.amdhsa_exception_fp_denorm_src 0
		.amdhsa_exception_fp_ieee_div_zero 0
		.amdhsa_exception_fp_ieee_overflow 0
		.amdhsa_exception_fp_ieee_underflow 0
		.amdhsa_exception_fp_ieee_inexact 0
		.amdhsa_exception_int_div_zero 0
	.end_amdhsa_kernel
	.section	.text._Z33warp_exclusive_scan_reduce_kernelIiLj63ELj3EENSt9enable_ifIXsr10test_utilsE35device_test_enabled_for_warp_size_vIXT1_EEEvE4typeEPT_S4_S4_S3_,"axG",@progbits,_Z33warp_exclusive_scan_reduce_kernelIiLj63ELj3EENSt9enable_ifIXsr10test_utilsE35device_test_enabled_for_warp_size_vIXT1_EEEvE4typeEPT_S4_S4_S3_,comdat
.Lfunc_end187:
	.size	_Z33warp_exclusive_scan_reduce_kernelIiLj63ELj3EENSt9enable_ifIXsr10test_utilsE35device_test_enabled_for_warp_size_vIXT1_EEEvE4typeEPT_S4_S4_S3_, .Lfunc_end187-_Z33warp_exclusive_scan_reduce_kernelIiLj63ELj3EENSt9enable_ifIXsr10test_utilsE35device_test_enabled_for_warp_size_vIXT1_EEEvE4typeEPT_S4_S4_S3_
                                        ; -- End function
	.section	.AMDGPU.csdata,"",@progbits
; Kernel info:
; codeLenInByte = 460
; NumSgprs: 18
; NumVgprs: 10
; ScratchSize: 0
; MemoryBound: 0
; FloatMode: 240
; IeeeMode: 1
; LDSByteSize: 252 bytes/workgroup (compile time only)
; SGPRBlocks: 2
; VGPRBlocks: 1
; NumSGPRsForWavesPerEU: 18
; NumVGPRsForWavesPerEU: 10
; Occupancy: 16
; WaveLimiterHint : 0
; COMPUTE_PGM_RSRC2:SCRATCH_EN: 0
; COMPUTE_PGM_RSRC2:USER_SGPR: 15
; COMPUTE_PGM_RSRC2:TRAP_HANDLER: 0
; COMPUTE_PGM_RSRC2:TGID_X_EN: 1
; COMPUTE_PGM_RSRC2:TGID_Y_EN: 0
; COMPUTE_PGM_RSRC2:TGID_Z_EN: 0
; COMPUTE_PGM_RSRC2:TIDIG_COMP_CNT: 0
	.section	.text._Z33warp_exclusive_scan_reduce_kernelI12hip_bfloat16Lj256ELj64EENSt9enable_ifIXntsr10test_utilsE35device_test_enabled_for_warp_size_vIXT1_EEEvE4typeEPT_S5_S5_S4_,"axG",@progbits,_Z33warp_exclusive_scan_reduce_kernelI12hip_bfloat16Lj256ELj64EENSt9enable_ifIXntsr10test_utilsE35device_test_enabled_for_warp_size_vIXT1_EEEvE4typeEPT_S5_S5_S4_,comdat
	.protected	_Z33warp_exclusive_scan_reduce_kernelI12hip_bfloat16Lj256ELj64EENSt9enable_ifIXntsr10test_utilsE35device_test_enabled_for_warp_size_vIXT1_EEEvE4typeEPT_S5_S5_S4_ ; -- Begin function _Z33warp_exclusive_scan_reduce_kernelI12hip_bfloat16Lj256ELj64EENSt9enable_ifIXntsr10test_utilsE35device_test_enabled_for_warp_size_vIXT1_EEEvE4typeEPT_S5_S5_S4_
	.globl	_Z33warp_exclusive_scan_reduce_kernelI12hip_bfloat16Lj256ELj64EENSt9enable_ifIXntsr10test_utilsE35device_test_enabled_for_warp_size_vIXT1_EEEvE4typeEPT_S5_S5_S4_
	.p2align	8
	.type	_Z33warp_exclusive_scan_reduce_kernelI12hip_bfloat16Lj256ELj64EENSt9enable_ifIXntsr10test_utilsE35device_test_enabled_for_warp_size_vIXT1_EEEvE4typeEPT_S5_S5_S4_,@function
_Z33warp_exclusive_scan_reduce_kernelI12hip_bfloat16Lj256ELj64EENSt9enable_ifIXntsr10test_utilsE35device_test_enabled_for_warp_size_vIXT1_EEEvE4typeEPT_S5_S5_S4_: ; @_Z33warp_exclusive_scan_reduce_kernelI12hip_bfloat16Lj256ELj64EENSt9enable_ifIXntsr10test_utilsE35device_test_enabled_for_warp_size_vIXT1_EEEvE4typeEPT_S5_S5_S4_
; %bb.0:
	s_endpgm
	.section	.rodata,"a",@progbits
	.p2align	6, 0x0
	.amdhsa_kernel _Z33warp_exclusive_scan_reduce_kernelI12hip_bfloat16Lj256ELj64EENSt9enable_ifIXntsr10test_utilsE35device_test_enabled_for_warp_size_vIXT1_EEEvE4typeEPT_S5_S5_S4_
		.amdhsa_group_segment_fixed_size 0
		.amdhsa_private_segment_fixed_size 0
		.amdhsa_kernarg_size 28
		.amdhsa_user_sgpr_count 15
		.amdhsa_user_sgpr_dispatch_ptr 0
		.amdhsa_user_sgpr_queue_ptr 0
		.amdhsa_user_sgpr_kernarg_segment_ptr 1
		.amdhsa_user_sgpr_dispatch_id 0
		.amdhsa_user_sgpr_private_segment_size 0
		.amdhsa_wavefront_size32 1
		.amdhsa_uses_dynamic_stack 0
		.amdhsa_enable_private_segment 0
		.amdhsa_system_sgpr_workgroup_id_x 1
		.amdhsa_system_sgpr_workgroup_id_y 0
		.amdhsa_system_sgpr_workgroup_id_z 0
		.amdhsa_system_sgpr_workgroup_info 0
		.amdhsa_system_vgpr_workitem_id 0
		.amdhsa_next_free_vgpr 1
		.amdhsa_next_free_sgpr 1
		.amdhsa_reserve_vcc 0
		.amdhsa_float_round_mode_32 0
		.amdhsa_float_round_mode_16_64 0
		.amdhsa_float_denorm_mode_32 3
		.amdhsa_float_denorm_mode_16_64 3
		.amdhsa_dx10_clamp 1
		.amdhsa_ieee_mode 1
		.amdhsa_fp16_overflow 0
		.amdhsa_workgroup_processor_mode 1
		.amdhsa_memory_ordered 1
		.amdhsa_forward_progress 0
		.amdhsa_shared_vgpr_count 0
		.amdhsa_exception_fp_ieee_invalid_op 0
		.amdhsa_exception_fp_denorm_src 0
		.amdhsa_exception_fp_ieee_div_zero 0
		.amdhsa_exception_fp_ieee_overflow 0
		.amdhsa_exception_fp_ieee_underflow 0
		.amdhsa_exception_fp_ieee_inexact 0
		.amdhsa_exception_int_div_zero 0
	.end_amdhsa_kernel
	.section	.text._Z33warp_exclusive_scan_reduce_kernelI12hip_bfloat16Lj256ELj64EENSt9enable_ifIXntsr10test_utilsE35device_test_enabled_for_warp_size_vIXT1_EEEvE4typeEPT_S5_S5_S4_,"axG",@progbits,_Z33warp_exclusive_scan_reduce_kernelI12hip_bfloat16Lj256ELj64EENSt9enable_ifIXntsr10test_utilsE35device_test_enabled_for_warp_size_vIXT1_EEEvE4typeEPT_S5_S5_S4_,comdat
.Lfunc_end188:
	.size	_Z33warp_exclusive_scan_reduce_kernelI12hip_bfloat16Lj256ELj64EENSt9enable_ifIXntsr10test_utilsE35device_test_enabled_for_warp_size_vIXT1_EEEvE4typeEPT_S5_S5_S4_, .Lfunc_end188-_Z33warp_exclusive_scan_reduce_kernelI12hip_bfloat16Lj256ELj64EENSt9enable_ifIXntsr10test_utilsE35device_test_enabled_for_warp_size_vIXT1_EEEvE4typeEPT_S5_S5_S4_
                                        ; -- End function
	.section	.AMDGPU.csdata,"",@progbits
; Kernel info:
; codeLenInByte = 4
; NumSgprs: 0
; NumVgprs: 0
; ScratchSize: 0
; MemoryBound: 0
; FloatMode: 240
; IeeeMode: 1
; LDSByteSize: 0 bytes/workgroup (compile time only)
; SGPRBlocks: 0
; VGPRBlocks: 0
; NumSGPRsForWavesPerEU: 1
; NumVGPRsForWavesPerEU: 1
; Occupancy: 16
; WaveLimiterHint : 0
; COMPUTE_PGM_RSRC2:SCRATCH_EN: 0
; COMPUTE_PGM_RSRC2:USER_SGPR: 15
; COMPUTE_PGM_RSRC2:TRAP_HANDLER: 0
; COMPUTE_PGM_RSRC2:TGID_X_EN: 1
; COMPUTE_PGM_RSRC2:TGID_Y_EN: 0
; COMPUTE_PGM_RSRC2:TGID_Z_EN: 0
; COMPUTE_PGM_RSRC2:TIDIG_COMP_CNT: 0
	.section	.text._Z33warp_exclusive_scan_reduce_kernelI12hip_bfloat16Lj128ELj32EENSt9enable_ifIXsr10test_utilsE35device_test_enabled_for_warp_size_vIXT1_EEEvE4typeEPT_S5_S5_S4_,"axG",@progbits,_Z33warp_exclusive_scan_reduce_kernelI12hip_bfloat16Lj128ELj32EENSt9enable_ifIXsr10test_utilsE35device_test_enabled_for_warp_size_vIXT1_EEEvE4typeEPT_S5_S5_S4_,comdat
	.protected	_Z33warp_exclusive_scan_reduce_kernelI12hip_bfloat16Lj128ELj32EENSt9enable_ifIXsr10test_utilsE35device_test_enabled_for_warp_size_vIXT1_EEEvE4typeEPT_S5_S5_S4_ ; -- Begin function _Z33warp_exclusive_scan_reduce_kernelI12hip_bfloat16Lj128ELj32EENSt9enable_ifIXsr10test_utilsE35device_test_enabled_for_warp_size_vIXT1_EEEvE4typeEPT_S5_S5_S4_
	.globl	_Z33warp_exclusive_scan_reduce_kernelI12hip_bfloat16Lj128ELj32EENSt9enable_ifIXsr10test_utilsE35device_test_enabled_for_warp_size_vIXT1_EEEvE4typeEPT_S5_S5_S4_
	.p2align	8
	.type	_Z33warp_exclusive_scan_reduce_kernelI12hip_bfloat16Lj128ELj32EENSt9enable_ifIXsr10test_utilsE35device_test_enabled_for_warp_size_vIXT1_EEEvE4typeEPT_S5_S5_S4_,@function
_Z33warp_exclusive_scan_reduce_kernelI12hip_bfloat16Lj128ELj32EENSt9enable_ifIXsr10test_utilsE35device_test_enabled_for_warp_size_vIXT1_EEEvE4typeEPT_S5_S5_S4_: ; @_Z33warp_exclusive_scan_reduce_kernelI12hip_bfloat16Lj128ELj32EENSt9enable_ifIXsr10test_utilsE35device_test_enabled_for_warp_size_vIXT1_EEEvE4typeEPT_S5_S5_S4_
; %bb.0:
	s_clause 0x1
	s_load_b32 s2, s[0:1], 0x2c
	s_load_b128 s[4:7], s[0:1], 0x0
                                        ; implicit-def: $vgpr8
	s_waitcnt lgkmcnt(0)
	s_and_b32 s2, s2, 0xffff
	s_delay_alu instid0(SALU_CYCLE_1) | instskip(SKIP_2) | instid1(VALU_DEP_1)
	v_mad_u64_u32 v[1:2], null, s15, s2, v[0:1]
	v_mov_b32_e32 v2, 0
	s_mov_b32 s2, exec_lo
	v_lshlrev_b64 v[2:3], 1, v[1:2]
	s_delay_alu instid0(VALU_DEP_1) | instskip(NEXT) | instid1(VALU_DEP_2)
	v_add_co_u32 v4, vcc_lo, s4, v2
	v_add_co_ci_u32_e32 v5, vcc_lo, s5, v3, vcc_lo
	global_load_u16 v6, v[4:5], off
	s_waitcnt vmcnt(0)
	v_lshlrev_b32_e32 v7, 16, v6
	v_mov_b32_dpp v4, v6 row_shr:1 row_mask:0xf bank_mask:0xf
	s_delay_alu instid0(VALU_DEP_1) | instskip(NEXT) | instid1(VALU_DEP_1)
	v_lshlrev_b32_e32 v4, 16, v4
	v_add_f32_e32 v4, v7, v4
	s_delay_alu instid0(VALU_DEP_1) | instskip(NEXT) | instid1(VALU_DEP_1)
	v_and_b32_e32 v5, 0x7f800000, v4
	v_cmpx_ne_u32_e32 0x7f800000, v5
	s_xor_b32 s2, exec_lo, s2
; %bb.1:
	v_bfe_u32 v5, v4, 16, 1
	s_delay_alu instid0(VALU_DEP_1)
	v_add3_u32 v8, v4, v5, 0x7fff
                                        ; implicit-def: $vgpr4
; %bb.2:
	s_and_not1_saveexec_b32 s2, s2
; %bb.3:
	v_and_b32_e32 v5, 0xffff, v4
	v_or_b32_e32 v8, 0x10000, v4
	s_delay_alu instid0(VALU_DEP_2) | instskip(NEXT) | instid1(VALU_DEP_2)
	v_cmp_eq_u32_e32 vcc_lo, 0, v5
	v_cndmask_b32_e32 v8, v8, v4, vcc_lo
; %bb.4:
	s_or_b32 exec_lo, exec_lo, s2
	v_mbcnt_lo_u32_b32 v4, -1, 0
	s_delay_alu instid0(VALU_DEP_2) | instskip(SKIP_1) | instid1(VALU_DEP_3)
	v_and_b32_e32 v9, 0xffff0000, v8
	v_lshrrev_b32_e32 v8, 16, v8
	v_and_b32_e32 v5, 15, v4
	s_delay_alu instid0(VALU_DEP_1) | instskip(NEXT) | instid1(VALU_DEP_3)
	v_cmp_eq_u32_e32 vcc_lo, 0, v5
	v_cndmask_b32_e32 v6, v8, v6, vcc_lo
	s_delay_alu instid0(VALU_DEP_1) | instskip(NEXT) | instid1(VALU_DEP_1)
	v_mov_b32_dpp v8, v6 row_shr:2 row_mask:0xf bank_mask:0xf
	v_dual_cndmask_b32 v7, v9, v7 :: v_dual_lshlrev_b32 v8, 16, v8
	s_delay_alu instid0(VALU_DEP_1) | instskip(NEXT) | instid1(VALU_DEP_1)
	v_add_f32_e32 v8, v7, v8
	v_and_b32_e32 v9, 0x7f800000, v8
	s_delay_alu instid0(VALU_DEP_1) | instskip(SKIP_1) | instid1(SALU_CYCLE_1)
	v_cmp_ne_u32_e32 vcc_lo, 0x7f800000, v9
                                        ; implicit-def: $vgpr9
	s_and_saveexec_b32 s2, vcc_lo
	s_xor_b32 s2, exec_lo, s2
; %bb.5:
	v_bfe_u32 v9, v8, 16, 1
	s_delay_alu instid0(VALU_DEP_1)
	v_add3_u32 v9, v8, v9, 0x7fff
                                        ; implicit-def: $vgpr8
; %bb.6:
	s_and_not1_saveexec_b32 s2, s2
; %bb.7:
	v_and_b32_e32 v9, 0xffff, v8
	v_or_b32_e32 v10, 0x10000, v8
	s_delay_alu instid0(VALU_DEP_2) | instskip(NEXT) | instid1(VALU_DEP_2)
	v_cmp_eq_u32_e32 vcc_lo, 0, v9
	v_cndmask_b32_e32 v9, v10, v8, vcc_lo
; %bb.8:
	s_or_b32 exec_lo, exec_lo, s2
	s_delay_alu instid0(VALU_DEP_1) | instskip(SKIP_2) | instid1(VALU_DEP_2)
	v_and_b32_e32 v8, 0xffff0000, v9
	v_lshrrev_b32_e32 v9, 16, v9
	v_cmp_lt_u32_e32 vcc_lo, 1, v5
	v_dual_cndmask_b32 v7, v7, v8 :: v_dual_cndmask_b32 v6, v6, v9
	s_delay_alu instid0(VALU_DEP_1) | instskip(NEXT) | instid1(VALU_DEP_1)
	v_mov_b32_dpp v8, v6 row_shr:4 row_mask:0xf bank_mask:0xf
	v_lshlrev_b32_e32 v8, 16, v8
	s_delay_alu instid0(VALU_DEP_1) | instskip(NEXT) | instid1(VALU_DEP_1)
	v_add_f32_e32 v8, v7, v8
	v_and_b32_e32 v9, 0x7f800000, v8
	s_delay_alu instid0(VALU_DEP_1) | instskip(SKIP_1) | instid1(SALU_CYCLE_1)
	v_cmp_ne_u32_e32 vcc_lo, 0x7f800000, v9
                                        ; implicit-def: $vgpr9
	s_and_saveexec_b32 s2, vcc_lo
	s_xor_b32 s2, exec_lo, s2
; %bb.9:
	v_bfe_u32 v9, v8, 16, 1
	s_delay_alu instid0(VALU_DEP_1)
	v_add3_u32 v9, v8, v9, 0x7fff
                                        ; implicit-def: $vgpr8
; %bb.10:
	s_and_not1_saveexec_b32 s2, s2
; %bb.11:
	v_and_b32_e32 v9, 0xffff, v8
	v_or_b32_e32 v10, 0x10000, v8
	s_delay_alu instid0(VALU_DEP_2) | instskip(NEXT) | instid1(VALU_DEP_2)
	v_cmp_eq_u32_e32 vcc_lo, 0, v9
	v_cndmask_b32_e32 v9, v10, v8, vcc_lo
; %bb.12:
	s_or_b32 exec_lo, exec_lo, s2
	s_delay_alu instid0(VALU_DEP_1) | instskip(SKIP_2) | instid1(VALU_DEP_2)
	v_and_b32_e32 v8, 0xffff0000, v9
	v_lshrrev_b32_e32 v9, 16, v9
	v_cmp_lt_u32_e32 vcc_lo, 3, v5
	v_dual_cndmask_b32 v7, v7, v8 :: v_dual_cndmask_b32 v6, v6, v9
	s_delay_alu instid0(VALU_DEP_1) | instskip(NEXT) | instid1(VALU_DEP_1)
	v_mov_b32_dpp v8, v6 row_shr:8 row_mask:0xf bank_mask:0xf
	v_lshlrev_b32_e32 v8, 16, v8
	s_delay_alu instid0(VALU_DEP_1) | instskip(NEXT) | instid1(VALU_DEP_1)
	v_add_f32_e32 v8, v7, v8
	v_and_b32_e32 v9, 0x7f800000, v8
	s_delay_alu instid0(VALU_DEP_1) | instskip(SKIP_1) | instid1(SALU_CYCLE_1)
	v_cmp_ne_u32_e32 vcc_lo, 0x7f800000, v9
                                        ; implicit-def: $vgpr9
	s_and_saveexec_b32 s2, vcc_lo
	s_xor_b32 s2, exec_lo, s2
; %bb.13:
	v_bfe_u32 v9, v8, 16, 1
	s_delay_alu instid0(VALU_DEP_1)
	v_add3_u32 v9, v8, v9, 0x7fff
                                        ; implicit-def: $vgpr8
; %bb.14:
	s_and_not1_saveexec_b32 s2, s2
; %bb.15:
	v_and_b32_e32 v9, 0xffff, v8
	v_or_b32_e32 v10, 0x10000, v8
	s_delay_alu instid0(VALU_DEP_2) | instskip(NEXT) | instid1(VALU_DEP_2)
	v_cmp_eq_u32_e32 vcc_lo, 0, v9
	v_cndmask_b32_e32 v9, v10, v8, vcc_lo
; %bb.16:
	s_or_b32 exec_lo, exec_lo, s2
	s_delay_alu instid0(VALU_DEP_1) | instskip(SKIP_2) | instid1(VALU_DEP_2)
	v_and_b32_e32 v8, 0xffff0000, v9
	v_lshrrev_b32_e32 v9, 16, v9
	v_cmp_lt_u32_e32 vcc_lo, 7, v5
	v_cndmask_b32_e32 v5, v6, v9, vcc_lo
	ds_swizzle_b32 v6, v5 offset:swizzle(BROADCAST,32,15)
	s_waitcnt lgkmcnt(0)
	v_dual_cndmask_b32 v7, v7, v8 :: v_dual_lshlrev_b32 v6, 16, v6
	s_delay_alu instid0(VALU_DEP_1) | instskip(NEXT) | instid1(VALU_DEP_1)
	v_add_f32_e32 v6, v7, v6
	v_and_b32_e32 v7, 0x7f800000, v6
	s_delay_alu instid0(VALU_DEP_1) | instskip(SKIP_1) | instid1(SALU_CYCLE_1)
	v_cmp_ne_u32_e32 vcc_lo, 0x7f800000, v7
                                        ; implicit-def: $vgpr7
	s_and_saveexec_b32 s2, vcc_lo
	s_xor_b32 s2, exec_lo, s2
; %bb.17:
	v_bfe_u32 v7, v6, 16, 1
	s_delay_alu instid0(VALU_DEP_1)
	v_add3_u32 v7, v6, v7, 0x7fff
                                        ; implicit-def: $vgpr6
; %bb.18:
	s_or_saveexec_b32 s4, s2
	s_load_b64 s[2:3], s[0:1], 0x10
	s_xor_b32 exec_lo, exec_lo, s4
; %bb.19:
	v_and_b32_e32 v7, 0xffff, v6
	v_or_b32_e32 v8, 0x10000, v6
	s_delay_alu instid0(VALU_DEP_2) | instskip(NEXT) | instid1(VALU_DEP_2)
	v_cmp_eq_u32_e32 vcc_lo, 0, v7
	v_cndmask_b32_e32 v7, v8, v6, vcc_lo
; %bb.20:
	s_or_b32 exec_lo, exec_lo, s4
	v_and_b32_e32 v6, 16, v4
	s_load_b32 s0, s[0:1], 0x18
	s_delay_alu instid0(VALU_DEP_2) | instskip(NEXT) | instid1(VALU_DEP_2)
	v_lshrrev_b32_e32 v7, 16, v7
	v_cmp_eq_u32_e32 vcc_lo, 0, v6
	s_delay_alu instid0(VALU_DEP_2) | instskip(NEXT) | instid1(VALU_DEP_1)
	v_dual_cndmask_b32 v6, v7, v5 :: v_dual_mov_b32 v7, 0
	v_and_b32_e32 v5, 0xffff, v6
	v_lshlrev_b32_e32 v6, 16, v6
	ds_bpermute_b32 v5, v7, v5 offset:124
	s_waitcnt lgkmcnt(0)
	s_lshl_b32 s1, s0, 16
	s_delay_alu instid0(SALU_CYCLE_1) | instskip(NEXT) | instid1(VALU_DEP_1)
	v_add_f32_e32 v7, s1, v6
	v_and_b32_e32 v6, 0x7f800000, v7
	s_delay_alu instid0(VALU_DEP_1) | instskip(SKIP_1) | instid1(SALU_CYCLE_1)
	v_cmp_ne_u32_e32 vcc_lo, 0x7f800000, v6
                                        ; implicit-def: $vgpr6
	s_and_saveexec_b32 s1, vcc_lo
	s_xor_b32 s1, exec_lo, s1
; %bb.21:
	v_bfe_u32 v6, v7, 16, 1
	s_delay_alu instid0(VALU_DEP_1)
	v_add3_u32 v6, v7, v6, 0x7fff
                                        ; implicit-def: $vgpr7
; %bb.22:
	s_and_not1_saveexec_b32 s1, s1
; %bb.23:
	v_and_b32_e32 v6, 0xffff, v7
	v_or_b32_e32 v8, 0x10000, v7
	s_delay_alu instid0(VALU_DEP_2) | instskip(NEXT) | instid1(VALU_DEP_2)
	v_cmp_eq_u32_e32 vcc_lo, 0, v6
	v_cndmask_b32_e32 v6, v8, v7, vcc_lo
; %bb.24:
	s_or_b32 exec_lo, exec_lo, s1
	v_add_nc_u32_e32 v7, -1, v4
	s_delay_alu instid0(VALU_DEP_2) | instskip(SKIP_1) | instid1(VALU_DEP_3)
	v_lshrrev_b32_e32 v6, 16, v6
	v_and_b32_e32 v0, 31, v0
	v_cmp_gt_i32_e32 vcc_lo, 0, v7
	v_cndmask_b32_e32 v7, v7, v4, vcc_lo
	v_cmp_eq_u32_e32 vcc_lo, 0, v4
	s_delay_alu instid0(VALU_DEP_2)
	v_lshlrev_b32_e32 v7, 2, v7
	ds_bpermute_b32 v6, v7, v6
	s_waitcnt lgkmcnt(0)
	v_cndmask_b32_e64 v4, v6, s0, vcc_lo
	v_add_co_u32 v2, vcc_lo, s6, v2
	v_add_co_ci_u32_e32 v3, vcc_lo, s7, v3, vcc_lo
	s_mov_b32 s0, exec_lo
	global_store_b16 v[2:3], v4, off
	v_cmpx_eq_u32_e32 0, v0
	s_cbranch_execz .LBB189_26
; %bb.25:
	v_lshrrev_b32_e32 v0, 4, v1
	s_delay_alu instid0(VALU_DEP_1)
	v_and_b32_e32 v0, 0xffffffe, v0
	global_store_b16 v0, v5, s[2:3]
.LBB189_26:
	s_nop 0
	s_sendmsg sendmsg(MSG_DEALLOC_VGPRS)
	s_endpgm
	.section	.rodata,"a",@progbits
	.p2align	6, 0x0
	.amdhsa_kernel _Z33warp_exclusive_scan_reduce_kernelI12hip_bfloat16Lj128ELj32EENSt9enable_ifIXsr10test_utilsE35device_test_enabled_for_warp_size_vIXT1_EEEvE4typeEPT_S5_S5_S4_
		.amdhsa_group_segment_fixed_size 0
		.amdhsa_private_segment_fixed_size 0
		.amdhsa_kernarg_size 288
		.amdhsa_user_sgpr_count 15
		.amdhsa_user_sgpr_dispatch_ptr 0
		.amdhsa_user_sgpr_queue_ptr 0
		.amdhsa_user_sgpr_kernarg_segment_ptr 1
		.amdhsa_user_sgpr_dispatch_id 0
		.amdhsa_user_sgpr_private_segment_size 0
		.amdhsa_wavefront_size32 1
		.amdhsa_uses_dynamic_stack 0
		.amdhsa_enable_private_segment 0
		.amdhsa_system_sgpr_workgroup_id_x 1
		.amdhsa_system_sgpr_workgroup_id_y 0
		.amdhsa_system_sgpr_workgroup_id_z 0
		.amdhsa_system_sgpr_workgroup_info 0
		.amdhsa_system_vgpr_workitem_id 0
		.amdhsa_next_free_vgpr 11
		.amdhsa_next_free_sgpr 16
		.amdhsa_reserve_vcc 1
		.amdhsa_float_round_mode_32 0
		.amdhsa_float_round_mode_16_64 0
		.amdhsa_float_denorm_mode_32 3
		.amdhsa_float_denorm_mode_16_64 3
		.amdhsa_dx10_clamp 1
		.amdhsa_ieee_mode 1
		.amdhsa_fp16_overflow 0
		.amdhsa_workgroup_processor_mode 1
		.amdhsa_memory_ordered 1
		.amdhsa_forward_progress 0
		.amdhsa_shared_vgpr_count 0
		.amdhsa_exception_fp_ieee_invalid_op 0
		.amdhsa_exception_fp_denorm_src 0
		.amdhsa_exception_fp_ieee_div_zero 0
		.amdhsa_exception_fp_ieee_overflow 0
		.amdhsa_exception_fp_ieee_underflow 0
		.amdhsa_exception_fp_ieee_inexact 0
		.amdhsa_exception_int_div_zero 0
	.end_amdhsa_kernel
	.section	.text._Z33warp_exclusive_scan_reduce_kernelI12hip_bfloat16Lj128ELj32EENSt9enable_ifIXsr10test_utilsE35device_test_enabled_for_warp_size_vIXT1_EEEvE4typeEPT_S5_S5_S4_,"axG",@progbits,_Z33warp_exclusive_scan_reduce_kernelI12hip_bfloat16Lj128ELj32EENSt9enable_ifIXsr10test_utilsE35device_test_enabled_for_warp_size_vIXT1_EEEvE4typeEPT_S5_S5_S4_,comdat
.Lfunc_end189:
	.size	_Z33warp_exclusive_scan_reduce_kernelI12hip_bfloat16Lj128ELj32EENSt9enable_ifIXsr10test_utilsE35device_test_enabled_for_warp_size_vIXT1_EEEvE4typeEPT_S5_S5_S4_, .Lfunc_end189-_Z33warp_exclusive_scan_reduce_kernelI12hip_bfloat16Lj128ELj32EENSt9enable_ifIXsr10test_utilsE35device_test_enabled_for_warp_size_vIXT1_EEEvE4typeEPT_S5_S5_S4_
                                        ; -- End function
	.section	.AMDGPU.csdata,"",@progbits
; Kernel info:
; codeLenInByte = 1068
; NumSgprs: 18
; NumVgprs: 11
; ScratchSize: 0
; MemoryBound: 0
; FloatMode: 240
; IeeeMode: 1
; LDSByteSize: 0 bytes/workgroup (compile time only)
; SGPRBlocks: 2
; VGPRBlocks: 1
; NumSGPRsForWavesPerEU: 18
; NumVGPRsForWavesPerEU: 11
; Occupancy: 16
; WaveLimiterHint : 0
; COMPUTE_PGM_RSRC2:SCRATCH_EN: 0
; COMPUTE_PGM_RSRC2:USER_SGPR: 15
; COMPUTE_PGM_RSRC2:TRAP_HANDLER: 0
; COMPUTE_PGM_RSRC2:TGID_X_EN: 1
; COMPUTE_PGM_RSRC2:TGID_Y_EN: 0
; COMPUTE_PGM_RSRC2:TGID_Z_EN: 0
; COMPUTE_PGM_RSRC2:TIDIG_COMP_CNT: 0
	.section	.text._Z33warp_exclusive_scan_reduce_kernelI12hip_bfloat16Lj64ELj16EENSt9enable_ifIXsr10test_utilsE35device_test_enabled_for_warp_size_vIXT1_EEEvE4typeEPT_S5_S5_S4_,"axG",@progbits,_Z33warp_exclusive_scan_reduce_kernelI12hip_bfloat16Lj64ELj16EENSt9enable_ifIXsr10test_utilsE35device_test_enabled_for_warp_size_vIXT1_EEEvE4typeEPT_S5_S5_S4_,comdat
	.protected	_Z33warp_exclusive_scan_reduce_kernelI12hip_bfloat16Lj64ELj16EENSt9enable_ifIXsr10test_utilsE35device_test_enabled_for_warp_size_vIXT1_EEEvE4typeEPT_S5_S5_S4_ ; -- Begin function _Z33warp_exclusive_scan_reduce_kernelI12hip_bfloat16Lj64ELj16EENSt9enable_ifIXsr10test_utilsE35device_test_enabled_for_warp_size_vIXT1_EEEvE4typeEPT_S5_S5_S4_
	.globl	_Z33warp_exclusive_scan_reduce_kernelI12hip_bfloat16Lj64ELj16EENSt9enable_ifIXsr10test_utilsE35device_test_enabled_for_warp_size_vIXT1_EEEvE4typeEPT_S5_S5_S4_
	.p2align	8
	.type	_Z33warp_exclusive_scan_reduce_kernelI12hip_bfloat16Lj64ELj16EENSt9enable_ifIXsr10test_utilsE35device_test_enabled_for_warp_size_vIXT1_EEEvE4typeEPT_S5_S5_S4_,@function
_Z33warp_exclusive_scan_reduce_kernelI12hip_bfloat16Lj64ELj16EENSt9enable_ifIXsr10test_utilsE35device_test_enabled_for_warp_size_vIXT1_EEEvE4typeEPT_S5_S5_S4_: ; @_Z33warp_exclusive_scan_reduce_kernelI12hip_bfloat16Lj64ELj16EENSt9enable_ifIXsr10test_utilsE35device_test_enabled_for_warp_size_vIXT1_EEEvE4typeEPT_S5_S5_S4_
; %bb.0:
	s_clause 0x1
	s_load_b32 s2, s[0:1], 0x2c
	s_load_b128 s[4:7], s[0:1], 0x0
                                        ; implicit-def: $vgpr8
	s_waitcnt lgkmcnt(0)
	s_and_b32 s2, s2, 0xffff
	s_delay_alu instid0(SALU_CYCLE_1) | instskip(SKIP_2) | instid1(VALU_DEP_1)
	v_mad_u64_u32 v[1:2], null, s15, s2, v[0:1]
	v_mov_b32_e32 v2, 0
	s_mov_b32 s2, exec_lo
	v_lshlrev_b64 v[2:3], 1, v[1:2]
	s_delay_alu instid0(VALU_DEP_1) | instskip(NEXT) | instid1(VALU_DEP_2)
	v_add_co_u32 v4, vcc_lo, s4, v2
	v_add_co_ci_u32_e32 v5, vcc_lo, s5, v3, vcc_lo
	global_load_u16 v6, v[4:5], off
	s_waitcnt vmcnt(0)
	v_lshlrev_b32_e32 v7, 16, v6
	v_mov_b32_dpp v4, v6 row_shr:1 row_mask:0xf bank_mask:0xf
	s_delay_alu instid0(VALU_DEP_1) | instskip(NEXT) | instid1(VALU_DEP_1)
	v_lshlrev_b32_e32 v4, 16, v4
	v_add_f32_e32 v4, v7, v4
	s_delay_alu instid0(VALU_DEP_1) | instskip(NEXT) | instid1(VALU_DEP_1)
	v_and_b32_e32 v5, 0x7f800000, v4
	v_cmpx_ne_u32_e32 0x7f800000, v5
	s_xor_b32 s2, exec_lo, s2
; %bb.1:
	v_bfe_u32 v5, v4, 16, 1
	s_delay_alu instid0(VALU_DEP_1)
	v_add3_u32 v8, v4, v5, 0x7fff
                                        ; implicit-def: $vgpr4
; %bb.2:
	s_and_not1_saveexec_b32 s2, s2
; %bb.3:
	v_and_b32_e32 v5, 0xffff, v4
	v_or_b32_e32 v8, 0x10000, v4
	s_delay_alu instid0(VALU_DEP_2) | instskip(NEXT) | instid1(VALU_DEP_2)
	v_cmp_eq_u32_e32 vcc_lo, 0, v5
	v_cndmask_b32_e32 v8, v8, v4, vcc_lo
; %bb.4:
	s_or_b32 exec_lo, exec_lo, s2
	v_mbcnt_lo_u32_b32 v4, -1, 0
	s_delay_alu instid0(VALU_DEP_2) | instskip(SKIP_1) | instid1(VALU_DEP_3)
	v_and_b32_e32 v9, 0xffff0000, v8
	v_lshrrev_b32_e32 v8, 16, v8
	v_and_b32_e32 v5, 15, v4
	s_delay_alu instid0(VALU_DEP_1) | instskip(NEXT) | instid1(VALU_DEP_3)
	v_cmp_eq_u32_e32 vcc_lo, 0, v5
	v_cndmask_b32_e32 v6, v8, v6, vcc_lo
	s_delay_alu instid0(VALU_DEP_1) | instskip(NEXT) | instid1(VALU_DEP_1)
	v_mov_b32_dpp v8, v6 row_shr:2 row_mask:0xf bank_mask:0xf
	v_dual_cndmask_b32 v7, v9, v7 :: v_dual_lshlrev_b32 v8, 16, v8
	s_delay_alu instid0(VALU_DEP_1) | instskip(NEXT) | instid1(VALU_DEP_1)
	v_add_f32_e32 v8, v7, v8
	v_and_b32_e32 v9, 0x7f800000, v8
	s_delay_alu instid0(VALU_DEP_1) | instskip(NEXT) | instid1(VALU_DEP_1)
	v_cmp_ne_u32_e64 s2, 0x7f800000, v9
                                        ; implicit-def: $vgpr9
	s_and_saveexec_b32 s3, s2
	s_delay_alu instid0(SALU_CYCLE_1)
	s_xor_b32 s2, exec_lo, s3
; %bb.5:
	v_bfe_u32 v9, v8, 16, 1
	s_delay_alu instid0(VALU_DEP_1)
	v_add3_u32 v9, v8, v9, 0x7fff
                                        ; implicit-def: $vgpr8
; %bb.6:
	s_and_not1_saveexec_b32 s3, s2
; %bb.7:
	v_and_b32_e32 v9, 0xffff, v8
	v_or_b32_e32 v10, 0x10000, v8
	s_delay_alu instid0(VALU_DEP_2) | instskip(NEXT) | instid1(VALU_DEP_1)
	v_cmp_eq_u32_e64 s2, 0, v9
	v_cndmask_b32_e64 v9, v10, v8, s2
; %bb.8:
	s_or_b32 exec_lo, exec_lo, s3
	s_delay_alu instid0(VALU_DEP_1) | instskip(SKIP_2) | instid1(VALU_DEP_1)
	v_and_b32_e32 v8, 0xffff0000, v9
	v_lshrrev_b32_e32 v9, 16, v9
	v_cmp_lt_u32_e64 s2, 1, v5
	v_cndmask_b32_e64 v6, v6, v9, s2
	s_delay_alu instid0(VALU_DEP_4) | instskip(NEXT) | instid1(VALU_DEP_2)
	v_cndmask_b32_e64 v7, v7, v8, s2
	v_mov_b32_dpp v8, v6 row_shr:4 row_mask:0xf bank_mask:0xf
	s_delay_alu instid0(VALU_DEP_1) | instskip(NEXT) | instid1(VALU_DEP_1)
	v_lshlrev_b32_e32 v8, 16, v8
	v_add_f32_e32 v8, v7, v8
	s_delay_alu instid0(VALU_DEP_1) | instskip(NEXT) | instid1(VALU_DEP_1)
	v_and_b32_e32 v9, 0x7f800000, v8
	v_cmp_ne_u32_e64 s2, 0x7f800000, v9
                                        ; implicit-def: $vgpr9
	s_delay_alu instid0(VALU_DEP_1) | instskip(NEXT) | instid1(SALU_CYCLE_1)
	s_and_saveexec_b32 s3, s2
	s_xor_b32 s2, exec_lo, s3
; %bb.9:
	v_bfe_u32 v9, v8, 16, 1
	s_delay_alu instid0(VALU_DEP_1)
	v_add3_u32 v9, v8, v9, 0x7fff
                                        ; implicit-def: $vgpr8
; %bb.10:
	s_and_not1_saveexec_b32 s3, s2
; %bb.11:
	v_and_b32_e32 v9, 0xffff, v8
	v_or_b32_e32 v10, 0x10000, v8
	s_delay_alu instid0(VALU_DEP_2) | instskip(NEXT) | instid1(VALU_DEP_1)
	v_cmp_eq_u32_e64 s2, 0, v9
	v_cndmask_b32_e64 v9, v10, v8, s2
; %bb.12:
	s_or_b32 exec_lo, exec_lo, s3
	s_delay_alu instid0(VALU_DEP_1) | instskip(SKIP_2) | instid1(VALU_DEP_1)
	v_and_b32_e32 v8, 0xffff0000, v9
	v_lshrrev_b32_e32 v9, 16, v9
	v_cmp_lt_u32_e64 s2, 3, v5
	v_cndmask_b32_e64 v6, v6, v9, s2
	s_delay_alu instid0(VALU_DEP_4) | instskip(NEXT) | instid1(VALU_DEP_2)
	v_cndmask_b32_e64 v7, v7, v8, s2
	v_mov_b32_dpp v8, v6 row_shr:8 row_mask:0xf bank_mask:0xf
	s_delay_alu instid0(VALU_DEP_1) | instskip(NEXT) | instid1(VALU_DEP_1)
	v_lshlrev_b32_e32 v8, 16, v8
	v_add_f32_e32 v7, v7, v8
	s_delay_alu instid0(VALU_DEP_1) | instskip(NEXT) | instid1(VALU_DEP_1)
	v_and_b32_e32 v8, 0x7f800000, v7
	v_cmp_ne_u32_e64 s2, 0x7f800000, v8
                                        ; implicit-def: $vgpr8
	s_delay_alu instid0(VALU_DEP_1) | instskip(NEXT) | instid1(SALU_CYCLE_1)
	s_and_saveexec_b32 s3, s2
	s_xor_b32 s2, exec_lo, s3
; %bb.13:
	v_bfe_u32 v8, v7, 16, 1
	s_delay_alu instid0(VALU_DEP_1)
	v_add3_u32 v8, v7, v8, 0x7fff
                                        ; implicit-def: $vgpr7
; %bb.14:
	s_or_saveexec_b32 s3, s2
	s_load_b64 s[4:5], s[0:1], 0x10
	s_xor_b32 exec_lo, exec_lo, s3
; %bb.15:
	v_and_b32_e32 v8, 0xffff, v7
	v_or_b32_e32 v9, 0x10000, v7
	s_delay_alu instid0(VALU_DEP_2) | instskip(NEXT) | instid1(VALU_DEP_1)
	v_cmp_eq_u32_e64 s2, 0, v8
	v_cndmask_b32_e64 v8, v9, v7, s2
; %bb.16:
	s_or_b32 exec_lo, exec_lo, s3
	s_load_b32 s1, s[0:1], 0x18
	s_delay_alu instid0(VALU_DEP_1) | instskip(SKIP_1) | instid1(VALU_DEP_1)
	v_lshrrev_b32_e32 v7, 16, v8
	v_cmp_lt_u32_e64 s0, 7, v5
	v_cndmask_b32_e64 v6, v6, v7, s0
	v_lshl_or_b32 v7, v4, 2, 60
	s_delay_alu instid0(VALU_DEP_2) | instskip(SKIP_4) | instid1(SALU_CYCLE_1)
	v_and_b32_e32 v5, 0xffff, v6
	v_lshlrev_b32_e32 v6, 16, v6
	ds_bpermute_b32 v5, v7, v5
	s_waitcnt lgkmcnt(0)
	s_lshl_b32 s0, s1, 16
	v_add_f32_e32 v7, s0, v6
	s_delay_alu instid0(VALU_DEP_1) | instskip(NEXT) | instid1(VALU_DEP_1)
	v_and_b32_e32 v6, 0x7f800000, v7
	v_cmp_ne_u32_e64 s0, 0x7f800000, v6
                                        ; implicit-def: $vgpr6
	s_delay_alu instid0(VALU_DEP_1) | instskip(NEXT) | instid1(SALU_CYCLE_1)
	s_and_saveexec_b32 s2, s0
	s_xor_b32 s0, exec_lo, s2
; %bb.17:
	v_bfe_u32 v6, v7, 16, 1
	s_delay_alu instid0(VALU_DEP_1)
	v_add3_u32 v6, v7, v6, 0x7fff
                                        ; implicit-def: $vgpr7
; %bb.18:
	s_and_not1_saveexec_b32 s2, s0
; %bb.19:
	v_and_b32_e32 v6, 0xffff, v7
	v_or_b32_e32 v8, 0x10000, v7
	s_delay_alu instid0(VALU_DEP_2) | instskip(NEXT) | instid1(VALU_DEP_1)
	v_cmp_eq_u32_e64 s0, 0, v6
	v_cndmask_b32_e64 v6, v8, v7, s0
; %bb.20:
	s_or_b32 exec_lo, exec_lo, s2
	v_and_b32_e32 v7, 16, v4
	v_add_nc_u32_e32 v8, -1, v4
	s_delay_alu instid0(VALU_DEP_3) | instskip(SKIP_1) | instid1(VALU_DEP_3)
	v_lshrrev_b32_e32 v6, 16, v6
	v_and_b32_e32 v0, 15, v0
	v_cmp_lt_i32_e64 s0, v8, v7
	s_delay_alu instid0(VALU_DEP_1) | instskip(SKIP_1) | instid1(VALU_DEP_1)
	v_cndmask_b32_e64 v4, v8, v4, s0
	s_mov_b32 s0, exec_lo
	v_lshlrev_b32_e32 v4, 2, v4
	ds_bpermute_b32 v4, v4, v6
	s_waitcnt lgkmcnt(0)
	v_cndmask_b32_e64 v4, v4, s1, vcc_lo
	v_add_co_u32 v2, vcc_lo, s6, v2
	v_add_co_ci_u32_e32 v3, vcc_lo, s7, v3, vcc_lo
	global_store_b16 v[2:3], v4, off
	v_cmpx_eq_u32_e32 0, v0
	s_cbranch_execz .LBB190_22
; %bb.21:
	v_lshrrev_b32_e32 v0, 3, v1
	s_delay_alu instid0(VALU_DEP_1)
	v_and_b32_e32 v0, 0x1ffffffe, v0
	global_store_b16 v0, v5, s[4:5]
.LBB190_22:
	s_nop 0
	s_sendmsg sendmsg(MSG_DEALLOC_VGPRS)
	s_endpgm
	.section	.rodata,"a",@progbits
	.p2align	6, 0x0
	.amdhsa_kernel _Z33warp_exclusive_scan_reduce_kernelI12hip_bfloat16Lj64ELj16EENSt9enable_ifIXsr10test_utilsE35device_test_enabled_for_warp_size_vIXT1_EEEvE4typeEPT_S5_S5_S4_
		.amdhsa_group_segment_fixed_size 0
		.amdhsa_private_segment_fixed_size 0
		.amdhsa_kernarg_size 288
		.amdhsa_user_sgpr_count 15
		.amdhsa_user_sgpr_dispatch_ptr 0
		.amdhsa_user_sgpr_queue_ptr 0
		.amdhsa_user_sgpr_kernarg_segment_ptr 1
		.amdhsa_user_sgpr_dispatch_id 0
		.amdhsa_user_sgpr_private_segment_size 0
		.amdhsa_wavefront_size32 1
		.amdhsa_uses_dynamic_stack 0
		.amdhsa_enable_private_segment 0
		.amdhsa_system_sgpr_workgroup_id_x 1
		.amdhsa_system_sgpr_workgroup_id_y 0
		.amdhsa_system_sgpr_workgroup_id_z 0
		.amdhsa_system_sgpr_workgroup_info 0
		.amdhsa_system_vgpr_workitem_id 0
		.amdhsa_next_free_vgpr 11
		.amdhsa_next_free_sgpr 16
		.amdhsa_reserve_vcc 1
		.amdhsa_float_round_mode_32 0
		.amdhsa_float_round_mode_16_64 0
		.amdhsa_float_denorm_mode_32 3
		.amdhsa_float_denorm_mode_16_64 3
		.amdhsa_dx10_clamp 1
		.amdhsa_ieee_mode 1
		.amdhsa_fp16_overflow 0
		.amdhsa_workgroup_processor_mode 1
		.amdhsa_memory_ordered 1
		.amdhsa_forward_progress 0
		.amdhsa_shared_vgpr_count 0
		.amdhsa_exception_fp_ieee_invalid_op 0
		.amdhsa_exception_fp_denorm_src 0
		.amdhsa_exception_fp_ieee_div_zero 0
		.amdhsa_exception_fp_ieee_overflow 0
		.amdhsa_exception_fp_ieee_underflow 0
		.amdhsa_exception_fp_ieee_inexact 0
		.amdhsa_exception_int_div_zero 0
	.end_amdhsa_kernel
	.section	.text._Z33warp_exclusive_scan_reduce_kernelI12hip_bfloat16Lj64ELj16EENSt9enable_ifIXsr10test_utilsE35device_test_enabled_for_warp_size_vIXT1_EEEvE4typeEPT_S5_S5_S4_,"axG",@progbits,_Z33warp_exclusive_scan_reduce_kernelI12hip_bfloat16Lj64ELj16EENSt9enable_ifIXsr10test_utilsE35device_test_enabled_for_warp_size_vIXT1_EEEvE4typeEPT_S5_S5_S4_,comdat
.Lfunc_end190:
	.size	_Z33warp_exclusive_scan_reduce_kernelI12hip_bfloat16Lj64ELj16EENSt9enable_ifIXsr10test_utilsE35device_test_enabled_for_warp_size_vIXT1_EEEvE4typeEPT_S5_S5_S4_, .Lfunc_end190-_Z33warp_exclusive_scan_reduce_kernelI12hip_bfloat16Lj64ELj16EENSt9enable_ifIXsr10test_utilsE35device_test_enabled_for_warp_size_vIXT1_EEEvE4typeEPT_S5_S5_S4_
                                        ; -- End function
	.section	.AMDGPU.csdata,"",@progbits
; Kernel info:
; codeLenInByte = 1028
; NumSgprs: 18
; NumVgprs: 11
; ScratchSize: 0
; MemoryBound: 0
; FloatMode: 240
; IeeeMode: 1
; LDSByteSize: 0 bytes/workgroup (compile time only)
; SGPRBlocks: 2
; VGPRBlocks: 1
; NumSGPRsForWavesPerEU: 18
; NumVGPRsForWavesPerEU: 11
; Occupancy: 16
; WaveLimiterHint : 0
; COMPUTE_PGM_RSRC2:SCRATCH_EN: 0
; COMPUTE_PGM_RSRC2:USER_SGPR: 15
; COMPUTE_PGM_RSRC2:TRAP_HANDLER: 0
; COMPUTE_PGM_RSRC2:TGID_X_EN: 1
; COMPUTE_PGM_RSRC2:TGID_Y_EN: 0
; COMPUTE_PGM_RSRC2:TGID_Z_EN: 0
; COMPUTE_PGM_RSRC2:TIDIG_COMP_CNT: 0
	.section	.text._Z33warp_exclusive_scan_reduce_kernelI12hip_bfloat16Lj32ELj8EENSt9enable_ifIXsr10test_utilsE35device_test_enabled_for_warp_size_vIXT1_EEEvE4typeEPT_S5_S5_S4_,"axG",@progbits,_Z33warp_exclusive_scan_reduce_kernelI12hip_bfloat16Lj32ELj8EENSt9enable_ifIXsr10test_utilsE35device_test_enabled_for_warp_size_vIXT1_EEEvE4typeEPT_S5_S5_S4_,comdat
	.protected	_Z33warp_exclusive_scan_reduce_kernelI12hip_bfloat16Lj32ELj8EENSt9enable_ifIXsr10test_utilsE35device_test_enabled_for_warp_size_vIXT1_EEEvE4typeEPT_S5_S5_S4_ ; -- Begin function _Z33warp_exclusive_scan_reduce_kernelI12hip_bfloat16Lj32ELj8EENSt9enable_ifIXsr10test_utilsE35device_test_enabled_for_warp_size_vIXT1_EEEvE4typeEPT_S5_S5_S4_
	.globl	_Z33warp_exclusive_scan_reduce_kernelI12hip_bfloat16Lj32ELj8EENSt9enable_ifIXsr10test_utilsE35device_test_enabled_for_warp_size_vIXT1_EEEvE4typeEPT_S5_S5_S4_
	.p2align	8
	.type	_Z33warp_exclusive_scan_reduce_kernelI12hip_bfloat16Lj32ELj8EENSt9enable_ifIXsr10test_utilsE35device_test_enabled_for_warp_size_vIXT1_EEEvE4typeEPT_S5_S5_S4_,@function
_Z33warp_exclusive_scan_reduce_kernelI12hip_bfloat16Lj32ELj8EENSt9enable_ifIXsr10test_utilsE35device_test_enabled_for_warp_size_vIXT1_EEEvE4typeEPT_S5_S5_S4_: ; @_Z33warp_exclusive_scan_reduce_kernelI12hip_bfloat16Lj32ELj8EENSt9enable_ifIXsr10test_utilsE35device_test_enabled_for_warp_size_vIXT1_EEEvE4typeEPT_S5_S5_S4_
; %bb.0:
	s_clause 0x1
	s_load_b32 s2, s[0:1], 0x2c
	s_load_b128 s[4:7], s[0:1], 0x0
                                        ; implicit-def: $vgpr8
	s_waitcnt lgkmcnt(0)
	s_and_b32 s2, s2, 0xffff
	s_delay_alu instid0(SALU_CYCLE_1) | instskip(SKIP_2) | instid1(VALU_DEP_1)
	v_mad_u64_u32 v[1:2], null, s15, s2, v[0:1]
	v_mov_b32_e32 v2, 0
	s_mov_b32 s2, exec_lo
	v_lshlrev_b64 v[2:3], 1, v[1:2]
	s_delay_alu instid0(VALU_DEP_1) | instskip(NEXT) | instid1(VALU_DEP_2)
	v_add_co_u32 v4, vcc_lo, s4, v2
	v_add_co_ci_u32_e32 v5, vcc_lo, s5, v3, vcc_lo
	global_load_u16 v6, v[4:5], off
	s_waitcnt vmcnt(0)
	v_lshlrev_b32_e32 v7, 16, v6
	v_mov_b32_dpp v4, v6 row_shr:1 row_mask:0xf bank_mask:0xf
	s_delay_alu instid0(VALU_DEP_1) | instskip(NEXT) | instid1(VALU_DEP_1)
	v_lshlrev_b32_e32 v4, 16, v4
	v_add_f32_e32 v4, v7, v4
	s_delay_alu instid0(VALU_DEP_1) | instskip(NEXT) | instid1(VALU_DEP_1)
	v_and_b32_e32 v5, 0x7f800000, v4
	v_cmpx_ne_u32_e32 0x7f800000, v5
	s_xor_b32 s2, exec_lo, s2
; %bb.1:
	v_bfe_u32 v5, v4, 16, 1
	s_delay_alu instid0(VALU_DEP_1)
	v_add3_u32 v8, v4, v5, 0x7fff
                                        ; implicit-def: $vgpr4
; %bb.2:
	s_and_not1_saveexec_b32 s2, s2
; %bb.3:
	v_and_b32_e32 v5, 0xffff, v4
	v_or_b32_e32 v8, 0x10000, v4
	s_delay_alu instid0(VALU_DEP_2) | instskip(NEXT) | instid1(VALU_DEP_2)
	v_cmp_eq_u32_e32 vcc_lo, 0, v5
	v_cndmask_b32_e32 v8, v8, v4, vcc_lo
; %bb.4:
	s_or_b32 exec_lo, exec_lo, s2
	v_mbcnt_lo_u32_b32 v4, -1, 0
	s_delay_alu instid0(VALU_DEP_2) | instskip(SKIP_1) | instid1(VALU_DEP_3)
	v_and_b32_e32 v9, 0xffff0000, v8
	v_lshrrev_b32_e32 v8, 16, v8
	v_and_b32_e32 v5, 7, v4
	s_delay_alu instid0(VALU_DEP_1) | instskip(NEXT) | instid1(VALU_DEP_3)
	v_cmp_eq_u32_e32 vcc_lo, 0, v5
	v_cndmask_b32_e32 v6, v8, v6, vcc_lo
	s_delay_alu instid0(VALU_DEP_1) | instskip(NEXT) | instid1(VALU_DEP_1)
	v_mov_b32_dpp v8, v6 row_shr:2 row_mask:0xf bank_mask:0xf
	v_dual_cndmask_b32 v7, v9, v7 :: v_dual_lshlrev_b32 v8, 16, v8
	s_delay_alu instid0(VALU_DEP_1) | instskip(NEXT) | instid1(VALU_DEP_1)
	v_add_f32_e32 v8, v7, v8
	v_and_b32_e32 v9, 0x7f800000, v8
	s_delay_alu instid0(VALU_DEP_1) | instskip(NEXT) | instid1(VALU_DEP_1)
	v_cmp_ne_u32_e64 s2, 0x7f800000, v9
                                        ; implicit-def: $vgpr9
	s_and_saveexec_b32 s3, s2
	s_delay_alu instid0(SALU_CYCLE_1)
	s_xor_b32 s2, exec_lo, s3
; %bb.5:
	v_bfe_u32 v9, v8, 16, 1
	s_delay_alu instid0(VALU_DEP_1)
	v_add3_u32 v9, v8, v9, 0x7fff
                                        ; implicit-def: $vgpr8
; %bb.6:
	s_and_not1_saveexec_b32 s3, s2
; %bb.7:
	v_and_b32_e32 v9, 0xffff, v8
	v_or_b32_e32 v10, 0x10000, v8
	s_delay_alu instid0(VALU_DEP_2) | instskip(NEXT) | instid1(VALU_DEP_1)
	v_cmp_eq_u32_e64 s2, 0, v9
	v_cndmask_b32_e64 v9, v10, v8, s2
; %bb.8:
	s_or_b32 exec_lo, exec_lo, s3
	s_delay_alu instid0(VALU_DEP_1) | instskip(SKIP_2) | instid1(VALU_DEP_1)
	v_and_b32_e32 v8, 0xffff0000, v9
	v_lshrrev_b32_e32 v9, 16, v9
	v_cmp_lt_u32_e64 s2, 1, v5
	v_cndmask_b32_e64 v6, v6, v9, s2
	s_delay_alu instid0(VALU_DEP_4) | instskip(NEXT) | instid1(VALU_DEP_2)
	v_cndmask_b32_e64 v7, v7, v8, s2
	v_mov_b32_dpp v8, v6 row_shr:4 row_mask:0xf bank_mask:0xf
	s_delay_alu instid0(VALU_DEP_1) | instskip(NEXT) | instid1(VALU_DEP_1)
	v_lshlrev_b32_e32 v8, 16, v8
	v_add_f32_e32 v7, v7, v8
	s_delay_alu instid0(VALU_DEP_1) | instskip(NEXT) | instid1(VALU_DEP_1)
	v_and_b32_e32 v8, 0x7f800000, v7
	v_cmp_ne_u32_e64 s2, 0x7f800000, v8
                                        ; implicit-def: $vgpr8
	s_delay_alu instid0(VALU_DEP_1) | instskip(NEXT) | instid1(SALU_CYCLE_1)
	s_and_saveexec_b32 s3, s2
	s_xor_b32 s2, exec_lo, s3
; %bb.9:
	v_bfe_u32 v8, v7, 16, 1
	s_delay_alu instid0(VALU_DEP_1)
	v_add3_u32 v8, v7, v8, 0x7fff
                                        ; implicit-def: $vgpr7
; %bb.10:
	s_or_saveexec_b32 s3, s2
	s_load_b64 s[4:5], s[0:1], 0x10
	s_xor_b32 exec_lo, exec_lo, s3
; %bb.11:
	v_and_b32_e32 v8, 0xffff, v7
	v_or_b32_e32 v9, 0x10000, v7
	s_delay_alu instid0(VALU_DEP_2) | instskip(NEXT) | instid1(VALU_DEP_1)
	v_cmp_eq_u32_e64 s2, 0, v8
	v_cndmask_b32_e64 v8, v9, v7, s2
; %bb.12:
	s_or_b32 exec_lo, exec_lo, s3
	s_load_b32 s1, s[0:1], 0x18
	s_delay_alu instid0(VALU_DEP_1) | instskip(SKIP_1) | instid1(VALU_DEP_1)
	v_lshrrev_b32_e32 v7, 16, v8
	v_cmp_lt_u32_e64 s0, 3, v5
	v_cndmask_b32_e64 v6, v6, v7, s0
	v_lshl_or_b32 v7, v4, 2, 28
	s_delay_alu instid0(VALU_DEP_2) | instskip(SKIP_4) | instid1(SALU_CYCLE_1)
	v_and_b32_e32 v5, 0xffff, v6
	v_lshlrev_b32_e32 v6, 16, v6
	ds_bpermute_b32 v5, v7, v5
	s_waitcnt lgkmcnt(0)
	s_lshl_b32 s0, s1, 16
	v_add_f32_e32 v7, s0, v6
	s_delay_alu instid0(VALU_DEP_1) | instskip(NEXT) | instid1(VALU_DEP_1)
	v_and_b32_e32 v6, 0x7f800000, v7
	v_cmp_ne_u32_e64 s0, 0x7f800000, v6
                                        ; implicit-def: $vgpr6
	s_delay_alu instid0(VALU_DEP_1) | instskip(NEXT) | instid1(SALU_CYCLE_1)
	s_and_saveexec_b32 s2, s0
	s_xor_b32 s0, exec_lo, s2
; %bb.13:
	v_bfe_u32 v6, v7, 16, 1
	s_delay_alu instid0(VALU_DEP_1)
	v_add3_u32 v6, v7, v6, 0x7fff
                                        ; implicit-def: $vgpr7
; %bb.14:
	s_and_not1_saveexec_b32 s2, s0
; %bb.15:
	v_and_b32_e32 v6, 0xffff, v7
	v_or_b32_e32 v8, 0x10000, v7
	s_delay_alu instid0(VALU_DEP_2) | instskip(NEXT) | instid1(VALU_DEP_1)
	v_cmp_eq_u32_e64 s0, 0, v6
	v_cndmask_b32_e64 v6, v8, v7, s0
; %bb.16:
	s_or_b32 exec_lo, exec_lo, s2
	v_and_b32_e32 v7, 24, v4
	v_add_nc_u32_e32 v8, -1, v4
	s_delay_alu instid0(VALU_DEP_3) | instskip(SKIP_1) | instid1(VALU_DEP_3)
	v_lshrrev_b32_e32 v6, 16, v6
	v_and_b32_e32 v0, 7, v0
	v_cmp_lt_i32_e64 s0, v8, v7
	s_delay_alu instid0(VALU_DEP_1) | instskip(SKIP_1) | instid1(VALU_DEP_1)
	v_cndmask_b32_e64 v4, v8, v4, s0
	s_mov_b32 s0, exec_lo
	v_lshlrev_b32_e32 v4, 2, v4
	ds_bpermute_b32 v4, v4, v6
	s_waitcnt lgkmcnt(0)
	v_cndmask_b32_e64 v4, v4, s1, vcc_lo
	v_add_co_u32 v2, vcc_lo, s6, v2
	v_add_co_ci_u32_e32 v3, vcc_lo, s7, v3, vcc_lo
	global_store_b16 v[2:3], v4, off
	v_cmpx_eq_u32_e32 0, v0
	s_cbranch_execz .LBB191_18
; %bb.17:
	v_lshrrev_b32_e32 v0, 2, v1
	s_delay_alu instid0(VALU_DEP_1)
	v_and_b32_e32 v0, 0x3ffffffe, v0
	global_store_b16 v0, v5, s[4:5]
.LBB191_18:
	s_nop 0
	s_sendmsg sendmsg(MSG_DEALLOC_VGPRS)
	s_endpgm
	.section	.rodata,"a",@progbits
	.p2align	6, 0x0
	.amdhsa_kernel _Z33warp_exclusive_scan_reduce_kernelI12hip_bfloat16Lj32ELj8EENSt9enable_ifIXsr10test_utilsE35device_test_enabled_for_warp_size_vIXT1_EEEvE4typeEPT_S5_S5_S4_
		.amdhsa_group_segment_fixed_size 0
		.amdhsa_private_segment_fixed_size 0
		.amdhsa_kernarg_size 288
		.amdhsa_user_sgpr_count 15
		.amdhsa_user_sgpr_dispatch_ptr 0
		.amdhsa_user_sgpr_queue_ptr 0
		.amdhsa_user_sgpr_kernarg_segment_ptr 1
		.amdhsa_user_sgpr_dispatch_id 0
		.amdhsa_user_sgpr_private_segment_size 0
		.amdhsa_wavefront_size32 1
		.amdhsa_uses_dynamic_stack 0
		.amdhsa_enable_private_segment 0
		.amdhsa_system_sgpr_workgroup_id_x 1
		.amdhsa_system_sgpr_workgroup_id_y 0
		.amdhsa_system_sgpr_workgroup_id_z 0
		.amdhsa_system_sgpr_workgroup_info 0
		.amdhsa_system_vgpr_workitem_id 0
		.amdhsa_next_free_vgpr 11
		.amdhsa_next_free_sgpr 16
		.amdhsa_reserve_vcc 1
		.amdhsa_float_round_mode_32 0
		.amdhsa_float_round_mode_16_64 0
		.amdhsa_float_denorm_mode_32 3
		.amdhsa_float_denorm_mode_16_64 3
		.amdhsa_dx10_clamp 1
		.amdhsa_ieee_mode 1
		.amdhsa_fp16_overflow 0
		.amdhsa_workgroup_processor_mode 1
		.amdhsa_memory_ordered 1
		.amdhsa_forward_progress 0
		.amdhsa_shared_vgpr_count 0
		.amdhsa_exception_fp_ieee_invalid_op 0
		.amdhsa_exception_fp_denorm_src 0
		.amdhsa_exception_fp_ieee_div_zero 0
		.amdhsa_exception_fp_ieee_overflow 0
		.amdhsa_exception_fp_ieee_underflow 0
		.amdhsa_exception_fp_ieee_inexact 0
		.amdhsa_exception_int_div_zero 0
	.end_amdhsa_kernel
	.section	.text._Z33warp_exclusive_scan_reduce_kernelI12hip_bfloat16Lj32ELj8EENSt9enable_ifIXsr10test_utilsE35device_test_enabled_for_warp_size_vIXT1_EEEvE4typeEPT_S5_S5_S4_,"axG",@progbits,_Z33warp_exclusive_scan_reduce_kernelI12hip_bfloat16Lj32ELj8EENSt9enable_ifIXsr10test_utilsE35device_test_enabled_for_warp_size_vIXT1_EEEvE4typeEPT_S5_S5_S4_,comdat
.Lfunc_end191:
	.size	_Z33warp_exclusive_scan_reduce_kernelI12hip_bfloat16Lj32ELj8EENSt9enable_ifIXsr10test_utilsE35device_test_enabled_for_warp_size_vIXT1_EEEvE4typeEPT_S5_S5_S4_, .Lfunc_end191-_Z33warp_exclusive_scan_reduce_kernelI12hip_bfloat16Lj32ELj8EENSt9enable_ifIXsr10test_utilsE35device_test_enabled_for_warp_size_vIXT1_EEEvE4typeEPT_S5_S5_S4_
                                        ; -- End function
	.section	.AMDGPU.csdata,"",@progbits
; Kernel info:
; codeLenInByte = 860
; NumSgprs: 18
; NumVgprs: 11
; ScratchSize: 0
; MemoryBound: 0
; FloatMode: 240
; IeeeMode: 1
; LDSByteSize: 0 bytes/workgroup (compile time only)
; SGPRBlocks: 2
; VGPRBlocks: 1
; NumSGPRsForWavesPerEU: 18
; NumVGPRsForWavesPerEU: 11
; Occupancy: 16
; WaveLimiterHint : 0
; COMPUTE_PGM_RSRC2:SCRATCH_EN: 0
; COMPUTE_PGM_RSRC2:USER_SGPR: 15
; COMPUTE_PGM_RSRC2:TRAP_HANDLER: 0
; COMPUTE_PGM_RSRC2:TGID_X_EN: 1
; COMPUTE_PGM_RSRC2:TGID_Y_EN: 0
; COMPUTE_PGM_RSRC2:TGID_Z_EN: 0
; COMPUTE_PGM_RSRC2:TIDIG_COMP_CNT: 0
	.section	.text._Z33warp_exclusive_scan_reduce_kernelI12hip_bfloat16Lj64ELj8EENSt9enable_ifIXsr10test_utilsE35device_test_enabled_for_warp_size_vIXT1_EEEvE4typeEPT_S5_S5_S4_,"axG",@progbits,_Z33warp_exclusive_scan_reduce_kernelI12hip_bfloat16Lj64ELj8EENSt9enable_ifIXsr10test_utilsE35device_test_enabled_for_warp_size_vIXT1_EEEvE4typeEPT_S5_S5_S4_,comdat
	.protected	_Z33warp_exclusive_scan_reduce_kernelI12hip_bfloat16Lj64ELj8EENSt9enable_ifIXsr10test_utilsE35device_test_enabled_for_warp_size_vIXT1_EEEvE4typeEPT_S5_S5_S4_ ; -- Begin function _Z33warp_exclusive_scan_reduce_kernelI12hip_bfloat16Lj64ELj8EENSt9enable_ifIXsr10test_utilsE35device_test_enabled_for_warp_size_vIXT1_EEEvE4typeEPT_S5_S5_S4_
	.globl	_Z33warp_exclusive_scan_reduce_kernelI12hip_bfloat16Lj64ELj8EENSt9enable_ifIXsr10test_utilsE35device_test_enabled_for_warp_size_vIXT1_EEEvE4typeEPT_S5_S5_S4_
	.p2align	8
	.type	_Z33warp_exclusive_scan_reduce_kernelI12hip_bfloat16Lj64ELj8EENSt9enable_ifIXsr10test_utilsE35device_test_enabled_for_warp_size_vIXT1_EEEvE4typeEPT_S5_S5_S4_,@function
_Z33warp_exclusive_scan_reduce_kernelI12hip_bfloat16Lj64ELj8EENSt9enable_ifIXsr10test_utilsE35device_test_enabled_for_warp_size_vIXT1_EEEvE4typeEPT_S5_S5_S4_: ; @_Z33warp_exclusive_scan_reduce_kernelI12hip_bfloat16Lj64ELj8EENSt9enable_ifIXsr10test_utilsE35device_test_enabled_for_warp_size_vIXT1_EEEvE4typeEPT_S5_S5_S4_
; %bb.0:
	s_clause 0x1
	s_load_b32 s2, s[0:1], 0x2c
	s_load_b128 s[4:7], s[0:1], 0x0
                                        ; implicit-def: $vgpr8
	s_waitcnt lgkmcnt(0)
	s_and_b32 s2, s2, 0xffff
	s_delay_alu instid0(SALU_CYCLE_1) | instskip(SKIP_2) | instid1(VALU_DEP_1)
	v_mad_u64_u32 v[1:2], null, s15, s2, v[0:1]
	v_mov_b32_e32 v2, 0
	s_mov_b32 s2, exec_lo
	v_lshlrev_b64 v[2:3], 1, v[1:2]
	s_delay_alu instid0(VALU_DEP_1) | instskip(NEXT) | instid1(VALU_DEP_2)
	v_add_co_u32 v4, vcc_lo, s4, v2
	v_add_co_ci_u32_e32 v5, vcc_lo, s5, v3, vcc_lo
	global_load_u16 v6, v[4:5], off
	s_waitcnt vmcnt(0)
	v_lshlrev_b32_e32 v7, 16, v6
	v_mov_b32_dpp v4, v6 row_shr:1 row_mask:0xf bank_mask:0xf
	s_delay_alu instid0(VALU_DEP_1) | instskip(NEXT) | instid1(VALU_DEP_1)
	v_lshlrev_b32_e32 v4, 16, v4
	v_add_f32_e32 v4, v7, v4
	s_delay_alu instid0(VALU_DEP_1) | instskip(NEXT) | instid1(VALU_DEP_1)
	v_and_b32_e32 v5, 0x7f800000, v4
	v_cmpx_ne_u32_e32 0x7f800000, v5
	s_xor_b32 s2, exec_lo, s2
; %bb.1:
	v_bfe_u32 v5, v4, 16, 1
	s_delay_alu instid0(VALU_DEP_1)
	v_add3_u32 v8, v4, v5, 0x7fff
                                        ; implicit-def: $vgpr4
; %bb.2:
	s_and_not1_saveexec_b32 s2, s2
; %bb.3:
	v_and_b32_e32 v5, 0xffff, v4
	v_or_b32_e32 v8, 0x10000, v4
	s_delay_alu instid0(VALU_DEP_2) | instskip(NEXT) | instid1(VALU_DEP_2)
	v_cmp_eq_u32_e32 vcc_lo, 0, v5
	v_cndmask_b32_e32 v8, v8, v4, vcc_lo
; %bb.4:
	s_or_b32 exec_lo, exec_lo, s2
	v_mbcnt_lo_u32_b32 v4, -1, 0
	s_delay_alu instid0(VALU_DEP_2) | instskip(SKIP_1) | instid1(VALU_DEP_3)
	v_and_b32_e32 v9, 0xffff0000, v8
	v_lshrrev_b32_e32 v8, 16, v8
	v_and_b32_e32 v5, 7, v4
	s_delay_alu instid0(VALU_DEP_1) | instskip(NEXT) | instid1(VALU_DEP_3)
	v_cmp_eq_u32_e32 vcc_lo, 0, v5
	v_cndmask_b32_e32 v6, v8, v6, vcc_lo
	s_delay_alu instid0(VALU_DEP_1) | instskip(NEXT) | instid1(VALU_DEP_1)
	v_mov_b32_dpp v8, v6 row_shr:2 row_mask:0xf bank_mask:0xf
	v_dual_cndmask_b32 v7, v9, v7 :: v_dual_lshlrev_b32 v8, 16, v8
	s_delay_alu instid0(VALU_DEP_1) | instskip(NEXT) | instid1(VALU_DEP_1)
	v_add_f32_e32 v8, v7, v8
	v_and_b32_e32 v9, 0x7f800000, v8
	s_delay_alu instid0(VALU_DEP_1) | instskip(NEXT) | instid1(VALU_DEP_1)
	v_cmp_ne_u32_e64 s2, 0x7f800000, v9
                                        ; implicit-def: $vgpr9
	s_and_saveexec_b32 s3, s2
	s_delay_alu instid0(SALU_CYCLE_1)
	s_xor_b32 s2, exec_lo, s3
; %bb.5:
	v_bfe_u32 v9, v8, 16, 1
	s_delay_alu instid0(VALU_DEP_1)
	v_add3_u32 v9, v8, v9, 0x7fff
                                        ; implicit-def: $vgpr8
; %bb.6:
	s_and_not1_saveexec_b32 s3, s2
; %bb.7:
	v_and_b32_e32 v9, 0xffff, v8
	v_or_b32_e32 v10, 0x10000, v8
	s_delay_alu instid0(VALU_DEP_2) | instskip(NEXT) | instid1(VALU_DEP_1)
	v_cmp_eq_u32_e64 s2, 0, v9
	v_cndmask_b32_e64 v9, v10, v8, s2
; %bb.8:
	s_or_b32 exec_lo, exec_lo, s3
	s_delay_alu instid0(VALU_DEP_1) | instskip(SKIP_2) | instid1(VALU_DEP_1)
	v_and_b32_e32 v8, 0xffff0000, v9
	v_lshrrev_b32_e32 v9, 16, v9
	v_cmp_lt_u32_e64 s2, 1, v5
	v_cndmask_b32_e64 v6, v6, v9, s2
	s_delay_alu instid0(VALU_DEP_4) | instskip(NEXT) | instid1(VALU_DEP_2)
	v_cndmask_b32_e64 v7, v7, v8, s2
	v_mov_b32_dpp v8, v6 row_shr:4 row_mask:0xf bank_mask:0xf
	s_delay_alu instid0(VALU_DEP_1) | instskip(NEXT) | instid1(VALU_DEP_1)
	v_lshlrev_b32_e32 v8, 16, v8
	v_add_f32_e32 v7, v7, v8
	s_delay_alu instid0(VALU_DEP_1) | instskip(NEXT) | instid1(VALU_DEP_1)
	v_and_b32_e32 v8, 0x7f800000, v7
	v_cmp_ne_u32_e64 s2, 0x7f800000, v8
                                        ; implicit-def: $vgpr8
	s_delay_alu instid0(VALU_DEP_1) | instskip(NEXT) | instid1(SALU_CYCLE_1)
	s_and_saveexec_b32 s3, s2
	s_xor_b32 s2, exec_lo, s3
; %bb.9:
	v_bfe_u32 v8, v7, 16, 1
	s_delay_alu instid0(VALU_DEP_1)
	v_add3_u32 v8, v7, v8, 0x7fff
                                        ; implicit-def: $vgpr7
; %bb.10:
	s_or_saveexec_b32 s3, s2
	s_load_b64 s[4:5], s[0:1], 0x10
	s_xor_b32 exec_lo, exec_lo, s3
; %bb.11:
	v_and_b32_e32 v8, 0xffff, v7
	v_or_b32_e32 v9, 0x10000, v7
	s_delay_alu instid0(VALU_DEP_2) | instskip(NEXT) | instid1(VALU_DEP_1)
	v_cmp_eq_u32_e64 s2, 0, v8
	v_cndmask_b32_e64 v8, v9, v7, s2
; %bb.12:
	s_or_b32 exec_lo, exec_lo, s3
	s_load_b32 s1, s[0:1], 0x18
	s_delay_alu instid0(VALU_DEP_1) | instskip(SKIP_1) | instid1(VALU_DEP_1)
	v_lshrrev_b32_e32 v7, 16, v8
	v_cmp_lt_u32_e64 s0, 3, v5
	v_cndmask_b32_e64 v6, v6, v7, s0
	v_lshl_or_b32 v7, v4, 2, 28
	s_delay_alu instid0(VALU_DEP_2) | instskip(SKIP_4) | instid1(SALU_CYCLE_1)
	v_and_b32_e32 v5, 0xffff, v6
	v_lshlrev_b32_e32 v6, 16, v6
	ds_bpermute_b32 v5, v7, v5
	s_waitcnt lgkmcnt(0)
	s_lshl_b32 s0, s1, 16
	v_add_f32_e32 v7, s0, v6
	s_delay_alu instid0(VALU_DEP_1) | instskip(NEXT) | instid1(VALU_DEP_1)
	v_and_b32_e32 v6, 0x7f800000, v7
	v_cmp_ne_u32_e64 s0, 0x7f800000, v6
                                        ; implicit-def: $vgpr6
	s_delay_alu instid0(VALU_DEP_1) | instskip(NEXT) | instid1(SALU_CYCLE_1)
	s_and_saveexec_b32 s2, s0
	s_xor_b32 s0, exec_lo, s2
; %bb.13:
	v_bfe_u32 v6, v7, 16, 1
	s_delay_alu instid0(VALU_DEP_1)
	v_add3_u32 v6, v7, v6, 0x7fff
                                        ; implicit-def: $vgpr7
; %bb.14:
	s_and_not1_saveexec_b32 s2, s0
; %bb.15:
	v_and_b32_e32 v6, 0xffff, v7
	v_or_b32_e32 v8, 0x10000, v7
	s_delay_alu instid0(VALU_DEP_2) | instskip(NEXT) | instid1(VALU_DEP_1)
	v_cmp_eq_u32_e64 s0, 0, v6
	v_cndmask_b32_e64 v6, v8, v7, s0
; %bb.16:
	s_or_b32 exec_lo, exec_lo, s2
	v_and_b32_e32 v7, 24, v4
	v_add_nc_u32_e32 v8, -1, v4
	s_delay_alu instid0(VALU_DEP_3) | instskip(SKIP_1) | instid1(VALU_DEP_3)
	v_lshrrev_b32_e32 v6, 16, v6
	v_and_b32_e32 v0, 7, v0
	v_cmp_lt_i32_e64 s0, v8, v7
	s_delay_alu instid0(VALU_DEP_1) | instskip(SKIP_1) | instid1(VALU_DEP_1)
	v_cndmask_b32_e64 v4, v8, v4, s0
	s_mov_b32 s0, exec_lo
	v_lshlrev_b32_e32 v4, 2, v4
	ds_bpermute_b32 v4, v4, v6
	s_waitcnt lgkmcnt(0)
	v_cndmask_b32_e64 v4, v4, s1, vcc_lo
	v_add_co_u32 v2, vcc_lo, s6, v2
	v_add_co_ci_u32_e32 v3, vcc_lo, s7, v3, vcc_lo
	global_store_b16 v[2:3], v4, off
	v_cmpx_eq_u32_e32 0, v0
	s_cbranch_execz .LBB192_18
; %bb.17:
	v_lshrrev_b32_e32 v0, 2, v1
	s_delay_alu instid0(VALU_DEP_1)
	v_and_b32_e32 v0, 0x3ffffffe, v0
	global_store_b16 v0, v5, s[4:5]
.LBB192_18:
	s_nop 0
	s_sendmsg sendmsg(MSG_DEALLOC_VGPRS)
	s_endpgm
	.section	.rodata,"a",@progbits
	.p2align	6, 0x0
	.amdhsa_kernel _Z33warp_exclusive_scan_reduce_kernelI12hip_bfloat16Lj64ELj8EENSt9enable_ifIXsr10test_utilsE35device_test_enabled_for_warp_size_vIXT1_EEEvE4typeEPT_S5_S5_S4_
		.amdhsa_group_segment_fixed_size 0
		.amdhsa_private_segment_fixed_size 0
		.amdhsa_kernarg_size 288
		.amdhsa_user_sgpr_count 15
		.amdhsa_user_sgpr_dispatch_ptr 0
		.amdhsa_user_sgpr_queue_ptr 0
		.amdhsa_user_sgpr_kernarg_segment_ptr 1
		.amdhsa_user_sgpr_dispatch_id 0
		.amdhsa_user_sgpr_private_segment_size 0
		.amdhsa_wavefront_size32 1
		.amdhsa_uses_dynamic_stack 0
		.amdhsa_enable_private_segment 0
		.amdhsa_system_sgpr_workgroup_id_x 1
		.amdhsa_system_sgpr_workgroup_id_y 0
		.amdhsa_system_sgpr_workgroup_id_z 0
		.amdhsa_system_sgpr_workgroup_info 0
		.amdhsa_system_vgpr_workitem_id 0
		.amdhsa_next_free_vgpr 11
		.amdhsa_next_free_sgpr 16
		.amdhsa_reserve_vcc 1
		.amdhsa_float_round_mode_32 0
		.amdhsa_float_round_mode_16_64 0
		.amdhsa_float_denorm_mode_32 3
		.amdhsa_float_denorm_mode_16_64 3
		.amdhsa_dx10_clamp 1
		.amdhsa_ieee_mode 1
		.amdhsa_fp16_overflow 0
		.amdhsa_workgroup_processor_mode 1
		.amdhsa_memory_ordered 1
		.amdhsa_forward_progress 0
		.amdhsa_shared_vgpr_count 0
		.amdhsa_exception_fp_ieee_invalid_op 0
		.amdhsa_exception_fp_denorm_src 0
		.amdhsa_exception_fp_ieee_div_zero 0
		.amdhsa_exception_fp_ieee_overflow 0
		.amdhsa_exception_fp_ieee_underflow 0
		.amdhsa_exception_fp_ieee_inexact 0
		.amdhsa_exception_int_div_zero 0
	.end_amdhsa_kernel
	.section	.text._Z33warp_exclusive_scan_reduce_kernelI12hip_bfloat16Lj64ELj8EENSt9enable_ifIXsr10test_utilsE35device_test_enabled_for_warp_size_vIXT1_EEEvE4typeEPT_S5_S5_S4_,"axG",@progbits,_Z33warp_exclusive_scan_reduce_kernelI12hip_bfloat16Lj64ELj8EENSt9enable_ifIXsr10test_utilsE35device_test_enabled_for_warp_size_vIXT1_EEEvE4typeEPT_S5_S5_S4_,comdat
.Lfunc_end192:
	.size	_Z33warp_exclusive_scan_reduce_kernelI12hip_bfloat16Lj64ELj8EENSt9enable_ifIXsr10test_utilsE35device_test_enabled_for_warp_size_vIXT1_EEEvE4typeEPT_S5_S5_S4_, .Lfunc_end192-_Z33warp_exclusive_scan_reduce_kernelI12hip_bfloat16Lj64ELj8EENSt9enable_ifIXsr10test_utilsE35device_test_enabled_for_warp_size_vIXT1_EEEvE4typeEPT_S5_S5_S4_
                                        ; -- End function
	.section	.AMDGPU.csdata,"",@progbits
; Kernel info:
; codeLenInByte = 860
; NumSgprs: 18
; NumVgprs: 11
; ScratchSize: 0
; MemoryBound: 0
; FloatMode: 240
; IeeeMode: 1
; LDSByteSize: 0 bytes/workgroup (compile time only)
; SGPRBlocks: 2
; VGPRBlocks: 1
; NumSGPRsForWavesPerEU: 18
; NumVGPRsForWavesPerEU: 11
; Occupancy: 16
; WaveLimiterHint : 0
; COMPUTE_PGM_RSRC2:SCRATCH_EN: 0
; COMPUTE_PGM_RSRC2:USER_SGPR: 15
; COMPUTE_PGM_RSRC2:TRAP_HANDLER: 0
; COMPUTE_PGM_RSRC2:TGID_X_EN: 1
; COMPUTE_PGM_RSRC2:TGID_Y_EN: 0
; COMPUTE_PGM_RSRC2:TGID_Z_EN: 0
; COMPUTE_PGM_RSRC2:TIDIG_COMP_CNT: 0
	.section	.text._Z33warp_exclusive_scan_reduce_kernelI12hip_bfloat16Lj32ELj4EENSt9enable_ifIXsr10test_utilsE35device_test_enabled_for_warp_size_vIXT1_EEEvE4typeEPT_S5_S5_S4_,"axG",@progbits,_Z33warp_exclusive_scan_reduce_kernelI12hip_bfloat16Lj32ELj4EENSt9enable_ifIXsr10test_utilsE35device_test_enabled_for_warp_size_vIXT1_EEEvE4typeEPT_S5_S5_S4_,comdat
	.protected	_Z33warp_exclusive_scan_reduce_kernelI12hip_bfloat16Lj32ELj4EENSt9enable_ifIXsr10test_utilsE35device_test_enabled_for_warp_size_vIXT1_EEEvE4typeEPT_S5_S5_S4_ ; -- Begin function _Z33warp_exclusive_scan_reduce_kernelI12hip_bfloat16Lj32ELj4EENSt9enable_ifIXsr10test_utilsE35device_test_enabled_for_warp_size_vIXT1_EEEvE4typeEPT_S5_S5_S4_
	.globl	_Z33warp_exclusive_scan_reduce_kernelI12hip_bfloat16Lj32ELj4EENSt9enable_ifIXsr10test_utilsE35device_test_enabled_for_warp_size_vIXT1_EEEvE4typeEPT_S5_S5_S4_
	.p2align	8
	.type	_Z33warp_exclusive_scan_reduce_kernelI12hip_bfloat16Lj32ELj4EENSt9enable_ifIXsr10test_utilsE35device_test_enabled_for_warp_size_vIXT1_EEEvE4typeEPT_S5_S5_S4_,@function
_Z33warp_exclusive_scan_reduce_kernelI12hip_bfloat16Lj32ELj4EENSt9enable_ifIXsr10test_utilsE35device_test_enabled_for_warp_size_vIXT1_EEEvE4typeEPT_S5_S5_S4_: ; @_Z33warp_exclusive_scan_reduce_kernelI12hip_bfloat16Lj32ELj4EENSt9enable_ifIXsr10test_utilsE35device_test_enabled_for_warp_size_vIXT1_EEEvE4typeEPT_S5_S5_S4_
; %bb.0:
	s_clause 0x1
	s_load_b32 s2, s[0:1], 0x2c
	s_load_b128 s[4:7], s[0:1], 0x0
                                        ; implicit-def: $vgpr8
	s_waitcnt lgkmcnt(0)
	s_and_b32 s2, s2, 0xffff
	s_delay_alu instid0(SALU_CYCLE_1) | instskip(SKIP_2) | instid1(VALU_DEP_1)
	v_mad_u64_u32 v[1:2], null, s15, s2, v[0:1]
	v_mov_b32_e32 v2, 0
	s_mov_b32 s2, exec_lo
	v_lshlrev_b64 v[2:3], 1, v[1:2]
	s_delay_alu instid0(VALU_DEP_1) | instskip(NEXT) | instid1(VALU_DEP_2)
	v_add_co_u32 v4, vcc_lo, s4, v2
	v_add_co_ci_u32_e32 v5, vcc_lo, s5, v3, vcc_lo
	global_load_u16 v6, v[4:5], off
	s_waitcnt vmcnt(0)
	v_lshlrev_b32_e32 v7, 16, v6
	v_mov_b32_dpp v4, v6 row_shr:1 row_mask:0xf bank_mask:0xf
	s_delay_alu instid0(VALU_DEP_1) | instskip(NEXT) | instid1(VALU_DEP_1)
	v_lshlrev_b32_e32 v4, 16, v4
	v_add_f32_e32 v4, v7, v4
	s_delay_alu instid0(VALU_DEP_1) | instskip(NEXT) | instid1(VALU_DEP_1)
	v_and_b32_e32 v5, 0x7f800000, v4
	v_cmpx_ne_u32_e32 0x7f800000, v5
	s_xor_b32 s2, exec_lo, s2
; %bb.1:
	v_bfe_u32 v5, v4, 16, 1
	s_delay_alu instid0(VALU_DEP_1)
	v_add3_u32 v8, v4, v5, 0x7fff
                                        ; implicit-def: $vgpr4
; %bb.2:
	s_and_not1_saveexec_b32 s2, s2
; %bb.3:
	v_and_b32_e32 v5, 0xffff, v4
	v_or_b32_e32 v8, 0x10000, v4
	s_delay_alu instid0(VALU_DEP_2) | instskip(NEXT) | instid1(VALU_DEP_2)
	v_cmp_eq_u32_e32 vcc_lo, 0, v5
	v_cndmask_b32_e32 v8, v8, v4, vcc_lo
; %bb.4:
	s_or_b32 exec_lo, exec_lo, s2
	v_mbcnt_lo_u32_b32 v4, -1, 0
	s_delay_alu instid0(VALU_DEP_2) | instskip(SKIP_1) | instid1(VALU_DEP_3)
	v_and_b32_e32 v9, 0xffff0000, v8
	v_lshrrev_b32_e32 v8, 16, v8
	v_and_b32_e32 v5, 3, v4
	s_delay_alu instid0(VALU_DEP_1) | instskip(NEXT) | instid1(VALU_DEP_3)
	v_cmp_eq_u32_e32 vcc_lo, 0, v5
	v_cndmask_b32_e32 v6, v8, v6, vcc_lo
	s_delay_alu instid0(VALU_DEP_1) | instskip(NEXT) | instid1(VALU_DEP_1)
	v_mov_b32_dpp v8, v6 row_shr:2 row_mask:0xf bank_mask:0xf
	v_dual_cndmask_b32 v7, v9, v7 :: v_dual_lshlrev_b32 v8, 16, v8
	s_delay_alu instid0(VALU_DEP_1) | instskip(NEXT) | instid1(VALU_DEP_1)
	v_add_f32_e32 v7, v7, v8
	v_and_b32_e32 v8, 0x7f800000, v7
	s_delay_alu instid0(VALU_DEP_1) | instskip(NEXT) | instid1(VALU_DEP_1)
	v_cmp_ne_u32_e64 s2, 0x7f800000, v8
                                        ; implicit-def: $vgpr8
	s_and_saveexec_b32 s3, s2
	s_delay_alu instid0(SALU_CYCLE_1)
	s_xor_b32 s2, exec_lo, s3
; %bb.5:
	v_bfe_u32 v8, v7, 16, 1
	s_delay_alu instid0(VALU_DEP_1)
	v_add3_u32 v8, v7, v8, 0x7fff
                                        ; implicit-def: $vgpr7
; %bb.6:
	s_or_saveexec_b32 s3, s2
	s_load_b64 s[4:5], s[0:1], 0x10
	s_xor_b32 exec_lo, exec_lo, s3
; %bb.7:
	v_and_b32_e32 v8, 0xffff, v7
	v_or_b32_e32 v9, 0x10000, v7
	s_delay_alu instid0(VALU_DEP_2) | instskip(NEXT) | instid1(VALU_DEP_1)
	v_cmp_eq_u32_e64 s2, 0, v8
	v_cndmask_b32_e64 v8, v9, v7, s2
; %bb.8:
	s_or_b32 exec_lo, exec_lo, s3
	s_load_b32 s1, s[0:1], 0x18
	s_delay_alu instid0(VALU_DEP_1) | instskip(SKIP_1) | instid1(VALU_DEP_1)
	v_lshrrev_b32_e32 v7, 16, v8
	v_cmp_lt_u32_e64 s0, 1, v5
	v_cndmask_b32_e64 v6, v6, v7, s0
	v_lshl_or_b32 v7, v4, 2, 12
	s_delay_alu instid0(VALU_DEP_2) | instskip(SKIP_4) | instid1(SALU_CYCLE_1)
	v_and_b32_e32 v5, 0xffff, v6
	v_lshlrev_b32_e32 v6, 16, v6
	ds_bpermute_b32 v5, v7, v5
	s_waitcnt lgkmcnt(0)
	s_lshl_b32 s0, s1, 16
	v_add_f32_e32 v7, s0, v6
	s_delay_alu instid0(VALU_DEP_1) | instskip(NEXT) | instid1(VALU_DEP_1)
	v_and_b32_e32 v6, 0x7f800000, v7
	v_cmp_ne_u32_e64 s0, 0x7f800000, v6
                                        ; implicit-def: $vgpr6
	s_delay_alu instid0(VALU_DEP_1) | instskip(NEXT) | instid1(SALU_CYCLE_1)
	s_and_saveexec_b32 s2, s0
	s_xor_b32 s0, exec_lo, s2
; %bb.9:
	v_bfe_u32 v6, v7, 16, 1
	s_delay_alu instid0(VALU_DEP_1)
	v_add3_u32 v6, v7, v6, 0x7fff
                                        ; implicit-def: $vgpr7
; %bb.10:
	s_and_not1_saveexec_b32 s2, s0
; %bb.11:
	v_and_b32_e32 v6, 0xffff, v7
	v_or_b32_e32 v8, 0x10000, v7
	s_delay_alu instid0(VALU_DEP_2) | instskip(NEXT) | instid1(VALU_DEP_1)
	v_cmp_eq_u32_e64 s0, 0, v6
	v_cndmask_b32_e64 v6, v8, v7, s0
; %bb.12:
	s_or_b32 exec_lo, exec_lo, s2
	v_and_b32_e32 v7, 28, v4
	v_add_nc_u32_e32 v8, -1, v4
	s_delay_alu instid0(VALU_DEP_3) | instskip(SKIP_1) | instid1(VALU_DEP_3)
	v_lshrrev_b32_e32 v6, 16, v6
	v_and_b32_e32 v0, 3, v0
	v_cmp_lt_i32_e64 s0, v8, v7
	s_delay_alu instid0(VALU_DEP_1) | instskip(SKIP_1) | instid1(VALU_DEP_1)
	v_cndmask_b32_e64 v4, v8, v4, s0
	s_mov_b32 s0, exec_lo
	v_lshlrev_b32_e32 v4, 2, v4
	ds_bpermute_b32 v4, v4, v6
	s_waitcnt lgkmcnt(0)
	v_cndmask_b32_e64 v4, v4, s1, vcc_lo
	v_add_co_u32 v2, vcc_lo, s6, v2
	v_add_co_ci_u32_e32 v3, vcc_lo, s7, v3, vcc_lo
	global_store_b16 v[2:3], v4, off
	v_cmpx_eq_u32_e32 0, v0
	s_cbranch_execz .LBB193_14
; %bb.13:
	v_lshrrev_b32_e32 v0, 1, v1
	s_delay_alu instid0(VALU_DEP_1)
	v_and_b32_e32 v0, 0x7ffffffe, v0
	global_store_b16 v0, v5, s[4:5]
.LBB193_14:
	s_nop 0
	s_sendmsg sendmsg(MSG_DEALLOC_VGPRS)
	s_endpgm
	.section	.rodata,"a",@progbits
	.p2align	6, 0x0
	.amdhsa_kernel _Z33warp_exclusive_scan_reduce_kernelI12hip_bfloat16Lj32ELj4EENSt9enable_ifIXsr10test_utilsE35device_test_enabled_for_warp_size_vIXT1_EEEvE4typeEPT_S5_S5_S4_
		.amdhsa_group_segment_fixed_size 0
		.amdhsa_private_segment_fixed_size 0
		.amdhsa_kernarg_size 288
		.amdhsa_user_sgpr_count 15
		.amdhsa_user_sgpr_dispatch_ptr 0
		.amdhsa_user_sgpr_queue_ptr 0
		.amdhsa_user_sgpr_kernarg_segment_ptr 1
		.amdhsa_user_sgpr_dispatch_id 0
		.amdhsa_user_sgpr_private_segment_size 0
		.amdhsa_wavefront_size32 1
		.amdhsa_uses_dynamic_stack 0
		.amdhsa_enable_private_segment 0
		.amdhsa_system_sgpr_workgroup_id_x 1
		.amdhsa_system_sgpr_workgroup_id_y 0
		.amdhsa_system_sgpr_workgroup_id_z 0
		.amdhsa_system_sgpr_workgroup_info 0
		.amdhsa_system_vgpr_workitem_id 0
		.amdhsa_next_free_vgpr 10
		.amdhsa_next_free_sgpr 16
		.amdhsa_reserve_vcc 1
		.amdhsa_float_round_mode_32 0
		.amdhsa_float_round_mode_16_64 0
		.amdhsa_float_denorm_mode_32 3
		.amdhsa_float_denorm_mode_16_64 3
		.amdhsa_dx10_clamp 1
		.amdhsa_ieee_mode 1
		.amdhsa_fp16_overflow 0
		.amdhsa_workgroup_processor_mode 1
		.amdhsa_memory_ordered 1
		.amdhsa_forward_progress 0
		.amdhsa_shared_vgpr_count 0
		.amdhsa_exception_fp_ieee_invalid_op 0
		.amdhsa_exception_fp_denorm_src 0
		.amdhsa_exception_fp_ieee_div_zero 0
		.amdhsa_exception_fp_ieee_overflow 0
		.amdhsa_exception_fp_ieee_underflow 0
		.amdhsa_exception_fp_ieee_inexact 0
		.amdhsa_exception_int_div_zero 0
	.end_amdhsa_kernel
	.section	.text._Z33warp_exclusive_scan_reduce_kernelI12hip_bfloat16Lj32ELj4EENSt9enable_ifIXsr10test_utilsE35device_test_enabled_for_warp_size_vIXT1_EEEvE4typeEPT_S5_S5_S4_,"axG",@progbits,_Z33warp_exclusive_scan_reduce_kernelI12hip_bfloat16Lj32ELj4EENSt9enable_ifIXsr10test_utilsE35device_test_enabled_for_warp_size_vIXT1_EEEvE4typeEPT_S5_S5_S4_,comdat
.Lfunc_end193:
	.size	_Z33warp_exclusive_scan_reduce_kernelI12hip_bfloat16Lj32ELj4EENSt9enable_ifIXsr10test_utilsE35device_test_enabled_for_warp_size_vIXT1_EEEvE4typeEPT_S5_S5_S4_, .Lfunc_end193-_Z33warp_exclusive_scan_reduce_kernelI12hip_bfloat16Lj32ELj4EENSt9enable_ifIXsr10test_utilsE35device_test_enabled_for_warp_size_vIXT1_EEEvE4typeEPT_S5_S5_S4_
                                        ; -- End function
	.section	.AMDGPU.csdata,"",@progbits
; Kernel info:
; codeLenInByte = 692
; NumSgprs: 18
; NumVgprs: 10
; ScratchSize: 0
; MemoryBound: 0
; FloatMode: 240
; IeeeMode: 1
; LDSByteSize: 0 bytes/workgroup (compile time only)
; SGPRBlocks: 2
; VGPRBlocks: 1
; NumSGPRsForWavesPerEU: 18
; NumVGPRsForWavesPerEU: 10
; Occupancy: 16
; WaveLimiterHint : 0
; COMPUTE_PGM_RSRC2:SCRATCH_EN: 0
; COMPUTE_PGM_RSRC2:USER_SGPR: 15
; COMPUTE_PGM_RSRC2:TRAP_HANDLER: 0
; COMPUTE_PGM_RSRC2:TGID_X_EN: 1
; COMPUTE_PGM_RSRC2:TGID_Y_EN: 0
; COMPUTE_PGM_RSRC2:TGID_Z_EN: 0
; COMPUTE_PGM_RSRC2:TIDIG_COMP_CNT: 0
	.section	.text._Z33warp_exclusive_scan_reduce_kernelI12hip_bfloat16Lj64ELj4EENSt9enable_ifIXsr10test_utilsE35device_test_enabled_for_warp_size_vIXT1_EEEvE4typeEPT_S5_S5_S4_,"axG",@progbits,_Z33warp_exclusive_scan_reduce_kernelI12hip_bfloat16Lj64ELj4EENSt9enable_ifIXsr10test_utilsE35device_test_enabled_for_warp_size_vIXT1_EEEvE4typeEPT_S5_S5_S4_,comdat
	.protected	_Z33warp_exclusive_scan_reduce_kernelI12hip_bfloat16Lj64ELj4EENSt9enable_ifIXsr10test_utilsE35device_test_enabled_for_warp_size_vIXT1_EEEvE4typeEPT_S5_S5_S4_ ; -- Begin function _Z33warp_exclusive_scan_reduce_kernelI12hip_bfloat16Lj64ELj4EENSt9enable_ifIXsr10test_utilsE35device_test_enabled_for_warp_size_vIXT1_EEEvE4typeEPT_S5_S5_S4_
	.globl	_Z33warp_exclusive_scan_reduce_kernelI12hip_bfloat16Lj64ELj4EENSt9enable_ifIXsr10test_utilsE35device_test_enabled_for_warp_size_vIXT1_EEEvE4typeEPT_S5_S5_S4_
	.p2align	8
	.type	_Z33warp_exclusive_scan_reduce_kernelI12hip_bfloat16Lj64ELj4EENSt9enable_ifIXsr10test_utilsE35device_test_enabled_for_warp_size_vIXT1_EEEvE4typeEPT_S5_S5_S4_,@function
_Z33warp_exclusive_scan_reduce_kernelI12hip_bfloat16Lj64ELj4EENSt9enable_ifIXsr10test_utilsE35device_test_enabled_for_warp_size_vIXT1_EEEvE4typeEPT_S5_S5_S4_: ; @_Z33warp_exclusive_scan_reduce_kernelI12hip_bfloat16Lj64ELj4EENSt9enable_ifIXsr10test_utilsE35device_test_enabled_for_warp_size_vIXT1_EEEvE4typeEPT_S5_S5_S4_
; %bb.0:
	s_clause 0x1
	s_load_b32 s2, s[0:1], 0x2c
	s_load_b128 s[4:7], s[0:1], 0x0
                                        ; implicit-def: $vgpr8
	s_waitcnt lgkmcnt(0)
	s_and_b32 s2, s2, 0xffff
	s_delay_alu instid0(SALU_CYCLE_1) | instskip(SKIP_2) | instid1(VALU_DEP_1)
	v_mad_u64_u32 v[1:2], null, s15, s2, v[0:1]
	v_mov_b32_e32 v2, 0
	s_mov_b32 s2, exec_lo
	v_lshlrev_b64 v[2:3], 1, v[1:2]
	s_delay_alu instid0(VALU_DEP_1) | instskip(NEXT) | instid1(VALU_DEP_2)
	v_add_co_u32 v4, vcc_lo, s4, v2
	v_add_co_ci_u32_e32 v5, vcc_lo, s5, v3, vcc_lo
	global_load_u16 v6, v[4:5], off
	s_waitcnt vmcnt(0)
	v_lshlrev_b32_e32 v7, 16, v6
	v_mov_b32_dpp v4, v6 row_shr:1 row_mask:0xf bank_mask:0xf
	s_delay_alu instid0(VALU_DEP_1) | instskip(NEXT) | instid1(VALU_DEP_1)
	v_lshlrev_b32_e32 v4, 16, v4
	v_add_f32_e32 v4, v7, v4
	s_delay_alu instid0(VALU_DEP_1) | instskip(NEXT) | instid1(VALU_DEP_1)
	v_and_b32_e32 v5, 0x7f800000, v4
	v_cmpx_ne_u32_e32 0x7f800000, v5
	s_xor_b32 s2, exec_lo, s2
; %bb.1:
	v_bfe_u32 v5, v4, 16, 1
	s_delay_alu instid0(VALU_DEP_1)
	v_add3_u32 v8, v4, v5, 0x7fff
                                        ; implicit-def: $vgpr4
; %bb.2:
	s_and_not1_saveexec_b32 s2, s2
; %bb.3:
	v_and_b32_e32 v5, 0xffff, v4
	v_or_b32_e32 v8, 0x10000, v4
	s_delay_alu instid0(VALU_DEP_2) | instskip(NEXT) | instid1(VALU_DEP_2)
	v_cmp_eq_u32_e32 vcc_lo, 0, v5
	v_cndmask_b32_e32 v8, v8, v4, vcc_lo
; %bb.4:
	s_or_b32 exec_lo, exec_lo, s2
	v_mbcnt_lo_u32_b32 v4, -1, 0
	s_delay_alu instid0(VALU_DEP_2) | instskip(SKIP_1) | instid1(VALU_DEP_3)
	v_and_b32_e32 v9, 0xffff0000, v8
	v_lshrrev_b32_e32 v8, 16, v8
	v_and_b32_e32 v5, 3, v4
	s_delay_alu instid0(VALU_DEP_1) | instskip(NEXT) | instid1(VALU_DEP_3)
	v_cmp_eq_u32_e32 vcc_lo, 0, v5
	v_cndmask_b32_e32 v6, v8, v6, vcc_lo
	s_delay_alu instid0(VALU_DEP_1) | instskip(NEXT) | instid1(VALU_DEP_1)
	v_mov_b32_dpp v8, v6 row_shr:2 row_mask:0xf bank_mask:0xf
	v_dual_cndmask_b32 v7, v9, v7 :: v_dual_lshlrev_b32 v8, 16, v8
	s_delay_alu instid0(VALU_DEP_1) | instskip(NEXT) | instid1(VALU_DEP_1)
	v_add_f32_e32 v7, v7, v8
	v_and_b32_e32 v8, 0x7f800000, v7
	s_delay_alu instid0(VALU_DEP_1) | instskip(NEXT) | instid1(VALU_DEP_1)
	v_cmp_ne_u32_e64 s2, 0x7f800000, v8
                                        ; implicit-def: $vgpr8
	s_and_saveexec_b32 s3, s2
	s_delay_alu instid0(SALU_CYCLE_1)
	s_xor_b32 s2, exec_lo, s3
; %bb.5:
	v_bfe_u32 v8, v7, 16, 1
	s_delay_alu instid0(VALU_DEP_1)
	v_add3_u32 v8, v7, v8, 0x7fff
                                        ; implicit-def: $vgpr7
; %bb.6:
	s_or_saveexec_b32 s3, s2
	s_load_b64 s[4:5], s[0:1], 0x10
	s_xor_b32 exec_lo, exec_lo, s3
; %bb.7:
	v_and_b32_e32 v8, 0xffff, v7
	v_or_b32_e32 v9, 0x10000, v7
	s_delay_alu instid0(VALU_DEP_2) | instskip(NEXT) | instid1(VALU_DEP_1)
	v_cmp_eq_u32_e64 s2, 0, v8
	v_cndmask_b32_e64 v8, v9, v7, s2
; %bb.8:
	s_or_b32 exec_lo, exec_lo, s3
	s_load_b32 s1, s[0:1], 0x18
	s_delay_alu instid0(VALU_DEP_1) | instskip(SKIP_1) | instid1(VALU_DEP_1)
	v_lshrrev_b32_e32 v7, 16, v8
	v_cmp_lt_u32_e64 s0, 1, v5
	v_cndmask_b32_e64 v6, v6, v7, s0
	v_lshl_or_b32 v7, v4, 2, 12
	s_delay_alu instid0(VALU_DEP_2) | instskip(SKIP_4) | instid1(SALU_CYCLE_1)
	v_and_b32_e32 v5, 0xffff, v6
	v_lshlrev_b32_e32 v6, 16, v6
	ds_bpermute_b32 v5, v7, v5
	s_waitcnt lgkmcnt(0)
	s_lshl_b32 s0, s1, 16
	v_add_f32_e32 v7, s0, v6
	s_delay_alu instid0(VALU_DEP_1) | instskip(NEXT) | instid1(VALU_DEP_1)
	v_and_b32_e32 v6, 0x7f800000, v7
	v_cmp_ne_u32_e64 s0, 0x7f800000, v6
                                        ; implicit-def: $vgpr6
	s_delay_alu instid0(VALU_DEP_1) | instskip(NEXT) | instid1(SALU_CYCLE_1)
	s_and_saveexec_b32 s2, s0
	s_xor_b32 s0, exec_lo, s2
; %bb.9:
	v_bfe_u32 v6, v7, 16, 1
	s_delay_alu instid0(VALU_DEP_1)
	v_add3_u32 v6, v7, v6, 0x7fff
                                        ; implicit-def: $vgpr7
; %bb.10:
	s_and_not1_saveexec_b32 s2, s0
; %bb.11:
	v_and_b32_e32 v6, 0xffff, v7
	v_or_b32_e32 v8, 0x10000, v7
	s_delay_alu instid0(VALU_DEP_2) | instskip(NEXT) | instid1(VALU_DEP_1)
	v_cmp_eq_u32_e64 s0, 0, v6
	v_cndmask_b32_e64 v6, v8, v7, s0
; %bb.12:
	s_or_b32 exec_lo, exec_lo, s2
	v_and_b32_e32 v7, 28, v4
	v_add_nc_u32_e32 v8, -1, v4
	s_delay_alu instid0(VALU_DEP_3) | instskip(SKIP_1) | instid1(VALU_DEP_3)
	v_lshrrev_b32_e32 v6, 16, v6
	v_and_b32_e32 v0, 3, v0
	v_cmp_lt_i32_e64 s0, v8, v7
	s_delay_alu instid0(VALU_DEP_1) | instskip(SKIP_1) | instid1(VALU_DEP_1)
	v_cndmask_b32_e64 v4, v8, v4, s0
	s_mov_b32 s0, exec_lo
	v_lshlrev_b32_e32 v4, 2, v4
	ds_bpermute_b32 v4, v4, v6
	s_waitcnt lgkmcnt(0)
	v_cndmask_b32_e64 v4, v4, s1, vcc_lo
	v_add_co_u32 v2, vcc_lo, s6, v2
	v_add_co_ci_u32_e32 v3, vcc_lo, s7, v3, vcc_lo
	global_store_b16 v[2:3], v4, off
	v_cmpx_eq_u32_e32 0, v0
	s_cbranch_execz .LBB194_14
; %bb.13:
	v_lshrrev_b32_e32 v0, 1, v1
	s_delay_alu instid0(VALU_DEP_1)
	v_and_b32_e32 v0, 0x7ffffffe, v0
	global_store_b16 v0, v5, s[4:5]
.LBB194_14:
	s_nop 0
	s_sendmsg sendmsg(MSG_DEALLOC_VGPRS)
	s_endpgm
	.section	.rodata,"a",@progbits
	.p2align	6, 0x0
	.amdhsa_kernel _Z33warp_exclusive_scan_reduce_kernelI12hip_bfloat16Lj64ELj4EENSt9enable_ifIXsr10test_utilsE35device_test_enabled_for_warp_size_vIXT1_EEEvE4typeEPT_S5_S5_S4_
		.amdhsa_group_segment_fixed_size 0
		.amdhsa_private_segment_fixed_size 0
		.amdhsa_kernarg_size 288
		.amdhsa_user_sgpr_count 15
		.amdhsa_user_sgpr_dispatch_ptr 0
		.amdhsa_user_sgpr_queue_ptr 0
		.amdhsa_user_sgpr_kernarg_segment_ptr 1
		.amdhsa_user_sgpr_dispatch_id 0
		.amdhsa_user_sgpr_private_segment_size 0
		.amdhsa_wavefront_size32 1
		.amdhsa_uses_dynamic_stack 0
		.amdhsa_enable_private_segment 0
		.amdhsa_system_sgpr_workgroup_id_x 1
		.amdhsa_system_sgpr_workgroup_id_y 0
		.amdhsa_system_sgpr_workgroup_id_z 0
		.amdhsa_system_sgpr_workgroup_info 0
		.amdhsa_system_vgpr_workitem_id 0
		.amdhsa_next_free_vgpr 10
		.amdhsa_next_free_sgpr 16
		.amdhsa_reserve_vcc 1
		.amdhsa_float_round_mode_32 0
		.amdhsa_float_round_mode_16_64 0
		.amdhsa_float_denorm_mode_32 3
		.amdhsa_float_denorm_mode_16_64 3
		.amdhsa_dx10_clamp 1
		.amdhsa_ieee_mode 1
		.amdhsa_fp16_overflow 0
		.amdhsa_workgroup_processor_mode 1
		.amdhsa_memory_ordered 1
		.amdhsa_forward_progress 0
		.amdhsa_shared_vgpr_count 0
		.amdhsa_exception_fp_ieee_invalid_op 0
		.amdhsa_exception_fp_denorm_src 0
		.amdhsa_exception_fp_ieee_div_zero 0
		.amdhsa_exception_fp_ieee_overflow 0
		.amdhsa_exception_fp_ieee_underflow 0
		.amdhsa_exception_fp_ieee_inexact 0
		.amdhsa_exception_int_div_zero 0
	.end_amdhsa_kernel
	.section	.text._Z33warp_exclusive_scan_reduce_kernelI12hip_bfloat16Lj64ELj4EENSt9enable_ifIXsr10test_utilsE35device_test_enabled_for_warp_size_vIXT1_EEEvE4typeEPT_S5_S5_S4_,"axG",@progbits,_Z33warp_exclusive_scan_reduce_kernelI12hip_bfloat16Lj64ELj4EENSt9enable_ifIXsr10test_utilsE35device_test_enabled_for_warp_size_vIXT1_EEEvE4typeEPT_S5_S5_S4_,comdat
.Lfunc_end194:
	.size	_Z33warp_exclusive_scan_reduce_kernelI12hip_bfloat16Lj64ELj4EENSt9enable_ifIXsr10test_utilsE35device_test_enabled_for_warp_size_vIXT1_EEEvE4typeEPT_S5_S5_S4_, .Lfunc_end194-_Z33warp_exclusive_scan_reduce_kernelI12hip_bfloat16Lj64ELj4EENSt9enable_ifIXsr10test_utilsE35device_test_enabled_for_warp_size_vIXT1_EEEvE4typeEPT_S5_S5_S4_
                                        ; -- End function
	.section	.AMDGPU.csdata,"",@progbits
; Kernel info:
; codeLenInByte = 692
; NumSgprs: 18
; NumVgprs: 10
; ScratchSize: 0
; MemoryBound: 0
; FloatMode: 240
; IeeeMode: 1
; LDSByteSize: 0 bytes/workgroup (compile time only)
; SGPRBlocks: 2
; VGPRBlocks: 1
; NumSGPRsForWavesPerEU: 18
; NumVGPRsForWavesPerEU: 10
; Occupancy: 16
; WaveLimiterHint : 0
; COMPUTE_PGM_RSRC2:SCRATCH_EN: 0
; COMPUTE_PGM_RSRC2:USER_SGPR: 15
; COMPUTE_PGM_RSRC2:TRAP_HANDLER: 0
; COMPUTE_PGM_RSRC2:TGID_X_EN: 1
; COMPUTE_PGM_RSRC2:TGID_Y_EN: 0
; COMPUTE_PGM_RSRC2:TGID_Z_EN: 0
; COMPUTE_PGM_RSRC2:TIDIG_COMP_CNT: 0
	.section	.text._Z33warp_exclusive_scan_reduce_kernelI12hip_bfloat16Lj32ELj2EENSt9enable_ifIXsr10test_utilsE35device_test_enabled_for_warp_size_vIXT1_EEEvE4typeEPT_S5_S5_S4_,"axG",@progbits,_Z33warp_exclusive_scan_reduce_kernelI12hip_bfloat16Lj32ELj2EENSt9enable_ifIXsr10test_utilsE35device_test_enabled_for_warp_size_vIXT1_EEEvE4typeEPT_S5_S5_S4_,comdat
	.protected	_Z33warp_exclusive_scan_reduce_kernelI12hip_bfloat16Lj32ELj2EENSt9enable_ifIXsr10test_utilsE35device_test_enabled_for_warp_size_vIXT1_EEEvE4typeEPT_S5_S5_S4_ ; -- Begin function _Z33warp_exclusive_scan_reduce_kernelI12hip_bfloat16Lj32ELj2EENSt9enable_ifIXsr10test_utilsE35device_test_enabled_for_warp_size_vIXT1_EEEvE4typeEPT_S5_S5_S4_
	.globl	_Z33warp_exclusive_scan_reduce_kernelI12hip_bfloat16Lj32ELj2EENSt9enable_ifIXsr10test_utilsE35device_test_enabled_for_warp_size_vIXT1_EEEvE4typeEPT_S5_S5_S4_
	.p2align	8
	.type	_Z33warp_exclusive_scan_reduce_kernelI12hip_bfloat16Lj32ELj2EENSt9enable_ifIXsr10test_utilsE35device_test_enabled_for_warp_size_vIXT1_EEEvE4typeEPT_S5_S5_S4_,@function
_Z33warp_exclusive_scan_reduce_kernelI12hip_bfloat16Lj32ELj2EENSt9enable_ifIXsr10test_utilsE35device_test_enabled_for_warp_size_vIXT1_EEEvE4typeEPT_S5_S5_S4_: ; @_Z33warp_exclusive_scan_reduce_kernelI12hip_bfloat16Lj32ELj2EENSt9enable_ifIXsr10test_utilsE35device_test_enabled_for_warp_size_vIXT1_EEEvE4typeEPT_S5_S5_S4_
; %bb.0:
	s_clause 0x1
	s_load_b32 s2, s[0:1], 0x2c
	s_load_b128 s[4:7], s[0:1], 0x0
	s_waitcnt lgkmcnt(0)
	s_and_b32 s2, s2, 0xffff
	s_delay_alu instid0(SALU_CYCLE_1) | instskip(SKIP_1) | instid1(VALU_DEP_1)
	v_mad_u64_u32 v[1:2], null, s15, s2, v[0:1]
	v_mov_b32_e32 v2, 0
	v_lshlrev_b64 v[2:3], 1, v[1:2]
	s_delay_alu instid0(VALU_DEP_1) | instskip(NEXT) | instid1(VALU_DEP_2)
	v_add_co_u32 v4, vcc_lo, s4, v2
	v_add_co_ci_u32_e32 v5, vcc_lo, s5, v3, vcc_lo
	global_load_u16 v4, v[4:5], off
	s_waitcnt vmcnt(0)
	v_mov_b32_dpp v5, v4 row_shr:1 row_mask:0xf bank_mask:0xf
	v_lshlrev_b32_e32 v6, 16, v4
	s_delay_alu instid0(VALU_DEP_2) | instskip(NEXT) | instid1(VALU_DEP_1)
	v_lshlrev_b32_e32 v5, 16, v5
	v_add_f32_e32 v5, v6, v5
	s_delay_alu instid0(VALU_DEP_1) | instskip(NEXT) | instid1(VALU_DEP_1)
	v_and_b32_e32 v6, 0x7f800000, v5
	v_cmp_ne_u32_e32 vcc_lo, 0x7f800000, v6
                                        ; implicit-def: $vgpr6
	s_and_saveexec_b32 s2, vcc_lo
	s_delay_alu instid0(SALU_CYCLE_1)
	s_xor_b32 s2, exec_lo, s2
; %bb.1:
	v_bfe_u32 v6, v5, 16, 1
	s_delay_alu instid0(VALU_DEP_1)
	v_add3_u32 v6, v5, v6, 0x7fff
                                        ; implicit-def: $vgpr5
; %bb.2:
	s_or_saveexec_b32 s4, s2
	s_load_b64 s[2:3], s[0:1], 0x10
	s_xor_b32 exec_lo, exec_lo, s4
; %bb.3:
	v_and_b32_e32 v6, 0xffff, v5
	v_or_b32_e32 v7, 0x10000, v5
	s_delay_alu instid0(VALU_DEP_2) | instskip(NEXT) | instid1(VALU_DEP_2)
	v_cmp_eq_u32_e32 vcc_lo, 0, v6
	v_cndmask_b32_e32 v6, v7, v5, vcc_lo
; %bb.4:
	s_or_b32 exec_lo, exec_lo, s4
	v_mbcnt_lo_u32_b32 v5, -1, 0
	s_load_b32 s1, s[0:1], 0x18
	s_delay_alu instid0(VALU_DEP_2) | instskip(NEXT) | instid1(VALU_DEP_2)
	v_lshrrev_b32_e32 v6, 16, v6
	v_and_b32_e32 v7, 1, v5
	s_delay_alu instid0(VALU_DEP_1) | instskip(NEXT) | instid1(VALU_DEP_3)
	v_cmp_eq_u32_e32 vcc_lo, 0, v7
	v_cndmask_b32_e32 v6, v6, v4, vcc_lo
	v_lshl_or_b32 v4, v5, 2, 4
	ds_bpermute_b32 v4, v4, v6
	v_lshlrev_b32_e32 v6, 16, v6
	s_waitcnt lgkmcnt(0)
	s_lshl_b32 s0, s1, 16
	s_delay_alu instid0(VALU_DEP_1) | instid1(SALU_CYCLE_1)
	v_add_f32_e32 v7, s0, v6
	s_delay_alu instid0(VALU_DEP_1) | instskip(NEXT) | instid1(VALU_DEP_1)
	v_and_b32_e32 v6, 0x7f800000, v7
	v_cmp_ne_u32_e64 s0, 0x7f800000, v6
                                        ; implicit-def: $vgpr6
	s_delay_alu instid0(VALU_DEP_1) | instskip(NEXT) | instid1(SALU_CYCLE_1)
	s_and_saveexec_b32 s4, s0
	s_xor_b32 s0, exec_lo, s4
; %bb.5:
	v_bfe_u32 v6, v7, 16, 1
	s_delay_alu instid0(VALU_DEP_1)
	v_add3_u32 v6, v7, v6, 0x7fff
                                        ; implicit-def: $vgpr7
; %bb.6:
	s_and_not1_saveexec_b32 s4, s0
; %bb.7:
	v_and_b32_e32 v6, 0xffff, v7
	v_or_b32_e32 v8, 0x10000, v7
	s_delay_alu instid0(VALU_DEP_2) | instskip(NEXT) | instid1(VALU_DEP_1)
	v_cmp_eq_u32_e64 s0, 0, v6
	v_cndmask_b32_e64 v6, v8, v7, s0
; %bb.8:
	s_or_b32 exec_lo, exec_lo, s4
	v_and_b32_e32 v7, 30, v5
	v_add_nc_u32_e32 v8, -1, v5
	s_delay_alu instid0(VALU_DEP_3) | instskip(SKIP_1) | instid1(VALU_DEP_3)
	v_lshrrev_b32_e32 v6, 16, v6
	v_and_b32_e32 v0, 1, v0
	v_cmp_lt_i32_e64 s0, v8, v7
	s_delay_alu instid0(VALU_DEP_1) | instskip(SKIP_1) | instid1(VALU_DEP_1)
	v_cndmask_b32_e64 v5, v8, v5, s0
	s_mov_b32 s0, exec_lo
	v_lshlrev_b32_e32 v5, 2, v5
	ds_bpermute_b32 v5, v5, v6
	s_waitcnt lgkmcnt(0)
	v_cndmask_b32_e64 v5, v5, s1, vcc_lo
	v_add_co_u32 v2, vcc_lo, s6, v2
	v_add_co_ci_u32_e32 v3, vcc_lo, s7, v3, vcc_lo
	global_store_b16 v[2:3], v5, off
	v_cmpx_eq_u32_e32 0, v0
	s_cbranch_execz .LBB195_10
; %bb.9:
	v_and_b32_e32 v0, -2, v1
	global_store_b16 v0, v4, s[2:3]
.LBB195_10:
	s_nop 0
	s_sendmsg sendmsg(MSG_DEALLOC_VGPRS)
	s_endpgm
	.section	.rodata,"a",@progbits
	.p2align	6, 0x0
	.amdhsa_kernel _Z33warp_exclusive_scan_reduce_kernelI12hip_bfloat16Lj32ELj2EENSt9enable_ifIXsr10test_utilsE35device_test_enabled_for_warp_size_vIXT1_EEEvE4typeEPT_S5_S5_S4_
		.amdhsa_group_segment_fixed_size 0
		.amdhsa_private_segment_fixed_size 0
		.amdhsa_kernarg_size 288
		.amdhsa_user_sgpr_count 15
		.amdhsa_user_sgpr_dispatch_ptr 0
		.amdhsa_user_sgpr_queue_ptr 0
		.amdhsa_user_sgpr_kernarg_segment_ptr 1
		.amdhsa_user_sgpr_dispatch_id 0
		.amdhsa_user_sgpr_private_segment_size 0
		.amdhsa_wavefront_size32 1
		.amdhsa_uses_dynamic_stack 0
		.amdhsa_enable_private_segment 0
		.amdhsa_system_sgpr_workgroup_id_x 1
		.amdhsa_system_sgpr_workgroup_id_y 0
		.amdhsa_system_sgpr_workgroup_id_z 0
		.amdhsa_system_sgpr_workgroup_info 0
		.amdhsa_system_vgpr_workitem_id 0
		.amdhsa_next_free_vgpr 9
		.amdhsa_next_free_sgpr 16
		.amdhsa_reserve_vcc 1
		.amdhsa_float_round_mode_32 0
		.amdhsa_float_round_mode_16_64 0
		.amdhsa_float_denorm_mode_32 3
		.amdhsa_float_denorm_mode_16_64 3
		.amdhsa_dx10_clamp 1
		.amdhsa_ieee_mode 1
		.amdhsa_fp16_overflow 0
		.amdhsa_workgroup_processor_mode 1
		.amdhsa_memory_ordered 1
		.amdhsa_forward_progress 0
		.amdhsa_shared_vgpr_count 0
		.amdhsa_exception_fp_ieee_invalid_op 0
		.amdhsa_exception_fp_denorm_src 0
		.amdhsa_exception_fp_ieee_div_zero 0
		.amdhsa_exception_fp_ieee_overflow 0
		.amdhsa_exception_fp_ieee_underflow 0
		.amdhsa_exception_fp_ieee_inexact 0
		.amdhsa_exception_int_div_zero 0
	.end_amdhsa_kernel
	.section	.text._Z33warp_exclusive_scan_reduce_kernelI12hip_bfloat16Lj32ELj2EENSt9enable_ifIXsr10test_utilsE35device_test_enabled_for_warp_size_vIXT1_EEEvE4typeEPT_S5_S5_S4_,"axG",@progbits,_Z33warp_exclusive_scan_reduce_kernelI12hip_bfloat16Lj32ELj2EENSt9enable_ifIXsr10test_utilsE35device_test_enabled_for_warp_size_vIXT1_EEEvE4typeEPT_S5_S5_S4_,comdat
.Lfunc_end195:
	.size	_Z33warp_exclusive_scan_reduce_kernelI12hip_bfloat16Lj32ELj2EENSt9enable_ifIXsr10test_utilsE35device_test_enabled_for_warp_size_vIXT1_EEEvE4typeEPT_S5_S5_S4_, .Lfunc_end195-_Z33warp_exclusive_scan_reduce_kernelI12hip_bfloat16Lj32ELj2EENSt9enable_ifIXsr10test_utilsE35device_test_enabled_for_warp_size_vIXT1_EEEvE4typeEPT_S5_S5_S4_
                                        ; -- End function
	.section	.AMDGPU.csdata,"",@progbits
; Kernel info:
; codeLenInByte = 512
; NumSgprs: 18
; NumVgprs: 9
; ScratchSize: 0
; MemoryBound: 0
; FloatMode: 240
; IeeeMode: 1
; LDSByteSize: 0 bytes/workgroup (compile time only)
; SGPRBlocks: 2
; VGPRBlocks: 1
; NumSGPRsForWavesPerEU: 18
; NumVGPRsForWavesPerEU: 9
; Occupancy: 16
; WaveLimiterHint : 0
; COMPUTE_PGM_RSRC2:SCRATCH_EN: 0
; COMPUTE_PGM_RSRC2:USER_SGPR: 15
; COMPUTE_PGM_RSRC2:TRAP_HANDLER: 0
; COMPUTE_PGM_RSRC2:TGID_X_EN: 1
; COMPUTE_PGM_RSRC2:TGID_Y_EN: 0
; COMPUTE_PGM_RSRC2:TGID_Z_EN: 0
; COMPUTE_PGM_RSRC2:TIDIG_COMP_CNT: 0
	.section	.text._Z33warp_exclusive_scan_reduce_kernelI12hip_bfloat16Lj64ELj2EENSt9enable_ifIXsr10test_utilsE35device_test_enabled_for_warp_size_vIXT1_EEEvE4typeEPT_S5_S5_S4_,"axG",@progbits,_Z33warp_exclusive_scan_reduce_kernelI12hip_bfloat16Lj64ELj2EENSt9enable_ifIXsr10test_utilsE35device_test_enabled_for_warp_size_vIXT1_EEEvE4typeEPT_S5_S5_S4_,comdat
	.protected	_Z33warp_exclusive_scan_reduce_kernelI12hip_bfloat16Lj64ELj2EENSt9enable_ifIXsr10test_utilsE35device_test_enabled_for_warp_size_vIXT1_EEEvE4typeEPT_S5_S5_S4_ ; -- Begin function _Z33warp_exclusive_scan_reduce_kernelI12hip_bfloat16Lj64ELj2EENSt9enable_ifIXsr10test_utilsE35device_test_enabled_for_warp_size_vIXT1_EEEvE4typeEPT_S5_S5_S4_
	.globl	_Z33warp_exclusive_scan_reduce_kernelI12hip_bfloat16Lj64ELj2EENSt9enable_ifIXsr10test_utilsE35device_test_enabled_for_warp_size_vIXT1_EEEvE4typeEPT_S5_S5_S4_
	.p2align	8
	.type	_Z33warp_exclusive_scan_reduce_kernelI12hip_bfloat16Lj64ELj2EENSt9enable_ifIXsr10test_utilsE35device_test_enabled_for_warp_size_vIXT1_EEEvE4typeEPT_S5_S5_S4_,@function
_Z33warp_exclusive_scan_reduce_kernelI12hip_bfloat16Lj64ELj2EENSt9enable_ifIXsr10test_utilsE35device_test_enabled_for_warp_size_vIXT1_EEEvE4typeEPT_S5_S5_S4_: ; @_Z33warp_exclusive_scan_reduce_kernelI12hip_bfloat16Lj64ELj2EENSt9enable_ifIXsr10test_utilsE35device_test_enabled_for_warp_size_vIXT1_EEEvE4typeEPT_S5_S5_S4_
; %bb.0:
	s_clause 0x1
	s_load_b32 s2, s[0:1], 0x2c
	s_load_b128 s[4:7], s[0:1], 0x0
	s_waitcnt lgkmcnt(0)
	s_and_b32 s2, s2, 0xffff
	s_delay_alu instid0(SALU_CYCLE_1) | instskip(SKIP_1) | instid1(VALU_DEP_1)
	v_mad_u64_u32 v[1:2], null, s15, s2, v[0:1]
	v_mov_b32_e32 v2, 0
	v_lshlrev_b64 v[2:3], 1, v[1:2]
	s_delay_alu instid0(VALU_DEP_1) | instskip(NEXT) | instid1(VALU_DEP_2)
	v_add_co_u32 v4, vcc_lo, s4, v2
	v_add_co_ci_u32_e32 v5, vcc_lo, s5, v3, vcc_lo
	global_load_u16 v4, v[4:5], off
	s_waitcnt vmcnt(0)
	v_mov_b32_dpp v5, v4 row_shr:1 row_mask:0xf bank_mask:0xf
	v_lshlrev_b32_e32 v6, 16, v4
	s_delay_alu instid0(VALU_DEP_2) | instskip(NEXT) | instid1(VALU_DEP_1)
	v_lshlrev_b32_e32 v5, 16, v5
	v_add_f32_e32 v5, v6, v5
	s_delay_alu instid0(VALU_DEP_1) | instskip(NEXT) | instid1(VALU_DEP_1)
	v_and_b32_e32 v6, 0x7f800000, v5
	v_cmp_ne_u32_e32 vcc_lo, 0x7f800000, v6
                                        ; implicit-def: $vgpr6
	s_and_saveexec_b32 s2, vcc_lo
	s_delay_alu instid0(SALU_CYCLE_1)
	s_xor_b32 s2, exec_lo, s2
; %bb.1:
	v_bfe_u32 v6, v5, 16, 1
	s_delay_alu instid0(VALU_DEP_1)
	v_add3_u32 v6, v5, v6, 0x7fff
                                        ; implicit-def: $vgpr5
; %bb.2:
	s_or_saveexec_b32 s4, s2
	s_load_b64 s[2:3], s[0:1], 0x10
	s_xor_b32 exec_lo, exec_lo, s4
; %bb.3:
	v_and_b32_e32 v6, 0xffff, v5
	v_or_b32_e32 v7, 0x10000, v5
	s_delay_alu instid0(VALU_DEP_2) | instskip(NEXT) | instid1(VALU_DEP_2)
	v_cmp_eq_u32_e32 vcc_lo, 0, v6
	v_cndmask_b32_e32 v6, v7, v5, vcc_lo
; %bb.4:
	s_or_b32 exec_lo, exec_lo, s4
	v_mbcnt_lo_u32_b32 v5, -1, 0
	s_load_b32 s1, s[0:1], 0x18
	s_delay_alu instid0(VALU_DEP_2) | instskip(NEXT) | instid1(VALU_DEP_2)
	v_lshrrev_b32_e32 v6, 16, v6
	v_and_b32_e32 v7, 1, v5
	s_delay_alu instid0(VALU_DEP_1) | instskip(NEXT) | instid1(VALU_DEP_3)
	v_cmp_eq_u32_e32 vcc_lo, 0, v7
	v_cndmask_b32_e32 v6, v6, v4, vcc_lo
	v_lshl_or_b32 v4, v5, 2, 4
	ds_bpermute_b32 v4, v4, v6
	v_lshlrev_b32_e32 v6, 16, v6
	s_waitcnt lgkmcnt(0)
	s_lshl_b32 s0, s1, 16
	s_delay_alu instid0(VALU_DEP_1) | instid1(SALU_CYCLE_1)
	v_add_f32_e32 v7, s0, v6
	s_delay_alu instid0(VALU_DEP_1) | instskip(NEXT) | instid1(VALU_DEP_1)
	v_and_b32_e32 v6, 0x7f800000, v7
	v_cmp_ne_u32_e64 s0, 0x7f800000, v6
                                        ; implicit-def: $vgpr6
	s_delay_alu instid0(VALU_DEP_1) | instskip(NEXT) | instid1(SALU_CYCLE_1)
	s_and_saveexec_b32 s4, s0
	s_xor_b32 s0, exec_lo, s4
; %bb.5:
	v_bfe_u32 v6, v7, 16, 1
	s_delay_alu instid0(VALU_DEP_1)
	v_add3_u32 v6, v7, v6, 0x7fff
                                        ; implicit-def: $vgpr7
; %bb.6:
	s_and_not1_saveexec_b32 s4, s0
; %bb.7:
	v_and_b32_e32 v6, 0xffff, v7
	v_or_b32_e32 v8, 0x10000, v7
	s_delay_alu instid0(VALU_DEP_2) | instskip(NEXT) | instid1(VALU_DEP_1)
	v_cmp_eq_u32_e64 s0, 0, v6
	v_cndmask_b32_e64 v6, v8, v7, s0
; %bb.8:
	s_or_b32 exec_lo, exec_lo, s4
	v_and_b32_e32 v7, 30, v5
	v_add_nc_u32_e32 v8, -1, v5
	s_delay_alu instid0(VALU_DEP_3) | instskip(SKIP_1) | instid1(VALU_DEP_3)
	v_lshrrev_b32_e32 v6, 16, v6
	v_and_b32_e32 v0, 1, v0
	v_cmp_lt_i32_e64 s0, v8, v7
	s_delay_alu instid0(VALU_DEP_1) | instskip(SKIP_1) | instid1(VALU_DEP_1)
	v_cndmask_b32_e64 v5, v8, v5, s0
	s_mov_b32 s0, exec_lo
	v_lshlrev_b32_e32 v5, 2, v5
	ds_bpermute_b32 v5, v5, v6
	s_waitcnt lgkmcnt(0)
	v_cndmask_b32_e64 v5, v5, s1, vcc_lo
	v_add_co_u32 v2, vcc_lo, s6, v2
	v_add_co_ci_u32_e32 v3, vcc_lo, s7, v3, vcc_lo
	global_store_b16 v[2:3], v5, off
	v_cmpx_eq_u32_e32 0, v0
	s_cbranch_execz .LBB196_10
; %bb.9:
	v_and_b32_e32 v0, -2, v1
	global_store_b16 v0, v4, s[2:3]
.LBB196_10:
	s_nop 0
	s_sendmsg sendmsg(MSG_DEALLOC_VGPRS)
	s_endpgm
	.section	.rodata,"a",@progbits
	.p2align	6, 0x0
	.amdhsa_kernel _Z33warp_exclusive_scan_reduce_kernelI12hip_bfloat16Lj64ELj2EENSt9enable_ifIXsr10test_utilsE35device_test_enabled_for_warp_size_vIXT1_EEEvE4typeEPT_S5_S5_S4_
		.amdhsa_group_segment_fixed_size 0
		.amdhsa_private_segment_fixed_size 0
		.amdhsa_kernarg_size 288
		.amdhsa_user_sgpr_count 15
		.amdhsa_user_sgpr_dispatch_ptr 0
		.amdhsa_user_sgpr_queue_ptr 0
		.amdhsa_user_sgpr_kernarg_segment_ptr 1
		.amdhsa_user_sgpr_dispatch_id 0
		.amdhsa_user_sgpr_private_segment_size 0
		.amdhsa_wavefront_size32 1
		.amdhsa_uses_dynamic_stack 0
		.amdhsa_enable_private_segment 0
		.amdhsa_system_sgpr_workgroup_id_x 1
		.amdhsa_system_sgpr_workgroup_id_y 0
		.amdhsa_system_sgpr_workgroup_id_z 0
		.amdhsa_system_sgpr_workgroup_info 0
		.amdhsa_system_vgpr_workitem_id 0
		.amdhsa_next_free_vgpr 9
		.amdhsa_next_free_sgpr 16
		.amdhsa_reserve_vcc 1
		.amdhsa_float_round_mode_32 0
		.amdhsa_float_round_mode_16_64 0
		.amdhsa_float_denorm_mode_32 3
		.amdhsa_float_denorm_mode_16_64 3
		.amdhsa_dx10_clamp 1
		.amdhsa_ieee_mode 1
		.amdhsa_fp16_overflow 0
		.amdhsa_workgroup_processor_mode 1
		.amdhsa_memory_ordered 1
		.amdhsa_forward_progress 0
		.amdhsa_shared_vgpr_count 0
		.amdhsa_exception_fp_ieee_invalid_op 0
		.amdhsa_exception_fp_denorm_src 0
		.amdhsa_exception_fp_ieee_div_zero 0
		.amdhsa_exception_fp_ieee_overflow 0
		.amdhsa_exception_fp_ieee_underflow 0
		.amdhsa_exception_fp_ieee_inexact 0
		.amdhsa_exception_int_div_zero 0
	.end_amdhsa_kernel
	.section	.text._Z33warp_exclusive_scan_reduce_kernelI12hip_bfloat16Lj64ELj2EENSt9enable_ifIXsr10test_utilsE35device_test_enabled_for_warp_size_vIXT1_EEEvE4typeEPT_S5_S5_S4_,"axG",@progbits,_Z33warp_exclusive_scan_reduce_kernelI12hip_bfloat16Lj64ELj2EENSt9enable_ifIXsr10test_utilsE35device_test_enabled_for_warp_size_vIXT1_EEEvE4typeEPT_S5_S5_S4_,comdat
.Lfunc_end196:
	.size	_Z33warp_exclusive_scan_reduce_kernelI12hip_bfloat16Lj64ELj2EENSt9enable_ifIXsr10test_utilsE35device_test_enabled_for_warp_size_vIXT1_EEEvE4typeEPT_S5_S5_S4_, .Lfunc_end196-_Z33warp_exclusive_scan_reduce_kernelI12hip_bfloat16Lj64ELj2EENSt9enable_ifIXsr10test_utilsE35device_test_enabled_for_warp_size_vIXT1_EEEvE4typeEPT_S5_S5_S4_
                                        ; -- End function
	.section	.AMDGPU.csdata,"",@progbits
; Kernel info:
; codeLenInByte = 512
; NumSgprs: 18
; NumVgprs: 9
; ScratchSize: 0
; MemoryBound: 0
; FloatMode: 240
; IeeeMode: 1
; LDSByteSize: 0 bytes/workgroup (compile time only)
; SGPRBlocks: 2
; VGPRBlocks: 1
; NumSGPRsForWavesPerEU: 18
; NumVGPRsForWavesPerEU: 9
; Occupancy: 16
; WaveLimiterHint : 0
; COMPUTE_PGM_RSRC2:SCRATCH_EN: 0
; COMPUTE_PGM_RSRC2:USER_SGPR: 15
; COMPUTE_PGM_RSRC2:TRAP_HANDLER: 0
; COMPUTE_PGM_RSRC2:TGID_X_EN: 1
; COMPUTE_PGM_RSRC2:TGID_Y_EN: 0
; COMPUTE_PGM_RSRC2:TGID_Z_EN: 0
; COMPUTE_PGM_RSRC2:TIDIG_COMP_CNT: 0
	.section	.text._Z33warp_exclusive_scan_reduce_kernelI6__halfLj256ELj64EENSt9enable_ifIXntsr10test_utilsE35device_test_enabled_for_warp_size_vIXT1_EEEvE4typeEPT_S5_S5_S4_,"axG",@progbits,_Z33warp_exclusive_scan_reduce_kernelI6__halfLj256ELj64EENSt9enable_ifIXntsr10test_utilsE35device_test_enabled_for_warp_size_vIXT1_EEEvE4typeEPT_S5_S5_S4_,comdat
	.protected	_Z33warp_exclusive_scan_reduce_kernelI6__halfLj256ELj64EENSt9enable_ifIXntsr10test_utilsE35device_test_enabled_for_warp_size_vIXT1_EEEvE4typeEPT_S5_S5_S4_ ; -- Begin function _Z33warp_exclusive_scan_reduce_kernelI6__halfLj256ELj64EENSt9enable_ifIXntsr10test_utilsE35device_test_enabled_for_warp_size_vIXT1_EEEvE4typeEPT_S5_S5_S4_
	.globl	_Z33warp_exclusive_scan_reduce_kernelI6__halfLj256ELj64EENSt9enable_ifIXntsr10test_utilsE35device_test_enabled_for_warp_size_vIXT1_EEEvE4typeEPT_S5_S5_S4_
	.p2align	8
	.type	_Z33warp_exclusive_scan_reduce_kernelI6__halfLj256ELj64EENSt9enable_ifIXntsr10test_utilsE35device_test_enabled_for_warp_size_vIXT1_EEEvE4typeEPT_S5_S5_S4_,@function
_Z33warp_exclusive_scan_reduce_kernelI6__halfLj256ELj64EENSt9enable_ifIXntsr10test_utilsE35device_test_enabled_for_warp_size_vIXT1_EEEvE4typeEPT_S5_S5_S4_: ; @_Z33warp_exclusive_scan_reduce_kernelI6__halfLj256ELj64EENSt9enable_ifIXntsr10test_utilsE35device_test_enabled_for_warp_size_vIXT1_EEEvE4typeEPT_S5_S5_S4_
; %bb.0:
	s_endpgm
	.section	.rodata,"a",@progbits
	.p2align	6, 0x0
	.amdhsa_kernel _Z33warp_exclusive_scan_reduce_kernelI6__halfLj256ELj64EENSt9enable_ifIXntsr10test_utilsE35device_test_enabled_for_warp_size_vIXT1_EEEvE4typeEPT_S5_S5_S4_
		.amdhsa_group_segment_fixed_size 0
		.amdhsa_private_segment_fixed_size 0
		.amdhsa_kernarg_size 28
		.amdhsa_user_sgpr_count 15
		.amdhsa_user_sgpr_dispatch_ptr 0
		.amdhsa_user_sgpr_queue_ptr 0
		.amdhsa_user_sgpr_kernarg_segment_ptr 1
		.amdhsa_user_sgpr_dispatch_id 0
		.amdhsa_user_sgpr_private_segment_size 0
		.amdhsa_wavefront_size32 1
		.amdhsa_uses_dynamic_stack 0
		.amdhsa_enable_private_segment 0
		.amdhsa_system_sgpr_workgroup_id_x 1
		.amdhsa_system_sgpr_workgroup_id_y 0
		.amdhsa_system_sgpr_workgroup_id_z 0
		.amdhsa_system_sgpr_workgroup_info 0
		.amdhsa_system_vgpr_workitem_id 0
		.amdhsa_next_free_vgpr 1
		.amdhsa_next_free_sgpr 1
		.amdhsa_reserve_vcc 0
		.amdhsa_float_round_mode_32 0
		.amdhsa_float_round_mode_16_64 0
		.amdhsa_float_denorm_mode_32 3
		.amdhsa_float_denorm_mode_16_64 3
		.amdhsa_dx10_clamp 1
		.amdhsa_ieee_mode 1
		.amdhsa_fp16_overflow 0
		.amdhsa_workgroup_processor_mode 1
		.amdhsa_memory_ordered 1
		.amdhsa_forward_progress 0
		.amdhsa_shared_vgpr_count 0
		.amdhsa_exception_fp_ieee_invalid_op 0
		.amdhsa_exception_fp_denorm_src 0
		.amdhsa_exception_fp_ieee_div_zero 0
		.amdhsa_exception_fp_ieee_overflow 0
		.amdhsa_exception_fp_ieee_underflow 0
		.amdhsa_exception_fp_ieee_inexact 0
		.amdhsa_exception_int_div_zero 0
	.end_amdhsa_kernel
	.section	.text._Z33warp_exclusive_scan_reduce_kernelI6__halfLj256ELj64EENSt9enable_ifIXntsr10test_utilsE35device_test_enabled_for_warp_size_vIXT1_EEEvE4typeEPT_S5_S5_S4_,"axG",@progbits,_Z33warp_exclusive_scan_reduce_kernelI6__halfLj256ELj64EENSt9enable_ifIXntsr10test_utilsE35device_test_enabled_for_warp_size_vIXT1_EEEvE4typeEPT_S5_S5_S4_,comdat
.Lfunc_end197:
	.size	_Z33warp_exclusive_scan_reduce_kernelI6__halfLj256ELj64EENSt9enable_ifIXntsr10test_utilsE35device_test_enabled_for_warp_size_vIXT1_EEEvE4typeEPT_S5_S5_S4_, .Lfunc_end197-_Z33warp_exclusive_scan_reduce_kernelI6__halfLj256ELj64EENSt9enable_ifIXntsr10test_utilsE35device_test_enabled_for_warp_size_vIXT1_EEEvE4typeEPT_S5_S5_S4_
                                        ; -- End function
	.section	.AMDGPU.csdata,"",@progbits
; Kernel info:
; codeLenInByte = 4
; NumSgprs: 0
; NumVgprs: 0
; ScratchSize: 0
; MemoryBound: 0
; FloatMode: 240
; IeeeMode: 1
; LDSByteSize: 0 bytes/workgroup (compile time only)
; SGPRBlocks: 0
; VGPRBlocks: 0
; NumSGPRsForWavesPerEU: 1
; NumVGPRsForWavesPerEU: 1
; Occupancy: 16
; WaveLimiterHint : 0
; COMPUTE_PGM_RSRC2:SCRATCH_EN: 0
; COMPUTE_PGM_RSRC2:USER_SGPR: 15
; COMPUTE_PGM_RSRC2:TRAP_HANDLER: 0
; COMPUTE_PGM_RSRC2:TGID_X_EN: 1
; COMPUTE_PGM_RSRC2:TGID_Y_EN: 0
; COMPUTE_PGM_RSRC2:TGID_Z_EN: 0
; COMPUTE_PGM_RSRC2:TIDIG_COMP_CNT: 0
	.section	.text._Z33warp_exclusive_scan_reduce_kernelI6__halfLj128ELj32EENSt9enable_ifIXsr10test_utilsE35device_test_enabled_for_warp_size_vIXT1_EEEvE4typeEPT_S5_S5_S4_,"axG",@progbits,_Z33warp_exclusive_scan_reduce_kernelI6__halfLj128ELj32EENSt9enable_ifIXsr10test_utilsE35device_test_enabled_for_warp_size_vIXT1_EEEvE4typeEPT_S5_S5_S4_,comdat
	.protected	_Z33warp_exclusive_scan_reduce_kernelI6__halfLj128ELj32EENSt9enable_ifIXsr10test_utilsE35device_test_enabled_for_warp_size_vIXT1_EEEvE4typeEPT_S5_S5_S4_ ; -- Begin function _Z33warp_exclusive_scan_reduce_kernelI6__halfLj128ELj32EENSt9enable_ifIXsr10test_utilsE35device_test_enabled_for_warp_size_vIXT1_EEEvE4typeEPT_S5_S5_S4_
	.globl	_Z33warp_exclusive_scan_reduce_kernelI6__halfLj128ELj32EENSt9enable_ifIXsr10test_utilsE35device_test_enabled_for_warp_size_vIXT1_EEEvE4typeEPT_S5_S5_S4_
	.p2align	8
	.type	_Z33warp_exclusive_scan_reduce_kernelI6__halfLj128ELj32EENSt9enable_ifIXsr10test_utilsE35device_test_enabled_for_warp_size_vIXT1_EEEvE4typeEPT_S5_S5_S4_,@function
_Z33warp_exclusive_scan_reduce_kernelI6__halfLj128ELj32EENSt9enable_ifIXsr10test_utilsE35device_test_enabled_for_warp_size_vIXT1_EEEvE4typeEPT_S5_S5_S4_: ; @_Z33warp_exclusive_scan_reduce_kernelI6__halfLj128ELj32EENSt9enable_ifIXsr10test_utilsE35device_test_enabled_for_warp_size_vIXT1_EEEvE4typeEPT_S5_S5_S4_
; %bb.0:
	s_clause 0x1
	s_load_b32 s2, s[0:1], 0x2c
	s_load_b128 s[4:7], s[0:1], 0x0
	v_mbcnt_lo_u32_b32 v7, -1, 0
	s_delay_alu instid0(VALU_DEP_1) | instskip(SKIP_3) | instid1(SALU_CYCLE_1)
	v_and_b32_e32 v8, 15, v7
	v_add_nc_u32_e32 v9, -1, v7
	s_waitcnt lgkmcnt(0)
	s_and_b32 s2, s2, 0xffff
	v_mad_u64_u32 v[1:2], null, s15, s2, v[0:1]
	v_mov_b32_e32 v2, 0
	s_load_b32 s2, s[0:1], 0x18
	v_and_b32_e32 v0, 31, v0
	s_delay_alu instid0(VALU_DEP_2) | instskip(NEXT) | instid1(VALU_DEP_1)
	v_lshlrev_b64 v[3:4], 1, v[1:2]
	v_add_co_u32 v5, vcc_lo, s4, v3
	s_delay_alu instid0(VALU_DEP_2) | instskip(SKIP_4) | instid1(VALU_DEP_1)
	v_add_co_ci_u32_e32 v6, vcc_lo, s5, v4, vcc_lo
	v_cmp_eq_u32_e32 vcc_lo, 0, v8
	global_load_u16 v5, v[5:6], off
	s_waitcnt vmcnt(0)
	v_and_b32_e32 v6, 0xffff, v5
	v_mov_b32_dpp v6, v6 row_shr:1 row_mask:0xf bank_mask:0xf
	s_delay_alu instid0(VALU_DEP_1) | instskip(NEXT) | instid1(VALU_DEP_1)
	v_add_f16_e32 v6, v5, v6
	v_cndmask_b32_e32 v5, v6, v5, vcc_lo
	v_cmp_lt_u32_e32 vcc_lo, 1, v8
	s_delay_alu instid0(VALU_DEP_2) | instskip(NEXT) | instid1(VALU_DEP_1)
	v_and_b32_e32 v6, 0xffff, v5
	v_mov_b32_dpp v6, v6 row_shr:2 row_mask:0xf bank_mask:0xf
	s_delay_alu instid0(VALU_DEP_1) | instskip(NEXT) | instid1(VALU_DEP_1)
	v_add_f16_e32 v6, v5, v6
	v_cndmask_b32_e32 v5, v5, v6, vcc_lo
	v_cmp_lt_u32_e32 vcc_lo, 3, v8
	s_delay_alu instid0(VALU_DEP_2) | instskip(NEXT) | instid1(VALU_DEP_1)
	v_and_b32_e32 v6, 0xffff, v5
	v_mov_b32_dpp v6, v6 row_shr:4 row_mask:0xf bank_mask:0xf
	s_delay_alu instid0(VALU_DEP_1) | instskip(NEXT) | instid1(VALU_DEP_1)
	v_add_f16_e32 v6, v5, v6
	v_cndmask_b32_e32 v5, v5, v6, vcc_lo
	v_cmp_lt_u32_e32 vcc_lo, 7, v8
	v_and_b32_e32 v8, 16, v7
	s_delay_alu instid0(VALU_DEP_3) | instskip(NEXT) | instid1(VALU_DEP_1)
	v_and_b32_e32 v6, 0xffff, v5
	v_mov_b32_dpp v6, v6 row_shr:8 row_mask:0xf bank_mask:0xf
	s_delay_alu instid0(VALU_DEP_1) | instskip(NEXT) | instid1(VALU_DEP_1)
	v_add_f16_e32 v6, v5, v6
	v_cndmask_b32_e32 v5, v5, v6, vcc_lo
	v_cmp_eq_u32_e32 vcc_lo, 0, v8
	s_delay_alu instid0(VALU_DEP_2) | instskip(SKIP_3) | instid1(VALU_DEP_1)
	v_and_b32_e32 v6, 0xffff, v5
	ds_swizzle_b32 v6, v6 offset:swizzle(BROADCAST,32,15)
	s_waitcnt lgkmcnt(0)
	v_add_f16_e32 v6, v5, v6
	v_cndmask_b32_e32 v5, v6, v5, vcc_lo
	v_cmp_gt_i32_e32 vcc_lo, 0, v9
	v_cndmask_b32_e32 v6, v9, v7, vcc_lo
	s_delay_alu instid0(VALU_DEP_3) | instskip(SKIP_2) | instid1(VALU_DEP_4)
	v_add_f16_e32 v8, s2, v5
	v_and_b32_e32 v5, 0xffff, v5
	v_cmp_eq_u32_e32 vcc_lo, 0, v7
	v_lshlrev_b32_e32 v6, 2, v6
	s_delay_alu instid0(VALU_DEP_4)
	v_and_b32_e32 v8, 0xffff, v8
	ds_bpermute_b32 v2, v2, v5 offset:124
	ds_bpermute_b32 v6, v6, v8
	s_waitcnt lgkmcnt(0)
	v_cndmask_b32_e64 v5, v6, s2, vcc_lo
	v_add_co_u32 v3, vcc_lo, s6, v3
	v_add_co_ci_u32_e32 v4, vcc_lo, s7, v4, vcc_lo
	s_mov_b32 s2, exec_lo
	global_store_b16 v[3:4], v5, off
	v_cmpx_eq_u32_e32 0, v0
	s_cbranch_execz .LBB198_2
; %bb.1:
	s_load_b64 s[0:1], s[0:1], 0x10
	v_lshrrev_b32_e32 v0, 4, v1
	s_delay_alu instid0(VALU_DEP_1)
	v_and_b32_e32 v0, 0xffffffe, v0
	s_waitcnt lgkmcnt(0)
	global_store_b16 v0, v2, s[0:1]
.LBB198_2:
	s_nop 0
	s_sendmsg sendmsg(MSG_DEALLOC_VGPRS)
	s_endpgm
	.section	.rodata,"a",@progbits
	.p2align	6, 0x0
	.amdhsa_kernel _Z33warp_exclusive_scan_reduce_kernelI6__halfLj128ELj32EENSt9enable_ifIXsr10test_utilsE35device_test_enabled_for_warp_size_vIXT1_EEEvE4typeEPT_S5_S5_S4_
		.amdhsa_group_segment_fixed_size 0
		.amdhsa_private_segment_fixed_size 0
		.amdhsa_kernarg_size 288
		.amdhsa_user_sgpr_count 15
		.amdhsa_user_sgpr_dispatch_ptr 0
		.amdhsa_user_sgpr_queue_ptr 0
		.amdhsa_user_sgpr_kernarg_segment_ptr 1
		.amdhsa_user_sgpr_dispatch_id 0
		.amdhsa_user_sgpr_private_segment_size 0
		.amdhsa_wavefront_size32 1
		.amdhsa_uses_dynamic_stack 0
		.amdhsa_enable_private_segment 0
		.amdhsa_system_sgpr_workgroup_id_x 1
		.amdhsa_system_sgpr_workgroup_id_y 0
		.amdhsa_system_sgpr_workgroup_id_z 0
		.amdhsa_system_sgpr_workgroup_info 0
		.amdhsa_system_vgpr_workitem_id 0
		.amdhsa_next_free_vgpr 10
		.amdhsa_next_free_sgpr 16
		.amdhsa_reserve_vcc 1
		.amdhsa_float_round_mode_32 0
		.amdhsa_float_round_mode_16_64 0
		.amdhsa_float_denorm_mode_32 3
		.amdhsa_float_denorm_mode_16_64 3
		.amdhsa_dx10_clamp 1
		.amdhsa_ieee_mode 1
		.amdhsa_fp16_overflow 0
		.amdhsa_workgroup_processor_mode 1
		.amdhsa_memory_ordered 1
		.amdhsa_forward_progress 0
		.amdhsa_shared_vgpr_count 0
		.amdhsa_exception_fp_ieee_invalid_op 0
		.amdhsa_exception_fp_denorm_src 0
		.amdhsa_exception_fp_ieee_div_zero 0
		.amdhsa_exception_fp_ieee_overflow 0
		.amdhsa_exception_fp_ieee_underflow 0
		.amdhsa_exception_fp_ieee_inexact 0
		.amdhsa_exception_int_div_zero 0
	.end_amdhsa_kernel
	.section	.text._Z33warp_exclusive_scan_reduce_kernelI6__halfLj128ELj32EENSt9enable_ifIXsr10test_utilsE35device_test_enabled_for_warp_size_vIXT1_EEEvE4typeEPT_S5_S5_S4_,"axG",@progbits,_Z33warp_exclusive_scan_reduce_kernelI6__halfLj128ELj32EENSt9enable_ifIXsr10test_utilsE35device_test_enabled_for_warp_size_vIXT1_EEEvE4typeEPT_S5_S5_S4_,comdat
.Lfunc_end198:
	.size	_Z33warp_exclusive_scan_reduce_kernelI6__halfLj128ELj32EENSt9enable_ifIXsr10test_utilsE35device_test_enabled_for_warp_size_vIXT1_EEEvE4typeEPT_S5_S5_S4_, .Lfunc_end198-_Z33warp_exclusive_scan_reduce_kernelI6__halfLj128ELj32EENSt9enable_ifIXsr10test_utilsE35device_test_enabled_for_warp_size_vIXT1_EEEvE4typeEPT_S5_S5_S4_
                                        ; -- End function
	.section	.AMDGPU.csdata,"",@progbits
; Kernel info:
; codeLenInByte = 448
; NumSgprs: 18
; NumVgprs: 10
; ScratchSize: 0
; MemoryBound: 0
; FloatMode: 240
; IeeeMode: 1
; LDSByteSize: 0 bytes/workgroup (compile time only)
; SGPRBlocks: 2
; VGPRBlocks: 1
; NumSGPRsForWavesPerEU: 18
; NumVGPRsForWavesPerEU: 10
; Occupancy: 16
; WaveLimiterHint : 0
; COMPUTE_PGM_RSRC2:SCRATCH_EN: 0
; COMPUTE_PGM_RSRC2:USER_SGPR: 15
; COMPUTE_PGM_RSRC2:TRAP_HANDLER: 0
; COMPUTE_PGM_RSRC2:TGID_X_EN: 1
; COMPUTE_PGM_RSRC2:TGID_Y_EN: 0
; COMPUTE_PGM_RSRC2:TGID_Z_EN: 0
; COMPUTE_PGM_RSRC2:TIDIG_COMP_CNT: 0
	.section	.text._Z33warp_exclusive_scan_reduce_kernelI6__halfLj64ELj16EENSt9enable_ifIXsr10test_utilsE35device_test_enabled_for_warp_size_vIXT1_EEEvE4typeEPT_S5_S5_S4_,"axG",@progbits,_Z33warp_exclusive_scan_reduce_kernelI6__halfLj64ELj16EENSt9enable_ifIXsr10test_utilsE35device_test_enabled_for_warp_size_vIXT1_EEEvE4typeEPT_S5_S5_S4_,comdat
	.protected	_Z33warp_exclusive_scan_reduce_kernelI6__halfLj64ELj16EENSt9enable_ifIXsr10test_utilsE35device_test_enabled_for_warp_size_vIXT1_EEEvE4typeEPT_S5_S5_S4_ ; -- Begin function _Z33warp_exclusive_scan_reduce_kernelI6__halfLj64ELj16EENSt9enable_ifIXsr10test_utilsE35device_test_enabled_for_warp_size_vIXT1_EEEvE4typeEPT_S5_S5_S4_
	.globl	_Z33warp_exclusive_scan_reduce_kernelI6__halfLj64ELj16EENSt9enable_ifIXsr10test_utilsE35device_test_enabled_for_warp_size_vIXT1_EEEvE4typeEPT_S5_S5_S4_
	.p2align	8
	.type	_Z33warp_exclusive_scan_reduce_kernelI6__halfLj64ELj16EENSt9enable_ifIXsr10test_utilsE35device_test_enabled_for_warp_size_vIXT1_EEEvE4typeEPT_S5_S5_S4_,@function
_Z33warp_exclusive_scan_reduce_kernelI6__halfLj64ELj16EENSt9enable_ifIXsr10test_utilsE35device_test_enabled_for_warp_size_vIXT1_EEEvE4typeEPT_S5_S5_S4_: ; @_Z33warp_exclusive_scan_reduce_kernelI6__halfLj64ELj16EENSt9enable_ifIXsr10test_utilsE35device_test_enabled_for_warp_size_vIXT1_EEEvE4typeEPT_S5_S5_S4_
; %bb.0:
	s_clause 0x2
	s_load_b32 s2, s[0:1], 0x2c
	s_load_b128 s[4:7], s[0:1], 0x0
	s_load_b32 s3, s[0:1], 0x18
	s_waitcnt lgkmcnt(0)
	s_and_b32 s2, s2, 0xffff
	s_delay_alu instid0(SALU_CYCLE_1) | instskip(SKIP_2) | instid1(VALU_DEP_2)
	v_mad_u64_u32 v[1:2], null, s15, s2, v[0:1]
	v_mov_b32_e32 v2, 0
	v_and_b32_e32 v0, 15, v0
	v_lshlrev_b64 v[3:4], 1, v[1:2]
	s_delay_alu instid0(VALU_DEP_1) | instskip(NEXT) | instid1(VALU_DEP_2)
	v_add_co_u32 v5, vcc_lo, s4, v3
	v_add_co_ci_u32_e32 v6, vcc_lo, s5, v4, vcc_lo
	global_load_u16 v2, v[5:6], off
	v_mbcnt_lo_u32_b32 v6, -1, 0
	s_delay_alu instid0(VALU_DEP_1) | instskip(SKIP_2) | instid1(VALU_DEP_3)
	v_and_b32_e32 v7, 15, v6
	v_and_b32_e32 v8, 16, v6
	v_add_nc_u32_e32 v9, -1, v6
	v_cmp_eq_u32_e32 vcc_lo, 0, v7
	v_cmp_lt_u32_e64 s2, 1, v7
	s_waitcnt vmcnt(0)
	v_and_b32_e32 v5, 0xffff, v2
	s_delay_alu instid0(VALU_DEP_1) | instskip(NEXT) | instid1(VALU_DEP_1)
	v_mov_b32_dpp v5, v5 row_shr:1 row_mask:0xf bank_mask:0xf
	v_add_f16_e32 v5, v2, v5
	s_delay_alu instid0(VALU_DEP_1) | instskip(NEXT) | instid1(VALU_DEP_1)
	v_cndmask_b32_e32 v2, v5, v2, vcc_lo
	v_and_b32_e32 v5, 0xffff, v2
	s_delay_alu instid0(VALU_DEP_1) | instskip(NEXT) | instid1(VALU_DEP_1)
	v_mov_b32_dpp v5, v5 row_shr:2 row_mask:0xf bank_mask:0xf
	v_add_f16_e32 v5, v2, v5
	s_delay_alu instid0(VALU_DEP_1) | instskip(SKIP_1) | instid1(VALU_DEP_2)
	v_cndmask_b32_e64 v2, v2, v5, s2
	v_cmp_lt_u32_e64 s2, 3, v7
	v_and_b32_e32 v5, 0xffff, v2
	s_delay_alu instid0(VALU_DEP_1) | instskip(NEXT) | instid1(VALU_DEP_1)
	v_mov_b32_dpp v5, v5 row_shr:4 row_mask:0xf bank_mask:0xf
	v_add_f16_e32 v5, v2, v5
	s_delay_alu instid0(VALU_DEP_1) | instskip(SKIP_1) | instid1(VALU_DEP_2)
	v_cndmask_b32_e64 v2, v2, v5, s2
	v_cmp_lt_u32_e64 s2, 7, v7
	v_and_b32_e32 v5, 0xffff, v2
	s_delay_alu instid0(VALU_DEP_1) | instskip(NEXT) | instid1(VALU_DEP_1)
	v_mov_b32_dpp v5, v5 row_shr:8 row_mask:0xf bank_mask:0xf
	v_add_f16_e32 v5, v2, v5
	s_delay_alu instid0(VALU_DEP_1) | instskip(SKIP_1) | instid1(VALU_DEP_2)
	v_cndmask_b32_e64 v2, v2, v5, s2
	v_cmp_lt_i32_e64 s2, v9, v8
	v_add_f16_e32 v7, s3, v2
	s_delay_alu instid0(VALU_DEP_2)
	v_cndmask_b32_e64 v5, v9, v6, s2
	v_lshl_or_b32 v6, v6, 2, 60
	v_and_b32_e32 v2, 0xffff, v2
	s_mov_b32 s2, exec_lo
	v_and_b32_e32 v7, 0xffff, v7
	v_lshlrev_b32_e32 v5, 2, v5
	ds_bpermute_b32 v2, v6, v2
	ds_bpermute_b32 v5, v5, v7
	s_waitcnt lgkmcnt(0)
	v_cndmask_b32_e64 v5, v5, s3, vcc_lo
	v_add_co_u32 v3, vcc_lo, s6, v3
	v_add_co_ci_u32_e32 v4, vcc_lo, s7, v4, vcc_lo
	global_store_b16 v[3:4], v5, off
	v_cmpx_eq_u32_e32 0, v0
	s_cbranch_execz .LBB199_2
; %bb.1:
	s_load_b64 s[0:1], s[0:1], 0x10
	v_lshrrev_b32_e32 v0, 3, v1
	s_delay_alu instid0(VALU_DEP_1)
	v_and_b32_e32 v0, 0x1ffffffe, v0
	s_waitcnt lgkmcnt(0)
	global_store_b16 v0, v2, s[0:1]
.LBB199_2:
	s_nop 0
	s_sendmsg sendmsg(MSG_DEALLOC_VGPRS)
	s_endpgm
	.section	.rodata,"a",@progbits
	.p2align	6, 0x0
	.amdhsa_kernel _Z33warp_exclusive_scan_reduce_kernelI6__halfLj64ELj16EENSt9enable_ifIXsr10test_utilsE35device_test_enabled_for_warp_size_vIXT1_EEEvE4typeEPT_S5_S5_S4_
		.amdhsa_group_segment_fixed_size 0
		.amdhsa_private_segment_fixed_size 0
		.amdhsa_kernarg_size 288
		.amdhsa_user_sgpr_count 15
		.amdhsa_user_sgpr_dispatch_ptr 0
		.amdhsa_user_sgpr_queue_ptr 0
		.amdhsa_user_sgpr_kernarg_segment_ptr 1
		.amdhsa_user_sgpr_dispatch_id 0
		.amdhsa_user_sgpr_private_segment_size 0
		.amdhsa_wavefront_size32 1
		.amdhsa_uses_dynamic_stack 0
		.amdhsa_enable_private_segment 0
		.amdhsa_system_sgpr_workgroup_id_x 1
		.amdhsa_system_sgpr_workgroup_id_y 0
		.amdhsa_system_sgpr_workgroup_id_z 0
		.amdhsa_system_sgpr_workgroup_info 0
		.amdhsa_system_vgpr_workitem_id 0
		.amdhsa_next_free_vgpr 10
		.amdhsa_next_free_sgpr 16
		.amdhsa_reserve_vcc 1
		.amdhsa_float_round_mode_32 0
		.amdhsa_float_round_mode_16_64 0
		.amdhsa_float_denorm_mode_32 3
		.amdhsa_float_denorm_mode_16_64 3
		.amdhsa_dx10_clamp 1
		.amdhsa_ieee_mode 1
		.amdhsa_fp16_overflow 0
		.amdhsa_workgroup_processor_mode 1
		.amdhsa_memory_ordered 1
		.amdhsa_forward_progress 0
		.amdhsa_shared_vgpr_count 0
		.amdhsa_exception_fp_ieee_invalid_op 0
		.amdhsa_exception_fp_denorm_src 0
		.amdhsa_exception_fp_ieee_div_zero 0
		.amdhsa_exception_fp_ieee_overflow 0
		.amdhsa_exception_fp_ieee_underflow 0
		.amdhsa_exception_fp_ieee_inexact 0
		.amdhsa_exception_int_div_zero 0
	.end_amdhsa_kernel
	.section	.text._Z33warp_exclusive_scan_reduce_kernelI6__halfLj64ELj16EENSt9enable_ifIXsr10test_utilsE35device_test_enabled_for_warp_size_vIXT1_EEEvE4typeEPT_S5_S5_S4_,"axG",@progbits,_Z33warp_exclusive_scan_reduce_kernelI6__halfLj64ELj16EENSt9enable_ifIXsr10test_utilsE35device_test_enabled_for_warp_size_vIXT1_EEEvE4typeEPT_S5_S5_S4_,comdat
.Lfunc_end199:
	.size	_Z33warp_exclusive_scan_reduce_kernelI6__halfLj64ELj16EENSt9enable_ifIXsr10test_utilsE35device_test_enabled_for_warp_size_vIXT1_EEEvE4typeEPT_S5_S5_S4_, .Lfunc_end199-_Z33warp_exclusive_scan_reduce_kernelI6__halfLj64ELj16EENSt9enable_ifIXsr10test_utilsE35device_test_enabled_for_warp_size_vIXT1_EEEvE4typeEPT_S5_S5_S4_
                                        ; -- End function
	.section	.AMDGPU.csdata,"",@progbits
; Kernel info:
; codeLenInByte = 448
; NumSgprs: 18
; NumVgprs: 10
; ScratchSize: 0
; MemoryBound: 0
; FloatMode: 240
; IeeeMode: 1
; LDSByteSize: 0 bytes/workgroup (compile time only)
; SGPRBlocks: 2
; VGPRBlocks: 1
; NumSGPRsForWavesPerEU: 18
; NumVGPRsForWavesPerEU: 10
; Occupancy: 16
; WaveLimiterHint : 0
; COMPUTE_PGM_RSRC2:SCRATCH_EN: 0
; COMPUTE_PGM_RSRC2:USER_SGPR: 15
; COMPUTE_PGM_RSRC2:TRAP_HANDLER: 0
; COMPUTE_PGM_RSRC2:TGID_X_EN: 1
; COMPUTE_PGM_RSRC2:TGID_Y_EN: 0
; COMPUTE_PGM_RSRC2:TGID_Z_EN: 0
; COMPUTE_PGM_RSRC2:TIDIG_COMP_CNT: 0
	.section	.text._Z33warp_exclusive_scan_reduce_kernelI6__halfLj32ELj8EENSt9enable_ifIXsr10test_utilsE35device_test_enabled_for_warp_size_vIXT1_EEEvE4typeEPT_S5_S5_S4_,"axG",@progbits,_Z33warp_exclusive_scan_reduce_kernelI6__halfLj32ELj8EENSt9enable_ifIXsr10test_utilsE35device_test_enabled_for_warp_size_vIXT1_EEEvE4typeEPT_S5_S5_S4_,comdat
	.protected	_Z33warp_exclusive_scan_reduce_kernelI6__halfLj32ELj8EENSt9enable_ifIXsr10test_utilsE35device_test_enabled_for_warp_size_vIXT1_EEEvE4typeEPT_S5_S5_S4_ ; -- Begin function _Z33warp_exclusive_scan_reduce_kernelI6__halfLj32ELj8EENSt9enable_ifIXsr10test_utilsE35device_test_enabled_for_warp_size_vIXT1_EEEvE4typeEPT_S5_S5_S4_
	.globl	_Z33warp_exclusive_scan_reduce_kernelI6__halfLj32ELj8EENSt9enable_ifIXsr10test_utilsE35device_test_enabled_for_warp_size_vIXT1_EEEvE4typeEPT_S5_S5_S4_
	.p2align	8
	.type	_Z33warp_exclusive_scan_reduce_kernelI6__halfLj32ELj8EENSt9enable_ifIXsr10test_utilsE35device_test_enabled_for_warp_size_vIXT1_EEEvE4typeEPT_S5_S5_S4_,@function
_Z33warp_exclusive_scan_reduce_kernelI6__halfLj32ELj8EENSt9enable_ifIXsr10test_utilsE35device_test_enabled_for_warp_size_vIXT1_EEEvE4typeEPT_S5_S5_S4_: ; @_Z33warp_exclusive_scan_reduce_kernelI6__halfLj32ELj8EENSt9enable_ifIXsr10test_utilsE35device_test_enabled_for_warp_size_vIXT1_EEEvE4typeEPT_S5_S5_S4_
; %bb.0:
	s_clause 0x2
	s_load_b32 s2, s[0:1], 0x2c
	s_load_b128 s[4:7], s[0:1], 0x0
	s_load_b32 s3, s[0:1], 0x18
	s_waitcnt lgkmcnt(0)
	s_and_b32 s2, s2, 0xffff
	s_delay_alu instid0(SALU_CYCLE_1) | instskip(SKIP_2) | instid1(VALU_DEP_2)
	v_mad_u64_u32 v[1:2], null, s15, s2, v[0:1]
	v_mov_b32_e32 v2, 0
	v_and_b32_e32 v0, 7, v0
	v_lshlrev_b64 v[3:4], 1, v[1:2]
	s_delay_alu instid0(VALU_DEP_1) | instskip(NEXT) | instid1(VALU_DEP_2)
	v_add_co_u32 v5, vcc_lo, s4, v3
	v_add_co_ci_u32_e32 v6, vcc_lo, s5, v4, vcc_lo
	global_load_u16 v2, v[5:6], off
	v_mbcnt_lo_u32_b32 v6, -1, 0
	s_delay_alu instid0(VALU_DEP_1) | instskip(SKIP_2) | instid1(VALU_DEP_3)
	v_and_b32_e32 v7, 7, v6
	v_and_b32_e32 v8, 24, v6
	v_add_nc_u32_e32 v9, -1, v6
	v_cmp_eq_u32_e32 vcc_lo, 0, v7
	v_cmp_lt_u32_e64 s2, 1, v7
	s_waitcnt vmcnt(0)
	v_and_b32_e32 v5, 0xffff, v2
	s_delay_alu instid0(VALU_DEP_1) | instskip(NEXT) | instid1(VALU_DEP_1)
	v_mov_b32_dpp v5, v5 row_shr:1 row_mask:0xf bank_mask:0xf
	v_add_f16_e32 v5, v2, v5
	s_delay_alu instid0(VALU_DEP_1) | instskip(NEXT) | instid1(VALU_DEP_1)
	v_cndmask_b32_e32 v2, v5, v2, vcc_lo
	v_and_b32_e32 v5, 0xffff, v2
	s_delay_alu instid0(VALU_DEP_1) | instskip(NEXT) | instid1(VALU_DEP_1)
	v_mov_b32_dpp v5, v5 row_shr:2 row_mask:0xf bank_mask:0xf
	v_add_f16_e32 v5, v2, v5
	s_delay_alu instid0(VALU_DEP_1) | instskip(SKIP_1) | instid1(VALU_DEP_2)
	v_cndmask_b32_e64 v2, v2, v5, s2
	v_cmp_lt_u32_e64 s2, 3, v7
	v_and_b32_e32 v5, 0xffff, v2
	s_delay_alu instid0(VALU_DEP_1) | instskip(NEXT) | instid1(VALU_DEP_1)
	v_mov_b32_dpp v5, v5 row_shr:4 row_mask:0xf bank_mask:0xf
	v_add_f16_e32 v5, v2, v5
	s_delay_alu instid0(VALU_DEP_1) | instskip(SKIP_1) | instid1(VALU_DEP_2)
	v_cndmask_b32_e64 v2, v2, v5, s2
	v_cmp_lt_i32_e64 s2, v9, v8
	v_add_f16_e32 v7, s3, v2
	s_delay_alu instid0(VALU_DEP_2)
	v_cndmask_b32_e64 v5, v9, v6, s2
	v_lshl_or_b32 v6, v6, 2, 28
	v_and_b32_e32 v2, 0xffff, v2
	s_mov_b32 s2, exec_lo
	v_and_b32_e32 v7, 0xffff, v7
	v_lshlrev_b32_e32 v5, 2, v5
	ds_bpermute_b32 v2, v6, v2
	ds_bpermute_b32 v5, v5, v7
	s_waitcnt lgkmcnt(0)
	v_cndmask_b32_e64 v5, v5, s3, vcc_lo
	v_add_co_u32 v3, vcc_lo, s6, v3
	v_add_co_ci_u32_e32 v4, vcc_lo, s7, v4, vcc_lo
	global_store_b16 v[3:4], v5, off
	v_cmpx_eq_u32_e32 0, v0
	s_cbranch_execz .LBB200_2
; %bb.1:
	s_load_b64 s[0:1], s[0:1], 0x10
	v_lshrrev_b32_e32 v0, 2, v1
	s_delay_alu instid0(VALU_DEP_1)
	v_and_b32_e32 v0, 0x3ffffffe, v0
	s_waitcnt lgkmcnt(0)
	global_store_b16 v0, v2, s[0:1]
.LBB200_2:
	s_nop 0
	s_sendmsg sendmsg(MSG_DEALLOC_VGPRS)
	s_endpgm
	.section	.rodata,"a",@progbits
	.p2align	6, 0x0
	.amdhsa_kernel _Z33warp_exclusive_scan_reduce_kernelI6__halfLj32ELj8EENSt9enable_ifIXsr10test_utilsE35device_test_enabled_for_warp_size_vIXT1_EEEvE4typeEPT_S5_S5_S4_
		.amdhsa_group_segment_fixed_size 0
		.amdhsa_private_segment_fixed_size 0
		.amdhsa_kernarg_size 288
		.amdhsa_user_sgpr_count 15
		.amdhsa_user_sgpr_dispatch_ptr 0
		.amdhsa_user_sgpr_queue_ptr 0
		.amdhsa_user_sgpr_kernarg_segment_ptr 1
		.amdhsa_user_sgpr_dispatch_id 0
		.amdhsa_user_sgpr_private_segment_size 0
		.amdhsa_wavefront_size32 1
		.amdhsa_uses_dynamic_stack 0
		.amdhsa_enable_private_segment 0
		.amdhsa_system_sgpr_workgroup_id_x 1
		.amdhsa_system_sgpr_workgroup_id_y 0
		.amdhsa_system_sgpr_workgroup_id_z 0
		.amdhsa_system_sgpr_workgroup_info 0
		.amdhsa_system_vgpr_workitem_id 0
		.amdhsa_next_free_vgpr 10
		.amdhsa_next_free_sgpr 16
		.amdhsa_reserve_vcc 1
		.amdhsa_float_round_mode_32 0
		.amdhsa_float_round_mode_16_64 0
		.amdhsa_float_denorm_mode_32 3
		.amdhsa_float_denorm_mode_16_64 3
		.amdhsa_dx10_clamp 1
		.amdhsa_ieee_mode 1
		.amdhsa_fp16_overflow 0
		.amdhsa_workgroup_processor_mode 1
		.amdhsa_memory_ordered 1
		.amdhsa_forward_progress 0
		.amdhsa_shared_vgpr_count 0
		.amdhsa_exception_fp_ieee_invalid_op 0
		.amdhsa_exception_fp_denorm_src 0
		.amdhsa_exception_fp_ieee_div_zero 0
		.amdhsa_exception_fp_ieee_overflow 0
		.amdhsa_exception_fp_ieee_underflow 0
		.amdhsa_exception_fp_ieee_inexact 0
		.amdhsa_exception_int_div_zero 0
	.end_amdhsa_kernel
	.section	.text._Z33warp_exclusive_scan_reduce_kernelI6__halfLj32ELj8EENSt9enable_ifIXsr10test_utilsE35device_test_enabled_for_warp_size_vIXT1_EEEvE4typeEPT_S5_S5_S4_,"axG",@progbits,_Z33warp_exclusive_scan_reduce_kernelI6__halfLj32ELj8EENSt9enable_ifIXsr10test_utilsE35device_test_enabled_for_warp_size_vIXT1_EEEvE4typeEPT_S5_S5_S4_,comdat
.Lfunc_end200:
	.size	_Z33warp_exclusive_scan_reduce_kernelI6__halfLj32ELj8EENSt9enable_ifIXsr10test_utilsE35device_test_enabled_for_warp_size_vIXT1_EEEvE4typeEPT_S5_S5_S4_, .Lfunc_end200-_Z33warp_exclusive_scan_reduce_kernelI6__halfLj32ELj8EENSt9enable_ifIXsr10test_utilsE35device_test_enabled_for_warp_size_vIXT1_EEEvE4typeEPT_S5_S5_S4_
                                        ; -- End function
	.section	.AMDGPU.csdata,"",@progbits
; Kernel info:
; codeLenInByte = 404
; NumSgprs: 18
; NumVgprs: 10
; ScratchSize: 0
; MemoryBound: 0
; FloatMode: 240
; IeeeMode: 1
; LDSByteSize: 0 bytes/workgroup (compile time only)
; SGPRBlocks: 2
; VGPRBlocks: 1
; NumSGPRsForWavesPerEU: 18
; NumVGPRsForWavesPerEU: 10
; Occupancy: 16
; WaveLimiterHint : 0
; COMPUTE_PGM_RSRC2:SCRATCH_EN: 0
; COMPUTE_PGM_RSRC2:USER_SGPR: 15
; COMPUTE_PGM_RSRC2:TRAP_HANDLER: 0
; COMPUTE_PGM_RSRC2:TGID_X_EN: 1
; COMPUTE_PGM_RSRC2:TGID_Y_EN: 0
; COMPUTE_PGM_RSRC2:TGID_Z_EN: 0
; COMPUTE_PGM_RSRC2:TIDIG_COMP_CNT: 0
	.section	.text._Z33warp_exclusive_scan_reduce_kernelI6__halfLj64ELj8EENSt9enable_ifIXsr10test_utilsE35device_test_enabled_for_warp_size_vIXT1_EEEvE4typeEPT_S5_S5_S4_,"axG",@progbits,_Z33warp_exclusive_scan_reduce_kernelI6__halfLj64ELj8EENSt9enable_ifIXsr10test_utilsE35device_test_enabled_for_warp_size_vIXT1_EEEvE4typeEPT_S5_S5_S4_,comdat
	.protected	_Z33warp_exclusive_scan_reduce_kernelI6__halfLj64ELj8EENSt9enable_ifIXsr10test_utilsE35device_test_enabled_for_warp_size_vIXT1_EEEvE4typeEPT_S5_S5_S4_ ; -- Begin function _Z33warp_exclusive_scan_reduce_kernelI6__halfLj64ELj8EENSt9enable_ifIXsr10test_utilsE35device_test_enabled_for_warp_size_vIXT1_EEEvE4typeEPT_S5_S5_S4_
	.globl	_Z33warp_exclusive_scan_reduce_kernelI6__halfLj64ELj8EENSt9enable_ifIXsr10test_utilsE35device_test_enabled_for_warp_size_vIXT1_EEEvE4typeEPT_S5_S5_S4_
	.p2align	8
	.type	_Z33warp_exclusive_scan_reduce_kernelI6__halfLj64ELj8EENSt9enable_ifIXsr10test_utilsE35device_test_enabled_for_warp_size_vIXT1_EEEvE4typeEPT_S5_S5_S4_,@function
_Z33warp_exclusive_scan_reduce_kernelI6__halfLj64ELj8EENSt9enable_ifIXsr10test_utilsE35device_test_enabled_for_warp_size_vIXT1_EEEvE4typeEPT_S5_S5_S4_: ; @_Z33warp_exclusive_scan_reduce_kernelI6__halfLj64ELj8EENSt9enable_ifIXsr10test_utilsE35device_test_enabled_for_warp_size_vIXT1_EEEvE4typeEPT_S5_S5_S4_
; %bb.0:
	s_clause 0x2
	s_load_b32 s2, s[0:1], 0x2c
	s_load_b128 s[4:7], s[0:1], 0x0
	s_load_b32 s3, s[0:1], 0x18
	s_waitcnt lgkmcnt(0)
	s_and_b32 s2, s2, 0xffff
	s_delay_alu instid0(SALU_CYCLE_1) | instskip(SKIP_2) | instid1(VALU_DEP_2)
	v_mad_u64_u32 v[1:2], null, s15, s2, v[0:1]
	v_mov_b32_e32 v2, 0
	v_and_b32_e32 v0, 7, v0
	v_lshlrev_b64 v[3:4], 1, v[1:2]
	s_delay_alu instid0(VALU_DEP_1) | instskip(NEXT) | instid1(VALU_DEP_2)
	v_add_co_u32 v5, vcc_lo, s4, v3
	v_add_co_ci_u32_e32 v6, vcc_lo, s5, v4, vcc_lo
	global_load_u16 v2, v[5:6], off
	v_mbcnt_lo_u32_b32 v6, -1, 0
	s_delay_alu instid0(VALU_DEP_1) | instskip(SKIP_2) | instid1(VALU_DEP_3)
	v_and_b32_e32 v7, 7, v6
	v_and_b32_e32 v8, 24, v6
	v_add_nc_u32_e32 v9, -1, v6
	v_cmp_eq_u32_e32 vcc_lo, 0, v7
	v_cmp_lt_u32_e64 s2, 1, v7
	s_waitcnt vmcnt(0)
	v_and_b32_e32 v5, 0xffff, v2
	s_delay_alu instid0(VALU_DEP_1) | instskip(NEXT) | instid1(VALU_DEP_1)
	v_mov_b32_dpp v5, v5 row_shr:1 row_mask:0xf bank_mask:0xf
	v_add_f16_e32 v5, v2, v5
	s_delay_alu instid0(VALU_DEP_1) | instskip(NEXT) | instid1(VALU_DEP_1)
	v_cndmask_b32_e32 v2, v5, v2, vcc_lo
	v_and_b32_e32 v5, 0xffff, v2
	s_delay_alu instid0(VALU_DEP_1) | instskip(NEXT) | instid1(VALU_DEP_1)
	v_mov_b32_dpp v5, v5 row_shr:2 row_mask:0xf bank_mask:0xf
	v_add_f16_e32 v5, v2, v5
	s_delay_alu instid0(VALU_DEP_1) | instskip(SKIP_1) | instid1(VALU_DEP_2)
	v_cndmask_b32_e64 v2, v2, v5, s2
	v_cmp_lt_u32_e64 s2, 3, v7
	v_and_b32_e32 v5, 0xffff, v2
	s_delay_alu instid0(VALU_DEP_1) | instskip(NEXT) | instid1(VALU_DEP_1)
	v_mov_b32_dpp v5, v5 row_shr:4 row_mask:0xf bank_mask:0xf
	v_add_f16_e32 v5, v2, v5
	s_delay_alu instid0(VALU_DEP_1) | instskip(SKIP_1) | instid1(VALU_DEP_2)
	v_cndmask_b32_e64 v2, v2, v5, s2
	v_cmp_lt_i32_e64 s2, v9, v8
	v_add_f16_e32 v7, s3, v2
	s_delay_alu instid0(VALU_DEP_2)
	v_cndmask_b32_e64 v5, v9, v6, s2
	v_lshl_or_b32 v6, v6, 2, 28
	v_and_b32_e32 v2, 0xffff, v2
	s_mov_b32 s2, exec_lo
	v_and_b32_e32 v7, 0xffff, v7
	v_lshlrev_b32_e32 v5, 2, v5
	ds_bpermute_b32 v2, v6, v2
	ds_bpermute_b32 v5, v5, v7
	s_waitcnt lgkmcnt(0)
	v_cndmask_b32_e64 v5, v5, s3, vcc_lo
	v_add_co_u32 v3, vcc_lo, s6, v3
	v_add_co_ci_u32_e32 v4, vcc_lo, s7, v4, vcc_lo
	global_store_b16 v[3:4], v5, off
	v_cmpx_eq_u32_e32 0, v0
	s_cbranch_execz .LBB201_2
; %bb.1:
	s_load_b64 s[0:1], s[0:1], 0x10
	v_lshrrev_b32_e32 v0, 2, v1
	s_delay_alu instid0(VALU_DEP_1)
	v_and_b32_e32 v0, 0x3ffffffe, v0
	s_waitcnt lgkmcnt(0)
	global_store_b16 v0, v2, s[0:1]
.LBB201_2:
	s_nop 0
	s_sendmsg sendmsg(MSG_DEALLOC_VGPRS)
	s_endpgm
	.section	.rodata,"a",@progbits
	.p2align	6, 0x0
	.amdhsa_kernel _Z33warp_exclusive_scan_reduce_kernelI6__halfLj64ELj8EENSt9enable_ifIXsr10test_utilsE35device_test_enabled_for_warp_size_vIXT1_EEEvE4typeEPT_S5_S5_S4_
		.amdhsa_group_segment_fixed_size 0
		.amdhsa_private_segment_fixed_size 0
		.amdhsa_kernarg_size 288
		.amdhsa_user_sgpr_count 15
		.amdhsa_user_sgpr_dispatch_ptr 0
		.amdhsa_user_sgpr_queue_ptr 0
		.amdhsa_user_sgpr_kernarg_segment_ptr 1
		.amdhsa_user_sgpr_dispatch_id 0
		.amdhsa_user_sgpr_private_segment_size 0
		.amdhsa_wavefront_size32 1
		.amdhsa_uses_dynamic_stack 0
		.amdhsa_enable_private_segment 0
		.amdhsa_system_sgpr_workgroup_id_x 1
		.amdhsa_system_sgpr_workgroup_id_y 0
		.amdhsa_system_sgpr_workgroup_id_z 0
		.amdhsa_system_sgpr_workgroup_info 0
		.amdhsa_system_vgpr_workitem_id 0
		.amdhsa_next_free_vgpr 10
		.amdhsa_next_free_sgpr 16
		.amdhsa_reserve_vcc 1
		.amdhsa_float_round_mode_32 0
		.amdhsa_float_round_mode_16_64 0
		.amdhsa_float_denorm_mode_32 3
		.amdhsa_float_denorm_mode_16_64 3
		.amdhsa_dx10_clamp 1
		.amdhsa_ieee_mode 1
		.amdhsa_fp16_overflow 0
		.amdhsa_workgroup_processor_mode 1
		.amdhsa_memory_ordered 1
		.amdhsa_forward_progress 0
		.amdhsa_shared_vgpr_count 0
		.amdhsa_exception_fp_ieee_invalid_op 0
		.amdhsa_exception_fp_denorm_src 0
		.amdhsa_exception_fp_ieee_div_zero 0
		.amdhsa_exception_fp_ieee_overflow 0
		.amdhsa_exception_fp_ieee_underflow 0
		.amdhsa_exception_fp_ieee_inexact 0
		.amdhsa_exception_int_div_zero 0
	.end_amdhsa_kernel
	.section	.text._Z33warp_exclusive_scan_reduce_kernelI6__halfLj64ELj8EENSt9enable_ifIXsr10test_utilsE35device_test_enabled_for_warp_size_vIXT1_EEEvE4typeEPT_S5_S5_S4_,"axG",@progbits,_Z33warp_exclusive_scan_reduce_kernelI6__halfLj64ELj8EENSt9enable_ifIXsr10test_utilsE35device_test_enabled_for_warp_size_vIXT1_EEEvE4typeEPT_S5_S5_S4_,comdat
.Lfunc_end201:
	.size	_Z33warp_exclusive_scan_reduce_kernelI6__halfLj64ELj8EENSt9enable_ifIXsr10test_utilsE35device_test_enabled_for_warp_size_vIXT1_EEEvE4typeEPT_S5_S5_S4_, .Lfunc_end201-_Z33warp_exclusive_scan_reduce_kernelI6__halfLj64ELj8EENSt9enable_ifIXsr10test_utilsE35device_test_enabled_for_warp_size_vIXT1_EEEvE4typeEPT_S5_S5_S4_
                                        ; -- End function
	.section	.AMDGPU.csdata,"",@progbits
; Kernel info:
; codeLenInByte = 404
; NumSgprs: 18
; NumVgprs: 10
; ScratchSize: 0
; MemoryBound: 0
; FloatMode: 240
; IeeeMode: 1
; LDSByteSize: 0 bytes/workgroup (compile time only)
; SGPRBlocks: 2
; VGPRBlocks: 1
; NumSGPRsForWavesPerEU: 18
; NumVGPRsForWavesPerEU: 10
; Occupancy: 16
; WaveLimiterHint : 0
; COMPUTE_PGM_RSRC2:SCRATCH_EN: 0
; COMPUTE_PGM_RSRC2:USER_SGPR: 15
; COMPUTE_PGM_RSRC2:TRAP_HANDLER: 0
; COMPUTE_PGM_RSRC2:TGID_X_EN: 1
; COMPUTE_PGM_RSRC2:TGID_Y_EN: 0
; COMPUTE_PGM_RSRC2:TGID_Z_EN: 0
; COMPUTE_PGM_RSRC2:TIDIG_COMP_CNT: 0
	.section	.text._Z33warp_exclusive_scan_reduce_kernelI6__halfLj32ELj4EENSt9enable_ifIXsr10test_utilsE35device_test_enabled_for_warp_size_vIXT1_EEEvE4typeEPT_S5_S5_S4_,"axG",@progbits,_Z33warp_exclusive_scan_reduce_kernelI6__halfLj32ELj4EENSt9enable_ifIXsr10test_utilsE35device_test_enabled_for_warp_size_vIXT1_EEEvE4typeEPT_S5_S5_S4_,comdat
	.protected	_Z33warp_exclusive_scan_reduce_kernelI6__halfLj32ELj4EENSt9enable_ifIXsr10test_utilsE35device_test_enabled_for_warp_size_vIXT1_EEEvE4typeEPT_S5_S5_S4_ ; -- Begin function _Z33warp_exclusive_scan_reduce_kernelI6__halfLj32ELj4EENSt9enable_ifIXsr10test_utilsE35device_test_enabled_for_warp_size_vIXT1_EEEvE4typeEPT_S5_S5_S4_
	.globl	_Z33warp_exclusive_scan_reduce_kernelI6__halfLj32ELj4EENSt9enable_ifIXsr10test_utilsE35device_test_enabled_for_warp_size_vIXT1_EEEvE4typeEPT_S5_S5_S4_
	.p2align	8
	.type	_Z33warp_exclusive_scan_reduce_kernelI6__halfLj32ELj4EENSt9enable_ifIXsr10test_utilsE35device_test_enabled_for_warp_size_vIXT1_EEEvE4typeEPT_S5_S5_S4_,@function
_Z33warp_exclusive_scan_reduce_kernelI6__halfLj32ELj4EENSt9enable_ifIXsr10test_utilsE35device_test_enabled_for_warp_size_vIXT1_EEEvE4typeEPT_S5_S5_S4_: ; @_Z33warp_exclusive_scan_reduce_kernelI6__halfLj32ELj4EENSt9enable_ifIXsr10test_utilsE35device_test_enabled_for_warp_size_vIXT1_EEEvE4typeEPT_S5_S5_S4_
; %bb.0:
	s_clause 0x2
	s_load_b32 s2, s[0:1], 0x2c
	s_load_b128 s[4:7], s[0:1], 0x0
	s_load_b32 s3, s[0:1], 0x18
	s_waitcnt lgkmcnt(0)
	s_and_b32 s2, s2, 0xffff
	s_delay_alu instid0(SALU_CYCLE_1) | instskip(SKIP_2) | instid1(VALU_DEP_2)
	v_mad_u64_u32 v[1:2], null, s15, s2, v[0:1]
	v_mov_b32_e32 v2, 0
	v_and_b32_e32 v0, 3, v0
	v_lshlrev_b64 v[3:4], 1, v[1:2]
	s_delay_alu instid0(VALU_DEP_1) | instskip(NEXT) | instid1(VALU_DEP_2)
	v_add_co_u32 v5, vcc_lo, s4, v3
	v_add_co_ci_u32_e32 v6, vcc_lo, s5, v4, vcc_lo
	global_load_u16 v2, v[5:6], off
	v_mbcnt_lo_u32_b32 v6, -1, 0
	s_delay_alu instid0(VALU_DEP_1) | instskip(SKIP_2) | instid1(VALU_DEP_3)
	v_and_b32_e32 v7, 3, v6
	v_and_b32_e32 v8, 28, v6
	v_add_nc_u32_e32 v9, -1, v6
	v_cmp_eq_u32_e32 vcc_lo, 0, v7
	v_cmp_lt_u32_e64 s2, 1, v7
	s_waitcnt vmcnt(0)
	v_and_b32_e32 v5, 0xffff, v2
	s_delay_alu instid0(VALU_DEP_1) | instskip(NEXT) | instid1(VALU_DEP_1)
	v_mov_b32_dpp v5, v5 row_shr:1 row_mask:0xf bank_mask:0xf
	v_add_f16_e32 v5, v2, v5
	s_delay_alu instid0(VALU_DEP_1) | instskip(NEXT) | instid1(VALU_DEP_1)
	v_cndmask_b32_e32 v2, v5, v2, vcc_lo
	v_and_b32_e32 v5, 0xffff, v2
	s_delay_alu instid0(VALU_DEP_1) | instskip(NEXT) | instid1(VALU_DEP_1)
	v_mov_b32_dpp v5, v5 row_shr:2 row_mask:0xf bank_mask:0xf
	v_add_f16_e32 v5, v2, v5
	s_delay_alu instid0(VALU_DEP_1) | instskip(SKIP_1) | instid1(VALU_DEP_2)
	v_cndmask_b32_e64 v2, v2, v5, s2
	v_cmp_lt_i32_e64 s2, v9, v8
	v_add_f16_e32 v7, s3, v2
	s_delay_alu instid0(VALU_DEP_2)
	v_cndmask_b32_e64 v5, v9, v6, s2
	v_lshl_or_b32 v6, v6, 2, 12
	v_and_b32_e32 v2, 0xffff, v2
	s_mov_b32 s2, exec_lo
	v_and_b32_e32 v7, 0xffff, v7
	v_lshlrev_b32_e32 v5, 2, v5
	ds_bpermute_b32 v2, v6, v2
	ds_bpermute_b32 v5, v5, v7
	s_waitcnt lgkmcnt(0)
	v_cndmask_b32_e64 v5, v5, s3, vcc_lo
	v_add_co_u32 v3, vcc_lo, s6, v3
	v_add_co_ci_u32_e32 v4, vcc_lo, s7, v4, vcc_lo
	global_store_b16 v[3:4], v5, off
	v_cmpx_eq_u32_e32 0, v0
	s_cbranch_execz .LBB202_2
; %bb.1:
	s_load_b64 s[0:1], s[0:1], 0x10
	v_lshrrev_b32_e32 v0, 1, v1
	s_delay_alu instid0(VALU_DEP_1)
	v_and_b32_e32 v0, 0x7ffffffe, v0
	s_waitcnt lgkmcnt(0)
	global_store_b16 v0, v2, s[0:1]
.LBB202_2:
	s_nop 0
	s_sendmsg sendmsg(MSG_DEALLOC_VGPRS)
	s_endpgm
	.section	.rodata,"a",@progbits
	.p2align	6, 0x0
	.amdhsa_kernel _Z33warp_exclusive_scan_reduce_kernelI6__halfLj32ELj4EENSt9enable_ifIXsr10test_utilsE35device_test_enabled_for_warp_size_vIXT1_EEEvE4typeEPT_S5_S5_S4_
		.amdhsa_group_segment_fixed_size 0
		.amdhsa_private_segment_fixed_size 0
		.amdhsa_kernarg_size 288
		.amdhsa_user_sgpr_count 15
		.amdhsa_user_sgpr_dispatch_ptr 0
		.amdhsa_user_sgpr_queue_ptr 0
		.amdhsa_user_sgpr_kernarg_segment_ptr 1
		.amdhsa_user_sgpr_dispatch_id 0
		.amdhsa_user_sgpr_private_segment_size 0
		.amdhsa_wavefront_size32 1
		.amdhsa_uses_dynamic_stack 0
		.amdhsa_enable_private_segment 0
		.amdhsa_system_sgpr_workgroup_id_x 1
		.amdhsa_system_sgpr_workgroup_id_y 0
		.amdhsa_system_sgpr_workgroup_id_z 0
		.amdhsa_system_sgpr_workgroup_info 0
		.amdhsa_system_vgpr_workitem_id 0
		.amdhsa_next_free_vgpr 10
		.amdhsa_next_free_sgpr 16
		.amdhsa_reserve_vcc 1
		.amdhsa_float_round_mode_32 0
		.amdhsa_float_round_mode_16_64 0
		.amdhsa_float_denorm_mode_32 3
		.amdhsa_float_denorm_mode_16_64 3
		.amdhsa_dx10_clamp 1
		.amdhsa_ieee_mode 1
		.amdhsa_fp16_overflow 0
		.amdhsa_workgroup_processor_mode 1
		.amdhsa_memory_ordered 1
		.amdhsa_forward_progress 0
		.amdhsa_shared_vgpr_count 0
		.amdhsa_exception_fp_ieee_invalid_op 0
		.amdhsa_exception_fp_denorm_src 0
		.amdhsa_exception_fp_ieee_div_zero 0
		.amdhsa_exception_fp_ieee_overflow 0
		.amdhsa_exception_fp_ieee_underflow 0
		.amdhsa_exception_fp_ieee_inexact 0
		.amdhsa_exception_int_div_zero 0
	.end_amdhsa_kernel
	.section	.text._Z33warp_exclusive_scan_reduce_kernelI6__halfLj32ELj4EENSt9enable_ifIXsr10test_utilsE35device_test_enabled_for_warp_size_vIXT1_EEEvE4typeEPT_S5_S5_S4_,"axG",@progbits,_Z33warp_exclusive_scan_reduce_kernelI6__halfLj32ELj4EENSt9enable_ifIXsr10test_utilsE35device_test_enabled_for_warp_size_vIXT1_EEEvE4typeEPT_S5_S5_S4_,comdat
.Lfunc_end202:
	.size	_Z33warp_exclusive_scan_reduce_kernelI6__halfLj32ELj4EENSt9enable_ifIXsr10test_utilsE35device_test_enabled_for_warp_size_vIXT1_EEEvE4typeEPT_S5_S5_S4_, .Lfunc_end202-_Z33warp_exclusive_scan_reduce_kernelI6__halfLj32ELj4EENSt9enable_ifIXsr10test_utilsE35device_test_enabled_for_warp_size_vIXT1_EEEvE4typeEPT_S5_S5_S4_
                                        ; -- End function
	.section	.AMDGPU.csdata,"",@progbits
; Kernel info:
; codeLenInByte = 360
; NumSgprs: 18
; NumVgprs: 10
; ScratchSize: 0
; MemoryBound: 0
; FloatMode: 240
; IeeeMode: 1
; LDSByteSize: 0 bytes/workgroup (compile time only)
; SGPRBlocks: 2
; VGPRBlocks: 1
; NumSGPRsForWavesPerEU: 18
; NumVGPRsForWavesPerEU: 10
; Occupancy: 16
; WaveLimiterHint : 0
; COMPUTE_PGM_RSRC2:SCRATCH_EN: 0
; COMPUTE_PGM_RSRC2:USER_SGPR: 15
; COMPUTE_PGM_RSRC2:TRAP_HANDLER: 0
; COMPUTE_PGM_RSRC2:TGID_X_EN: 1
; COMPUTE_PGM_RSRC2:TGID_Y_EN: 0
; COMPUTE_PGM_RSRC2:TGID_Z_EN: 0
; COMPUTE_PGM_RSRC2:TIDIG_COMP_CNT: 0
	.section	.text._Z33warp_exclusive_scan_reduce_kernelI6__halfLj64ELj4EENSt9enable_ifIXsr10test_utilsE35device_test_enabled_for_warp_size_vIXT1_EEEvE4typeEPT_S5_S5_S4_,"axG",@progbits,_Z33warp_exclusive_scan_reduce_kernelI6__halfLj64ELj4EENSt9enable_ifIXsr10test_utilsE35device_test_enabled_for_warp_size_vIXT1_EEEvE4typeEPT_S5_S5_S4_,comdat
	.protected	_Z33warp_exclusive_scan_reduce_kernelI6__halfLj64ELj4EENSt9enable_ifIXsr10test_utilsE35device_test_enabled_for_warp_size_vIXT1_EEEvE4typeEPT_S5_S5_S4_ ; -- Begin function _Z33warp_exclusive_scan_reduce_kernelI6__halfLj64ELj4EENSt9enable_ifIXsr10test_utilsE35device_test_enabled_for_warp_size_vIXT1_EEEvE4typeEPT_S5_S5_S4_
	.globl	_Z33warp_exclusive_scan_reduce_kernelI6__halfLj64ELj4EENSt9enable_ifIXsr10test_utilsE35device_test_enabled_for_warp_size_vIXT1_EEEvE4typeEPT_S5_S5_S4_
	.p2align	8
	.type	_Z33warp_exclusive_scan_reduce_kernelI6__halfLj64ELj4EENSt9enable_ifIXsr10test_utilsE35device_test_enabled_for_warp_size_vIXT1_EEEvE4typeEPT_S5_S5_S4_,@function
_Z33warp_exclusive_scan_reduce_kernelI6__halfLj64ELj4EENSt9enable_ifIXsr10test_utilsE35device_test_enabled_for_warp_size_vIXT1_EEEvE4typeEPT_S5_S5_S4_: ; @_Z33warp_exclusive_scan_reduce_kernelI6__halfLj64ELj4EENSt9enable_ifIXsr10test_utilsE35device_test_enabled_for_warp_size_vIXT1_EEEvE4typeEPT_S5_S5_S4_
; %bb.0:
	s_clause 0x2
	s_load_b32 s2, s[0:1], 0x2c
	s_load_b128 s[4:7], s[0:1], 0x0
	s_load_b32 s3, s[0:1], 0x18
	s_waitcnt lgkmcnt(0)
	s_and_b32 s2, s2, 0xffff
	s_delay_alu instid0(SALU_CYCLE_1) | instskip(SKIP_2) | instid1(VALU_DEP_2)
	v_mad_u64_u32 v[1:2], null, s15, s2, v[0:1]
	v_mov_b32_e32 v2, 0
	v_and_b32_e32 v0, 3, v0
	v_lshlrev_b64 v[3:4], 1, v[1:2]
	s_delay_alu instid0(VALU_DEP_1) | instskip(NEXT) | instid1(VALU_DEP_2)
	v_add_co_u32 v5, vcc_lo, s4, v3
	v_add_co_ci_u32_e32 v6, vcc_lo, s5, v4, vcc_lo
	global_load_u16 v2, v[5:6], off
	v_mbcnt_lo_u32_b32 v6, -1, 0
	s_delay_alu instid0(VALU_DEP_1) | instskip(SKIP_2) | instid1(VALU_DEP_3)
	v_and_b32_e32 v7, 3, v6
	v_and_b32_e32 v8, 28, v6
	v_add_nc_u32_e32 v9, -1, v6
	v_cmp_eq_u32_e32 vcc_lo, 0, v7
	v_cmp_lt_u32_e64 s2, 1, v7
	s_waitcnt vmcnt(0)
	v_and_b32_e32 v5, 0xffff, v2
	s_delay_alu instid0(VALU_DEP_1) | instskip(NEXT) | instid1(VALU_DEP_1)
	v_mov_b32_dpp v5, v5 row_shr:1 row_mask:0xf bank_mask:0xf
	v_add_f16_e32 v5, v2, v5
	s_delay_alu instid0(VALU_DEP_1) | instskip(NEXT) | instid1(VALU_DEP_1)
	v_cndmask_b32_e32 v2, v5, v2, vcc_lo
	v_and_b32_e32 v5, 0xffff, v2
	s_delay_alu instid0(VALU_DEP_1) | instskip(NEXT) | instid1(VALU_DEP_1)
	v_mov_b32_dpp v5, v5 row_shr:2 row_mask:0xf bank_mask:0xf
	v_add_f16_e32 v5, v2, v5
	s_delay_alu instid0(VALU_DEP_1) | instskip(SKIP_1) | instid1(VALU_DEP_2)
	v_cndmask_b32_e64 v2, v2, v5, s2
	v_cmp_lt_i32_e64 s2, v9, v8
	v_add_f16_e32 v7, s3, v2
	s_delay_alu instid0(VALU_DEP_2)
	v_cndmask_b32_e64 v5, v9, v6, s2
	v_lshl_or_b32 v6, v6, 2, 12
	v_and_b32_e32 v2, 0xffff, v2
	s_mov_b32 s2, exec_lo
	v_and_b32_e32 v7, 0xffff, v7
	v_lshlrev_b32_e32 v5, 2, v5
	ds_bpermute_b32 v2, v6, v2
	ds_bpermute_b32 v5, v5, v7
	s_waitcnt lgkmcnt(0)
	v_cndmask_b32_e64 v5, v5, s3, vcc_lo
	v_add_co_u32 v3, vcc_lo, s6, v3
	v_add_co_ci_u32_e32 v4, vcc_lo, s7, v4, vcc_lo
	global_store_b16 v[3:4], v5, off
	v_cmpx_eq_u32_e32 0, v0
	s_cbranch_execz .LBB203_2
; %bb.1:
	s_load_b64 s[0:1], s[0:1], 0x10
	v_lshrrev_b32_e32 v0, 1, v1
	s_delay_alu instid0(VALU_DEP_1)
	v_and_b32_e32 v0, 0x7ffffffe, v0
	s_waitcnt lgkmcnt(0)
	global_store_b16 v0, v2, s[0:1]
.LBB203_2:
	s_nop 0
	s_sendmsg sendmsg(MSG_DEALLOC_VGPRS)
	s_endpgm
	.section	.rodata,"a",@progbits
	.p2align	6, 0x0
	.amdhsa_kernel _Z33warp_exclusive_scan_reduce_kernelI6__halfLj64ELj4EENSt9enable_ifIXsr10test_utilsE35device_test_enabled_for_warp_size_vIXT1_EEEvE4typeEPT_S5_S5_S4_
		.amdhsa_group_segment_fixed_size 0
		.amdhsa_private_segment_fixed_size 0
		.amdhsa_kernarg_size 288
		.amdhsa_user_sgpr_count 15
		.amdhsa_user_sgpr_dispatch_ptr 0
		.amdhsa_user_sgpr_queue_ptr 0
		.amdhsa_user_sgpr_kernarg_segment_ptr 1
		.amdhsa_user_sgpr_dispatch_id 0
		.amdhsa_user_sgpr_private_segment_size 0
		.amdhsa_wavefront_size32 1
		.amdhsa_uses_dynamic_stack 0
		.amdhsa_enable_private_segment 0
		.amdhsa_system_sgpr_workgroup_id_x 1
		.amdhsa_system_sgpr_workgroup_id_y 0
		.amdhsa_system_sgpr_workgroup_id_z 0
		.amdhsa_system_sgpr_workgroup_info 0
		.amdhsa_system_vgpr_workitem_id 0
		.amdhsa_next_free_vgpr 10
		.amdhsa_next_free_sgpr 16
		.amdhsa_reserve_vcc 1
		.amdhsa_float_round_mode_32 0
		.amdhsa_float_round_mode_16_64 0
		.amdhsa_float_denorm_mode_32 3
		.amdhsa_float_denorm_mode_16_64 3
		.amdhsa_dx10_clamp 1
		.amdhsa_ieee_mode 1
		.amdhsa_fp16_overflow 0
		.amdhsa_workgroup_processor_mode 1
		.amdhsa_memory_ordered 1
		.amdhsa_forward_progress 0
		.amdhsa_shared_vgpr_count 0
		.amdhsa_exception_fp_ieee_invalid_op 0
		.amdhsa_exception_fp_denorm_src 0
		.amdhsa_exception_fp_ieee_div_zero 0
		.amdhsa_exception_fp_ieee_overflow 0
		.amdhsa_exception_fp_ieee_underflow 0
		.amdhsa_exception_fp_ieee_inexact 0
		.amdhsa_exception_int_div_zero 0
	.end_amdhsa_kernel
	.section	.text._Z33warp_exclusive_scan_reduce_kernelI6__halfLj64ELj4EENSt9enable_ifIXsr10test_utilsE35device_test_enabled_for_warp_size_vIXT1_EEEvE4typeEPT_S5_S5_S4_,"axG",@progbits,_Z33warp_exclusive_scan_reduce_kernelI6__halfLj64ELj4EENSt9enable_ifIXsr10test_utilsE35device_test_enabled_for_warp_size_vIXT1_EEEvE4typeEPT_S5_S5_S4_,comdat
.Lfunc_end203:
	.size	_Z33warp_exclusive_scan_reduce_kernelI6__halfLj64ELj4EENSt9enable_ifIXsr10test_utilsE35device_test_enabled_for_warp_size_vIXT1_EEEvE4typeEPT_S5_S5_S4_, .Lfunc_end203-_Z33warp_exclusive_scan_reduce_kernelI6__halfLj64ELj4EENSt9enable_ifIXsr10test_utilsE35device_test_enabled_for_warp_size_vIXT1_EEEvE4typeEPT_S5_S5_S4_
                                        ; -- End function
	.section	.AMDGPU.csdata,"",@progbits
; Kernel info:
; codeLenInByte = 360
; NumSgprs: 18
; NumVgprs: 10
; ScratchSize: 0
; MemoryBound: 0
; FloatMode: 240
; IeeeMode: 1
; LDSByteSize: 0 bytes/workgroup (compile time only)
; SGPRBlocks: 2
; VGPRBlocks: 1
; NumSGPRsForWavesPerEU: 18
; NumVGPRsForWavesPerEU: 10
; Occupancy: 16
; WaveLimiterHint : 0
; COMPUTE_PGM_RSRC2:SCRATCH_EN: 0
; COMPUTE_PGM_RSRC2:USER_SGPR: 15
; COMPUTE_PGM_RSRC2:TRAP_HANDLER: 0
; COMPUTE_PGM_RSRC2:TGID_X_EN: 1
; COMPUTE_PGM_RSRC2:TGID_Y_EN: 0
; COMPUTE_PGM_RSRC2:TGID_Z_EN: 0
; COMPUTE_PGM_RSRC2:TIDIG_COMP_CNT: 0
	.section	.text._Z33warp_exclusive_scan_reduce_kernelI6__halfLj32ELj2EENSt9enable_ifIXsr10test_utilsE35device_test_enabled_for_warp_size_vIXT1_EEEvE4typeEPT_S5_S5_S4_,"axG",@progbits,_Z33warp_exclusive_scan_reduce_kernelI6__halfLj32ELj2EENSt9enable_ifIXsr10test_utilsE35device_test_enabled_for_warp_size_vIXT1_EEEvE4typeEPT_S5_S5_S4_,comdat
	.protected	_Z33warp_exclusive_scan_reduce_kernelI6__halfLj32ELj2EENSt9enable_ifIXsr10test_utilsE35device_test_enabled_for_warp_size_vIXT1_EEEvE4typeEPT_S5_S5_S4_ ; -- Begin function _Z33warp_exclusive_scan_reduce_kernelI6__halfLj32ELj2EENSt9enable_ifIXsr10test_utilsE35device_test_enabled_for_warp_size_vIXT1_EEEvE4typeEPT_S5_S5_S4_
	.globl	_Z33warp_exclusive_scan_reduce_kernelI6__halfLj32ELj2EENSt9enable_ifIXsr10test_utilsE35device_test_enabled_for_warp_size_vIXT1_EEEvE4typeEPT_S5_S5_S4_
	.p2align	8
	.type	_Z33warp_exclusive_scan_reduce_kernelI6__halfLj32ELj2EENSt9enable_ifIXsr10test_utilsE35device_test_enabled_for_warp_size_vIXT1_EEEvE4typeEPT_S5_S5_S4_,@function
_Z33warp_exclusive_scan_reduce_kernelI6__halfLj32ELj2EENSt9enable_ifIXsr10test_utilsE35device_test_enabled_for_warp_size_vIXT1_EEEvE4typeEPT_S5_S5_S4_: ; @_Z33warp_exclusive_scan_reduce_kernelI6__halfLj32ELj2EENSt9enable_ifIXsr10test_utilsE35device_test_enabled_for_warp_size_vIXT1_EEEvE4typeEPT_S5_S5_S4_
; %bb.0:
	s_clause 0x2
	s_load_b32 s2, s[0:1], 0x2c
	s_load_b128 s[4:7], s[0:1], 0x0
	s_load_b32 s3, s[0:1], 0x18
	s_waitcnt lgkmcnt(0)
	s_and_b32 s2, s2, 0xffff
	s_delay_alu instid0(SALU_CYCLE_1) | instskip(SKIP_2) | instid1(VALU_DEP_2)
	v_mad_u64_u32 v[1:2], null, s15, s2, v[0:1]
	v_mov_b32_e32 v2, 0
	v_and_b32_e32 v0, 1, v0
	v_lshlrev_b64 v[3:4], 1, v[1:2]
	s_delay_alu instid0(VALU_DEP_1) | instskip(NEXT) | instid1(VALU_DEP_2)
	v_add_co_u32 v5, vcc_lo, s4, v3
	v_add_co_ci_u32_e32 v6, vcc_lo, s5, v4, vcc_lo
	global_load_u16 v2, v[5:6], off
	v_mbcnt_lo_u32_b32 v6, -1, 0
	s_delay_alu instid0(VALU_DEP_1) | instskip(SKIP_2) | instid1(VALU_DEP_3)
	v_and_b32_e32 v7, 1, v6
	v_and_b32_e32 v8, 30, v6
	v_add_nc_u32_e32 v9, -1, v6
	v_cmp_eq_u32_e32 vcc_lo, 0, v7
	s_delay_alu instid0(VALU_DEP_2) | instskip(SKIP_2) | instid1(VALU_DEP_1)
	v_cmp_lt_i32_e64 s2, v9, v8
	s_waitcnt vmcnt(0)
	v_and_b32_e32 v5, 0xffff, v2
	v_mov_b32_dpp v5, v5 row_shr:1 row_mask:0xf bank_mask:0xf
	s_delay_alu instid0(VALU_DEP_1) | instskip(NEXT) | instid1(VALU_DEP_1)
	v_add_f16_e32 v5, v2, v5
	v_cndmask_b32_e32 v2, v5, v2, vcc_lo
	v_cndmask_b32_e64 v5, v9, v6, s2
	v_lshl_or_b32 v6, v6, 2, 4
	s_mov_b32 s2, exec_lo
	s_delay_alu instid0(VALU_DEP_2) | instskip(SKIP_2) | instid1(VALU_DEP_2)
	v_lshlrev_b32_e32 v5, 2, v5
	v_add_f16_e32 v7, s3, v2
	v_and_b32_e32 v2, 0xffff, v2
	v_and_b32_e32 v7, 0xffff, v7
	ds_bpermute_b32 v2, v6, v2
	ds_bpermute_b32 v5, v5, v7
	s_waitcnt lgkmcnt(0)
	v_cndmask_b32_e64 v5, v5, s3, vcc_lo
	v_add_co_u32 v3, vcc_lo, s6, v3
	v_add_co_ci_u32_e32 v4, vcc_lo, s7, v4, vcc_lo
	global_store_b16 v[3:4], v5, off
	v_cmpx_eq_u32_e32 0, v0
	s_cbranch_execz .LBB204_2
; %bb.1:
	s_load_b64 s[0:1], s[0:1], 0x10
	v_and_b32_e32 v0, -2, v1
	s_waitcnt lgkmcnt(0)
	global_store_b16 v0, v2, s[0:1]
.LBB204_2:
	s_nop 0
	s_sendmsg sendmsg(MSG_DEALLOC_VGPRS)
	s_endpgm
	.section	.rodata,"a",@progbits
	.p2align	6, 0x0
	.amdhsa_kernel _Z33warp_exclusive_scan_reduce_kernelI6__halfLj32ELj2EENSt9enable_ifIXsr10test_utilsE35device_test_enabled_for_warp_size_vIXT1_EEEvE4typeEPT_S5_S5_S4_
		.amdhsa_group_segment_fixed_size 0
		.amdhsa_private_segment_fixed_size 0
		.amdhsa_kernarg_size 288
		.amdhsa_user_sgpr_count 15
		.amdhsa_user_sgpr_dispatch_ptr 0
		.amdhsa_user_sgpr_queue_ptr 0
		.amdhsa_user_sgpr_kernarg_segment_ptr 1
		.amdhsa_user_sgpr_dispatch_id 0
		.amdhsa_user_sgpr_private_segment_size 0
		.amdhsa_wavefront_size32 1
		.amdhsa_uses_dynamic_stack 0
		.amdhsa_enable_private_segment 0
		.amdhsa_system_sgpr_workgroup_id_x 1
		.amdhsa_system_sgpr_workgroup_id_y 0
		.amdhsa_system_sgpr_workgroup_id_z 0
		.amdhsa_system_sgpr_workgroup_info 0
		.amdhsa_system_vgpr_workitem_id 0
		.amdhsa_next_free_vgpr 10
		.amdhsa_next_free_sgpr 16
		.amdhsa_reserve_vcc 1
		.amdhsa_float_round_mode_32 0
		.amdhsa_float_round_mode_16_64 0
		.amdhsa_float_denorm_mode_32 3
		.amdhsa_float_denorm_mode_16_64 3
		.amdhsa_dx10_clamp 1
		.amdhsa_ieee_mode 1
		.amdhsa_fp16_overflow 0
		.amdhsa_workgroup_processor_mode 1
		.amdhsa_memory_ordered 1
		.amdhsa_forward_progress 0
		.amdhsa_shared_vgpr_count 0
		.amdhsa_exception_fp_ieee_invalid_op 0
		.amdhsa_exception_fp_denorm_src 0
		.amdhsa_exception_fp_ieee_div_zero 0
		.amdhsa_exception_fp_ieee_overflow 0
		.amdhsa_exception_fp_ieee_underflow 0
		.amdhsa_exception_fp_ieee_inexact 0
		.amdhsa_exception_int_div_zero 0
	.end_amdhsa_kernel
	.section	.text._Z33warp_exclusive_scan_reduce_kernelI6__halfLj32ELj2EENSt9enable_ifIXsr10test_utilsE35device_test_enabled_for_warp_size_vIXT1_EEEvE4typeEPT_S5_S5_S4_,"axG",@progbits,_Z33warp_exclusive_scan_reduce_kernelI6__halfLj32ELj2EENSt9enable_ifIXsr10test_utilsE35device_test_enabled_for_warp_size_vIXT1_EEEvE4typeEPT_S5_S5_S4_,comdat
.Lfunc_end204:
	.size	_Z33warp_exclusive_scan_reduce_kernelI6__halfLj32ELj2EENSt9enable_ifIXsr10test_utilsE35device_test_enabled_for_warp_size_vIXT1_EEEvE4typeEPT_S5_S5_S4_, .Lfunc_end204-_Z33warp_exclusive_scan_reduce_kernelI6__halfLj32ELj2EENSt9enable_ifIXsr10test_utilsE35device_test_enabled_for_warp_size_vIXT1_EEEvE4typeEPT_S5_S5_S4_
                                        ; -- End function
	.section	.AMDGPU.csdata,"",@progbits
; Kernel info:
; codeLenInByte = 304
; NumSgprs: 18
; NumVgprs: 10
; ScratchSize: 0
; MemoryBound: 0
; FloatMode: 240
; IeeeMode: 1
; LDSByteSize: 0 bytes/workgroup (compile time only)
; SGPRBlocks: 2
; VGPRBlocks: 1
; NumSGPRsForWavesPerEU: 18
; NumVGPRsForWavesPerEU: 10
; Occupancy: 16
; WaveLimiterHint : 0
; COMPUTE_PGM_RSRC2:SCRATCH_EN: 0
; COMPUTE_PGM_RSRC2:USER_SGPR: 15
; COMPUTE_PGM_RSRC2:TRAP_HANDLER: 0
; COMPUTE_PGM_RSRC2:TGID_X_EN: 1
; COMPUTE_PGM_RSRC2:TGID_Y_EN: 0
; COMPUTE_PGM_RSRC2:TGID_Z_EN: 0
; COMPUTE_PGM_RSRC2:TIDIG_COMP_CNT: 0
	.section	.text._Z33warp_exclusive_scan_reduce_kernelI6__halfLj64ELj2EENSt9enable_ifIXsr10test_utilsE35device_test_enabled_for_warp_size_vIXT1_EEEvE4typeEPT_S5_S5_S4_,"axG",@progbits,_Z33warp_exclusive_scan_reduce_kernelI6__halfLj64ELj2EENSt9enable_ifIXsr10test_utilsE35device_test_enabled_for_warp_size_vIXT1_EEEvE4typeEPT_S5_S5_S4_,comdat
	.protected	_Z33warp_exclusive_scan_reduce_kernelI6__halfLj64ELj2EENSt9enable_ifIXsr10test_utilsE35device_test_enabled_for_warp_size_vIXT1_EEEvE4typeEPT_S5_S5_S4_ ; -- Begin function _Z33warp_exclusive_scan_reduce_kernelI6__halfLj64ELj2EENSt9enable_ifIXsr10test_utilsE35device_test_enabled_for_warp_size_vIXT1_EEEvE4typeEPT_S5_S5_S4_
	.globl	_Z33warp_exclusive_scan_reduce_kernelI6__halfLj64ELj2EENSt9enable_ifIXsr10test_utilsE35device_test_enabled_for_warp_size_vIXT1_EEEvE4typeEPT_S5_S5_S4_
	.p2align	8
	.type	_Z33warp_exclusive_scan_reduce_kernelI6__halfLj64ELj2EENSt9enable_ifIXsr10test_utilsE35device_test_enabled_for_warp_size_vIXT1_EEEvE4typeEPT_S5_S5_S4_,@function
_Z33warp_exclusive_scan_reduce_kernelI6__halfLj64ELj2EENSt9enable_ifIXsr10test_utilsE35device_test_enabled_for_warp_size_vIXT1_EEEvE4typeEPT_S5_S5_S4_: ; @_Z33warp_exclusive_scan_reduce_kernelI6__halfLj64ELj2EENSt9enable_ifIXsr10test_utilsE35device_test_enabled_for_warp_size_vIXT1_EEEvE4typeEPT_S5_S5_S4_
; %bb.0:
	s_clause 0x2
	s_load_b32 s2, s[0:1], 0x2c
	s_load_b128 s[4:7], s[0:1], 0x0
	s_load_b32 s3, s[0:1], 0x18
	s_waitcnt lgkmcnt(0)
	s_and_b32 s2, s2, 0xffff
	s_delay_alu instid0(SALU_CYCLE_1) | instskip(SKIP_2) | instid1(VALU_DEP_2)
	v_mad_u64_u32 v[1:2], null, s15, s2, v[0:1]
	v_mov_b32_e32 v2, 0
	v_and_b32_e32 v0, 1, v0
	v_lshlrev_b64 v[3:4], 1, v[1:2]
	s_delay_alu instid0(VALU_DEP_1) | instskip(NEXT) | instid1(VALU_DEP_2)
	v_add_co_u32 v5, vcc_lo, s4, v3
	v_add_co_ci_u32_e32 v6, vcc_lo, s5, v4, vcc_lo
	global_load_u16 v2, v[5:6], off
	v_mbcnt_lo_u32_b32 v6, -1, 0
	s_delay_alu instid0(VALU_DEP_1) | instskip(SKIP_2) | instid1(VALU_DEP_3)
	v_and_b32_e32 v7, 1, v6
	v_and_b32_e32 v8, 30, v6
	v_add_nc_u32_e32 v9, -1, v6
	v_cmp_eq_u32_e32 vcc_lo, 0, v7
	s_delay_alu instid0(VALU_DEP_2) | instskip(SKIP_2) | instid1(VALU_DEP_1)
	v_cmp_lt_i32_e64 s2, v9, v8
	s_waitcnt vmcnt(0)
	v_and_b32_e32 v5, 0xffff, v2
	v_mov_b32_dpp v5, v5 row_shr:1 row_mask:0xf bank_mask:0xf
	s_delay_alu instid0(VALU_DEP_1) | instskip(NEXT) | instid1(VALU_DEP_1)
	v_add_f16_e32 v5, v2, v5
	v_cndmask_b32_e32 v2, v5, v2, vcc_lo
	v_cndmask_b32_e64 v5, v9, v6, s2
	v_lshl_or_b32 v6, v6, 2, 4
	s_mov_b32 s2, exec_lo
	s_delay_alu instid0(VALU_DEP_2) | instskip(SKIP_2) | instid1(VALU_DEP_2)
	v_lshlrev_b32_e32 v5, 2, v5
	v_add_f16_e32 v7, s3, v2
	v_and_b32_e32 v2, 0xffff, v2
	v_and_b32_e32 v7, 0xffff, v7
	ds_bpermute_b32 v2, v6, v2
	ds_bpermute_b32 v5, v5, v7
	s_waitcnt lgkmcnt(0)
	v_cndmask_b32_e64 v5, v5, s3, vcc_lo
	v_add_co_u32 v3, vcc_lo, s6, v3
	v_add_co_ci_u32_e32 v4, vcc_lo, s7, v4, vcc_lo
	global_store_b16 v[3:4], v5, off
	v_cmpx_eq_u32_e32 0, v0
	s_cbranch_execz .LBB205_2
; %bb.1:
	s_load_b64 s[0:1], s[0:1], 0x10
	v_and_b32_e32 v0, -2, v1
	s_waitcnt lgkmcnt(0)
	global_store_b16 v0, v2, s[0:1]
.LBB205_2:
	s_nop 0
	s_sendmsg sendmsg(MSG_DEALLOC_VGPRS)
	s_endpgm
	.section	.rodata,"a",@progbits
	.p2align	6, 0x0
	.amdhsa_kernel _Z33warp_exclusive_scan_reduce_kernelI6__halfLj64ELj2EENSt9enable_ifIXsr10test_utilsE35device_test_enabled_for_warp_size_vIXT1_EEEvE4typeEPT_S5_S5_S4_
		.amdhsa_group_segment_fixed_size 0
		.amdhsa_private_segment_fixed_size 0
		.amdhsa_kernarg_size 288
		.amdhsa_user_sgpr_count 15
		.amdhsa_user_sgpr_dispatch_ptr 0
		.amdhsa_user_sgpr_queue_ptr 0
		.amdhsa_user_sgpr_kernarg_segment_ptr 1
		.amdhsa_user_sgpr_dispatch_id 0
		.amdhsa_user_sgpr_private_segment_size 0
		.amdhsa_wavefront_size32 1
		.amdhsa_uses_dynamic_stack 0
		.amdhsa_enable_private_segment 0
		.amdhsa_system_sgpr_workgroup_id_x 1
		.amdhsa_system_sgpr_workgroup_id_y 0
		.amdhsa_system_sgpr_workgroup_id_z 0
		.amdhsa_system_sgpr_workgroup_info 0
		.amdhsa_system_vgpr_workitem_id 0
		.amdhsa_next_free_vgpr 10
		.amdhsa_next_free_sgpr 16
		.amdhsa_reserve_vcc 1
		.amdhsa_float_round_mode_32 0
		.amdhsa_float_round_mode_16_64 0
		.amdhsa_float_denorm_mode_32 3
		.amdhsa_float_denorm_mode_16_64 3
		.amdhsa_dx10_clamp 1
		.amdhsa_ieee_mode 1
		.amdhsa_fp16_overflow 0
		.amdhsa_workgroup_processor_mode 1
		.amdhsa_memory_ordered 1
		.amdhsa_forward_progress 0
		.amdhsa_shared_vgpr_count 0
		.amdhsa_exception_fp_ieee_invalid_op 0
		.amdhsa_exception_fp_denorm_src 0
		.amdhsa_exception_fp_ieee_div_zero 0
		.amdhsa_exception_fp_ieee_overflow 0
		.amdhsa_exception_fp_ieee_underflow 0
		.amdhsa_exception_fp_ieee_inexact 0
		.amdhsa_exception_int_div_zero 0
	.end_amdhsa_kernel
	.section	.text._Z33warp_exclusive_scan_reduce_kernelI6__halfLj64ELj2EENSt9enable_ifIXsr10test_utilsE35device_test_enabled_for_warp_size_vIXT1_EEEvE4typeEPT_S5_S5_S4_,"axG",@progbits,_Z33warp_exclusive_scan_reduce_kernelI6__halfLj64ELj2EENSt9enable_ifIXsr10test_utilsE35device_test_enabled_for_warp_size_vIXT1_EEEvE4typeEPT_S5_S5_S4_,comdat
.Lfunc_end205:
	.size	_Z33warp_exclusive_scan_reduce_kernelI6__halfLj64ELj2EENSt9enable_ifIXsr10test_utilsE35device_test_enabled_for_warp_size_vIXT1_EEEvE4typeEPT_S5_S5_S4_, .Lfunc_end205-_Z33warp_exclusive_scan_reduce_kernelI6__halfLj64ELj2EENSt9enable_ifIXsr10test_utilsE35device_test_enabled_for_warp_size_vIXT1_EEEvE4typeEPT_S5_S5_S4_
                                        ; -- End function
	.section	.AMDGPU.csdata,"",@progbits
; Kernel info:
; codeLenInByte = 304
; NumSgprs: 18
; NumVgprs: 10
; ScratchSize: 0
; MemoryBound: 0
; FloatMode: 240
; IeeeMode: 1
; LDSByteSize: 0 bytes/workgroup (compile time only)
; SGPRBlocks: 2
; VGPRBlocks: 1
; NumSGPRsForWavesPerEU: 18
; NumVGPRsForWavesPerEU: 10
; Occupancy: 16
; WaveLimiterHint : 0
; COMPUTE_PGM_RSRC2:SCRATCH_EN: 0
; COMPUTE_PGM_RSRC2:USER_SGPR: 15
; COMPUTE_PGM_RSRC2:TRAP_HANDLER: 0
; COMPUTE_PGM_RSRC2:TGID_X_EN: 1
; COMPUTE_PGM_RSRC2:TGID_Y_EN: 0
; COMPUTE_PGM_RSRC2:TGID_Z_EN: 0
; COMPUTE_PGM_RSRC2:TIDIG_COMP_CNT: 0
	.section	.text._Z33warp_exclusive_scan_reduce_kernelIfLj256ELj64EENSt9enable_ifIXntsr10test_utilsE35device_test_enabled_for_warp_size_vIXT1_EEEvE4typeEPT_S4_S4_S3_,"axG",@progbits,_Z33warp_exclusive_scan_reduce_kernelIfLj256ELj64EENSt9enable_ifIXntsr10test_utilsE35device_test_enabled_for_warp_size_vIXT1_EEEvE4typeEPT_S4_S4_S3_,comdat
	.protected	_Z33warp_exclusive_scan_reduce_kernelIfLj256ELj64EENSt9enable_ifIXntsr10test_utilsE35device_test_enabled_for_warp_size_vIXT1_EEEvE4typeEPT_S4_S4_S3_ ; -- Begin function _Z33warp_exclusive_scan_reduce_kernelIfLj256ELj64EENSt9enable_ifIXntsr10test_utilsE35device_test_enabled_for_warp_size_vIXT1_EEEvE4typeEPT_S4_S4_S3_
	.globl	_Z33warp_exclusive_scan_reduce_kernelIfLj256ELj64EENSt9enable_ifIXntsr10test_utilsE35device_test_enabled_for_warp_size_vIXT1_EEEvE4typeEPT_S4_S4_S3_
	.p2align	8
	.type	_Z33warp_exclusive_scan_reduce_kernelIfLj256ELj64EENSt9enable_ifIXntsr10test_utilsE35device_test_enabled_for_warp_size_vIXT1_EEEvE4typeEPT_S4_S4_S3_,@function
_Z33warp_exclusive_scan_reduce_kernelIfLj256ELj64EENSt9enable_ifIXntsr10test_utilsE35device_test_enabled_for_warp_size_vIXT1_EEEvE4typeEPT_S4_S4_S3_: ; @_Z33warp_exclusive_scan_reduce_kernelIfLj256ELj64EENSt9enable_ifIXntsr10test_utilsE35device_test_enabled_for_warp_size_vIXT1_EEEvE4typeEPT_S4_S4_S3_
; %bb.0:
	s_endpgm
	.section	.rodata,"a",@progbits
	.p2align	6, 0x0
	.amdhsa_kernel _Z33warp_exclusive_scan_reduce_kernelIfLj256ELj64EENSt9enable_ifIXntsr10test_utilsE35device_test_enabled_for_warp_size_vIXT1_EEEvE4typeEPT_S4_S4_S3_
		.amdhsa_group_segment_fixed_size 0
		.amdhsa_private_segment_fixed_size 0
		.amdhsa_kernarg_size 28
		.amdhsa_user_sgpr_count 15
		.amdhsa_user_sgpr_dispatch_ptr 0
		.amdhsa_user_sgpr_queue_ptr 0
		.amdhsa_user_sgpr_kernarg_segment_ptr 1
		.amdhsa_user_sgpr_dispatch_id 0
		.amdhsa_user_sgpr_private_segment_size 0
		.amdhsa_wavefront_size32 1
		.amdhsa_uses_dynamic_stack 0
		.amdhsa_enable_private_segment 0
		.amdhsa_system_sgpr_workgroup_id_x 1
		.amdhsa_system_sgpr_workgroup_id_y 0
		.amdhsa_system_sgpr_workgroup_id_z 0
		.amdhsa_system_sgpr_workgroup_info 0
		.amdhsa_system_vgpr_workitem_id 0
		.amdhsa_next_free_vgpr 1
		.amdhsa_next_free_sgpr 1
		.amdhsa_reserve_vcc 0
		.amdhsa_float_round_mode_32 0
		.amdhsa_float_round_mode_16_64 0
		.amdhsa_float_denorm_mode_32 3
		.amdhsa_float_denorm_mode_16_64 3
		.amdhsa_dx10_clamp 1
		.amdhsa_ieee_mode 1
		.amdhsa_fp16_overflow 0
		.amdhsa_workgroup_processor_mode 1
		.amdhsa_memory_ordered 1
		.amdhsa_forward_progress 0
		.amdhsa_shared_vgpr_count 0
		.amdhsa_exception_fp_ieee_invalid_op 0
		.amdhsa_exception_fp_denorm_src 0
		.amdhsa_exception_fp_ieee_div_zero 0
		.amdhsa_exception_fp_ieee_overflow 0
		.amdhsa_exception_fp_ieee_underflow 0
		.amdhsa_exception_fp_ieee_inexact 0
		.amdhsa_exception_int_div_zero 0
	.end_amdhsa_kernel
	.section	.text._Z33warp_exclusive_scan_reduce_kernelIfLj256ELj64EENSt9enable_ifIXntsr10test_utilsE35device_test_enabled_for_warp_size_vIXT1_EEEvE4typeEPT_S4_S4_S3_,"axG",@progbits,_Z33warp_exclusive_scan_reduce_kernelIfLj256ELj64EENSt9enable_ifIXntsr10test_utilsE35device_test_enabled_for_warp_size_vIXT1_EEEvE4typeEPT_S4_S4_S3_,comdat
.Lfunc_end206:
	.size	_Z33warp_exclusive_scan_reduce_kernelIfLj256ELj64EENSt9enable_ifIXntsr10test_utilsE35device_test_enabled_for_warp_size_vIXT1_EEEvE4typeEPT_S4_S4_S3_, .Lfunc_end206-_Z33warp_exclusive_scan_reduce_kernelIfLj256ELj64EENSt9enable_ifIXntsr10test_utilsE35device_test_enabled_for_warp_size_vIXT1_EEEvE4typeEPT_S4_S4_S3_
                                        ; -- End function
	.section	.AMDGPU.csdata,"",@progbits
; Kernel info:
; codeLenInByte = 4
; NumSgprs: 0
; NumVgprs: 0
; ScratchSize: 0
; MemoryBound: 0
; FloatMode: 240
; IeeeMode: 1
; LDSByteSize: 0 bytes/workgroup (compile time only)
; SGPRBlocks: 0
; VGPRBlocks: 0
; NumSGPRsForWavesPerEU: 1
; NumVGPRsForWavesPerEU: 1
; Occupancy: 16
; WaveLimiterHint : 0
; COMPUTE_PGM_RSRC2:SCRATCH_EN: 0
; COMPUTE_PGM_RSRC2:USER_SGPR: 15
; COMPUTE_PGM_RSRC2:TRAP_HANDLER: 0
; COMPUTE_PGM_RSRC2:TGID_X_EN: 1
; COMPUTE_PGM_RSRC2:TGID_Y_EN: 0
; COMPUTE_PGM_RSRC2:TGID_Z_EN: 0
; COMPUTE_PGM_RSRC2:TIDIG_COMP_CNT: 0
	.section	.text._Z33warp_exclusive_scan_reduce_kernelIfLj128ELj32EENSt9enable_ifIXsr10test_utilsE35device_test_enabled_for_warp_size_vIXT1_EEEvE4typeEPT_S4_S4_S3_,"axG",@progbits,_Z33warp_exclusive_scan_reduce_kernelIfLj128ELj32EENSt9enable_ifIXsr10test_utilsE35device_test_enabled_for_warp_size_vIXT1_EEEvE4typeEPT_S4_S4_S3_,comdat
	.protected	_Z33warp_exclusive_scan_reduce_kernelIfLj128ELj32EENSt9enable_ifIXsr10test_utilsE35device_test_enabled_for_warp_size_vIXT1_EEEvE4typeEPT_S4_S4_S3_ ; -- Begin function _Z33warp_exclusive_scan_reduce_kernelIfLj128ELj32EENSt9enable_ifIXsr10test_utilsE35device_test_enabled_for_warp_size_vIXT1_EEEvE4typeEPT_S4_S4_S3_
	.globl	_Z33warp_exclusive_scan_reduce_kernelIfLj128ELj32EENSt9enable_ifIXsr10test_utilsE35device_test_enabled_for_warp_size_vIXT1_EEEvE4typeEPT_S4_S4_S3_
	.p2align	8
	.type	_Z33warp_exclusive_scan_reduce_kernelIfLj128ELj32EENSt9enable_ifIXsr10test_utilsE35device_test_enabled_for_warp_size_vIXT1_EEEvE4typeEPT_S4_S4_S3_,@function
_Z33warp_exclusive_scan_reduce_kernelIfLj128ELj32EENSt9enable_ifIXsr10test_utilsE35device_test_enabled_for_warp_size_vIXT1_EEEvE4typeEPT_S4_S4_S3_: ; @_Z33warp_exclusive_scan_reduce_kernelIfLj128ELj32EENSt9enable_ifIXsr10test_utilsE35device_test_enabled_for_warp_size_vIXT1_EEEvE4typeEPT_S4_S4_S3_
; %bb.0:
	s_clause 0x1
	s_load_b32 s2, s[0:1], 0x2c
	s_load_b128 s[4:7], s[0:1], 0x0
	s_waitcnt lgkmcnt(0)
	s_and_b32 s2, s2, 0xffff
	s_delay_alu instid0(SALU_CYCLE_1) | instskip(SKIP_3) | instid1(VALU_DEP_2)
	v_mad_u64_u32 v[1:2], null, s15, s2, v[0:1]
	v_mov_b32_e32 v2, 0
	s_load_b32 s2, s[0:1], 0x18
	v_and_b32_e32 v0, 31, v0
	v_lshlrev_b64 v[3:4], 2, v[1:2]
	s_delay_alu instid0(VALU_DEP_1) | instskip(NEXT) | instid1(VALU_DEP_2)
	v_add_co_u32 v5, vcc_lo, s4, v3
	v_add_co_ci_u32_e32 v6, vcc_lo, s5, v4, vcc_lo
	global_load_b32 v5, v[5:6], off
	v_mbcnt_lo_u32_b32 v6, -1, 0
	s_delay_alu instid0(VALU_DEP_1) | instskip(SKIP_2) | instid1(VALU_DEP_1)
	v_and_b32_e32 v9, 16, v6
	s_waitcnt vmcnt(0)
	v_mov_b32_dpp v7, v5 row_shr:1 row_mask:0xf bank_mask:0xf
	v_dual_add_f32 v7, v5, v7 :: v_dual_and_b32 v8, 15, v6
	s_delay_alu instid0(VALU_DEP_1) | instskip(NEXT) | instid1(VALU_DEP_2)
	v_cmp_eq_u32_e32 vcc_lo, 0, v8
	v_cndmask_b32_e32 v5, v7, v5, vcc_lo
	v_cmp_lt_u32_e32 vcc_lo, 1, v8
	s_delay_alu instid0(VALU_DEP_2) | instskip(NEXT) | instid1(VALU_DEP_1)
	v_mov_b32_dpp v7, v5 row_shr:2 row_mask:0xf bank_mask:0xf
	v_add_f32_e32 v7, v5, v7
	s_delay_alu instid0(VALU_DEP_1) | instskip(SKIP_1) | instid1(VALU_DEP_2)
	v_cndmask_b32_e32 v5, v5, v7, vcc_lo
	v_cmp_lt_u32_e32 vcc_lo, 3, v8
	v_mov_b32_dpp v7, v5 row_shr:4 row_mask:0xf bank_mask:0xf
	s_delay_alu instid0(VALU_DEP_1) | instskip(NEXT) | instid1(VALU_DEP_1)
	v_add_f32_e32 v7, v5, v7
	v_cndmask_b32_e32 v5, v5, v7, vcc_lo
	v_cmp_lt_u32_e32 vcc_lo, 7, v8
	v_add_nc_u32_e32 v8, -1, v6
	s_delay_alu instid0(VALU_DEP_3) | instskip(NEXT) | instid1(VALU_DEP_1)
	v_mov_b32_dpp v7, v5 row_shr:8 row_mask:0xf bank_mask:0xf
	v_add_f32_e32 v7, v5, v7
	s_delay_alu instid0(VALU_DEP_1) | instskip(NEXT) | instid1(VALU_DEP_4)
	v_cndmask_b32_e32 v5, v5, v7, vcc_lo
	v_cmp_gt_i32_e32 vcc_lo, 0, v8
	ds_swizzle_b32 v7, v5 offset:swizzle(BROADCAST,32,15)
	v_cndmask_b32_e32 v8, v8, v6, vcc_lo
	v_cmp_eq_u32_e32 vcc_lo, 0, v9
	s_waitcnt lgkmcnt(0)
	v_add_f32_e32 v7, v5, v7
	s_delay_alu instid0(VALU_DEP_1) | instskip(SKIP_2) | instid1(VALU_DEP_3)
	v_cndmask_b32_e32 v5, v7, v5, vcc_lo
	v_lshlrev_b32_e32 v7, 2, v8
	v_cmp_eq_u32_e32 vcc_lo, 0, v6
	v_add_f32_e32 v8, s2, v5
	ds_bpermute_b32 v2, v2, v5 offset:124
	ds_bpermute_b32 v7, v7, v8
	s_waitcnt lgkmcnt(0)
	v_cndmask_b32_e64 v5, v7, s2, vcc_lo
	v_add_co_u32 v3, vcc_lo, s6, v3
	v_add_co_ci_u32_e32 v4, vcc_lo, s7, v4, vcc_lo
	s_mov_b32 s2, exec_lo
	global_store_b32 v[3:4], v5, off
	v_cmpx_eq_u32_e32 0, v0
	s_cbranch_execz .LBB207_2
; %bb.1:
	s_load_b64 s[0:1], s[0:1], 0x10
	v_lshrrev_b32_e32 v0, 3, v1
	s_delay_alu instid0(VALU_DEP_1)
	v_and_b32_e32 v0, 0x1ffffffc, v0
	s_waitcnt lgkmcnt(0)
	global_store_b32 v0, v2, s[0:1]
.LBB207_2:
	s_nop 0
	s_sendmsg sendmsg(MSG_DEALLOC_VGPRS)
	s_endpgm
	.section	.rodata,"a",@progbits
	.p2align	6, 0x0
	.amdhsa_kernel _Z33warp_exclusive_scan_reduce_kernelIfLj128ELj32EENSt9enable_ifIXsr10test_utilsE35device_test_enabled_for_warp_size_vIXT1_EEEvE4typeEPT_S4_S4_S3_
		.amdhsa_group_segment_fixed_size 0
		.amdhsa_private_segment_fixed_size 0
		.amdhsa_kernarg_size 288
		.amdhsa_user_sgpr_count 15
		.amdhsa_user_sgpr_dispatch_ptr 0
		.amdhsa_user_sgpr_queue_ptr 0
		.amdhsa_user_sgpr_kernarg_segment_ptr 1
		.amdhsa_user_sgpr_dispatch_id 0
		.amdhsa_user_sgpr_private_segment_size 0
		.amdhsa_wavefront_size32 1
		.amdhsa_uses_dynamic_stack 0
		.amdhsa_enable_private_segment 0
		.amdhsa_system_sgpr_workgroup_id_x 1
		.amdhsa_system_sgpr_workgroup_id_y 0
		.amdhsa_system_sgpr_workgroup_id_z 0
		.amdhsa_system_sgpr_workgroup_info 0
		.amdhsa_system_vgpr_workitem_id 0
		.amdhsa_next_free_vgpr 10
		.amdhsa_next_free_sgpr 16
		.amdhsa_reserve_vcc 1
		.amdhsa_float_round_mode_32 0
		.amdhsa_float_round_mode_16_64 0
		.amdhsa_float_denorm_mode_32 3
		.amdhsa_float_denorm_mode_16_64 3
		.amdhsa_dx10_clamp 1
		.amdhsa_ieee_mode 1
		.amdhsa_fp16_overflow 0
		.amdhsa_workgroup_processor_mode 1
		.amdhsa_memory_ordered 1
		.amdhsa_forward_progress 0
		.amdhsa_shared_vgpr_count 0
		.amdhsa_exception_fp_ieee_invalid_op 0
		.amdhsa_exception_fp_denorm_src 0
		.amdhsa_exception_fp_ieee_div_zero 0
		.amdhsa_exception_fp_ieee_overflow 0
		.amdhsa_exception_fp_ieee_underflow 0
		.amdhsa_exception_fp_ieee_inexact 0
		.amdhsa_exception_int_div_zero 0
	.end_amdhsa_kernel
	.section	.text._Z33warp_exclusive_scan_reduce_kernelIfLj128ELj32EENSt9enable_ifIXsr10test_utilsE35device_test_enabled_for_warp_size_vIXT1_EEEvE4typeEPT_S4_S4_S3_,"axG",@progbits,_Z33warp_exclusive_scan_reduce_kernelIfLj128ELj32EENSt9enable_ifIXsr10test_utilsE35device_test_enabled_for_warp_size_vIXT1_EEEvE4typeEPT_S4_S4_S3_,comdat
.Lfunc_end207:
	.size	_Z33warp_exclusive_scan_reduce_kernelIfLj128ELj32EENSt9enable_ifIXsr10test_utilsE35device_test_enabled_for_warp_size_vIXT1_EEEvE4typeEPT_S4_S4_S3_, .Lfunc_end207-_Z33warp_exclusive_scan_reduce_kernelIfLj128ELj32EENSt9enable_ifIXsr10test_utilsE35device_test_enabled_for_warp_size_vIXT1_EEEvE4typeEPT_S4_S4_S3_
                                        ; -- End function
	.section	.AMDGPU.csdata,"",@progbits
; Kernel info:
; codeLenInByte = 380
; NumSgprs: 18
; NumVgprs: 10
; ScratchSize: 0
; MemoryBound: 0
; FloatMode: 240
; IeeeMode: 1
; LDSByteSize: 0 bytes/workgroup (compile time only)
; SGPRBlocks: 2
; VGPRBlocks: 1
; NumSGPRsForWavesPerEU: 18
; NumVGPRsForWavesPerEU: 10
; Occupancy: 16
; WaveLimiterHint : 0
; COMPUTE_PGM_RSRC2:SCRATCH_EN: 0
; COMPUTE_PGM_RSRC2:USER_SGPR: 15
; COMPUTE_PGM_RSRC2:TRAP_HANDLER: 0
; COMPUTE_PGM_RSRC2:TGID_X_EN: 1
; COMPUTE_PGM_RSRC2:TGID_Y_EN: 0
; COMPUTE_PGM_RSRC2:TGID_Z_EN: 0
; COMPUTE_PGM_RSRC2:TIDIG_COMP_CNT: 0
	.section	.text._Z33warp_exclusive_scan_reduce_kernelIfLj64ELj16EENSt9enable_ifIXsr10test_utilsE35device_test_enabled_for_warp_size_vIXT1_EEEvE4typeEPT_S4_S4_S3_,"axG",@progbits,_Z33warp_exclusive_scan_reduce_kernelIfLj64ELj16EENSt9enable_ifIXsr10test_utilsE35device_test_enabled_for_warp_size_vIXT1_EEEvE4typeEPT_S4_S4_S3_,comdat
	.protected	_Z33warp_exclusive_scan_reduce_kernelIfLj64ELj16EENSt9enable_ifIXsr10test_utilsE35device_test_enabled_for_warp_size_vIXT1_EEEvE4typeEPT_S4_S4_S3_ ; -- Begin function _Z33warp_exclusive_scan_reduce_kernelIfLj64ELj16EENSt9enable_ifIXsr10test_utilsE35device_test_enabled_for_warp_size_vIXT1_EEEvE4typeEPT_S4_S4_S3_
	.globl	_Z33warp_exclusive_scan_reduce_kernelIfLj64ELj16EENSt9enable_ifIXsr10test_utilsE35device_test_enabled_for_warp_size_vIXT1_EEEvE4typeEPT_S4_S4_S3_
	.p2align	8
	.type	_Z33warp_exclusive_scan_reduce_kernelIfLj64ELj16EENSt9enable_ifIXsr10test_utilsE35device_test_enabled_for_warp_size_vIXT1_EEEvE4typeEPT_S4_S4_S3_,@function
_Z33warp_exclusive_scan_reduce_kernelIfLj64ELj16EENSt9enable_ifIXsr10test_utilsE35device_test_enabled_for_warp_size_vIXT1_EEEvE4typeEPT_S4_S4_S3_: ; @_Z33warp_exclusive_scan_reduce_kernelIfLj64ELj16EENSt9enable_ifIXsr10test_utilsE35device_test_enabled_for_warp_size_vIXT1_EEEvE4typeEPT_S4_S4_S3_
; %bb.0:
	s_clause 0x2
	s_load_b32 s2, s[0:1], 0x2c
	s_load_b128 s[4:7], s[0:1], 0x0
	s_load_b32 s3, s[0:1], 0x18
	s_waitcnt lgkmcnt(0)
	s_and_b32 s2, s2, 0xffff
	s_delay_alu instid0(SALU_CYCLE_1) | instskip(SKIP_2) | instid1(VALU_DEP_2)
	v_mad_u64_u32 v[1:2], null, s15, s2, v[0:1]
	v_mov_b32_e32 v2, 0
	v_and_b32_e32 v0, 15, v0
	v_lshlrev_b64 v[3:4], 2, v[1:2]
	s_delay_alu instid0(VALU_DEP_1) | instskip(NEXT) | instid1(VALU_DEP_2)
	v_add_co_u32 v5, vcc_lo, s4, v3
	v_add_co_ci_u32_e32 v6, vcc_lo, s5, v4, vcc_lo
	global_load_b32 v2, v[5:6], off
	v_mbcnt_lo_u32_b32 v5, -1, 0
	s_delay_alu instid0(VALU_DEP_1) | instskip(SKIP_2) | instid1(VALU_DEP_3)
	v_and_b32_e32 v7, 15, v5
	v_and_b32_e32 v8, 16, v5
	v_add_nc_u32_e32 v9, -1, v5
	v_cmp_eq_u32_e32 vcc_lo, 0, v7
	v_cmp_lt_u32_e64 s2, 1, v7
	s_waitcnt vmcnt(0)
	v_mov_b32_dpp v6, v2 row_shr:1 row_mask:0xf bank_mask:0xf
	s_delay_alu instid0(VALU_DEP_1) | instskip(NEXT) | instid1(VALU_DEP_1)
	v_add_f32_e32 v6, v2, v6
	v_cndmask_b32_e32 v2, v6, v2, vcc_lo
	s_delay_alu instid0(VALU_DEP_1) | instskip(NEXT) | instid1(VALU_DEP_1)
	v_mov_b32_dpp v6, v2 row_shr:2 row_mask:0xf bank_mask:0xf
	v_add_f32_e32 v6, v2, v6
	s_delay_alu instid0(VALU_DEP_1) | instskip(SKIP_1) | instid1(VALU_DEP_2)
	v_cndmask_b32_e64 v2, v2, v6, s2
	v_cmp_lt_u32_e64 s2, 3, v7
	v_mov_b32_dpp v6, v2 row_shr:4 row_mask:0xf bank_mask:0xf
	s_delay_alu instid0(VALU_DEP_1) | instskip(NEXT) | instid1(VALU_DEP_1)
	v_add_f32_e32 v6, v2, v6
	v_cndmask_b32_e64 v2, v2, v6, s2
	v_cmp_lt_i32_e64 s2, v9, v8
	s_delay_alu instid0(VALU_DEP_2) | instskip(NEXT) | instid1(VALU_DEP_2)
	v_mov_b32_dpp v6, v2 row_shr:8 row_mask:0xf bank_mask:0xf
	v_cndmask_b32_e64 v8, v9, v5, s2
	v_cmp_lt_u32_e64 s2, 7, v7
	v_lshl_or_b32 v5, v5, 2, 60
	s_delay_alu instid0(VALU_DEP_4) | instskip(NEXT) | instid1(VALU_DEP_1)
	v_add_f32_e32 v6, v2, v6
	v_cndmask_b32_e64 v2, v2, v6, s2
	v_lshlrev_b32_e32 v6, 2, v8
	s_mov_b32 s2, exec_lo
	s_delay_alu instid0(VALU_DEP_2)
	v_add_f32_e32 v7, s3, v2
	ds_bpermute_b32 v2, v5, v2
	ds_bpermute_b32 v6, v6, v7
	s_waitcnt lgkmcnt(0)
	v_cndmask_b32_e64 v5, v6, s3, vcc_lo
	v_add_co_u32 v3, vcc_lo, s6, v3
	v_add_co_ci_u32_e32 v4, vcc_lo, s7, v4, vcc_lo
	global_store_b32 v[3:4], v5, off
	v_cmpx_eq_u32_e32 0, v0
	s_cbranch_execz .LBB208_2
; %bb.1:
	s_load_b64 s[0:1], s[0:1], 0x10
	v_lshrrev_b32_e32 v0, 2, v1
	s_delay_alu instid0(VALU_DEP_1)
	v_and_b32_e32 v0, 0x3ffffffc, v0
	s_waitcnt lgkmcnt(0)
	global_store_b32 v0, v2, s[0:1]
.LBB208_2:
	s_nop 0
	s_sendmsg sendmsg(MSG_DEALLOC_VGPRS)
	s_endpgm
	.section	.rodata,"a",@progbits
	.p2align	6, 0x0
	.amdhsa_kernel _Z33warp_exclusive_scan_reduce_kernelIfLj64ELj16EENSt9enable_ifIXsr10test_utilsE35device_test_enabled_for_warp_size_vIXT1_EEEvE4typeEPT_S4_S4_S3_
		.amdhsa_group_segment_fixed_size 0
		.amdhsa_private_segment_fixed_size 0
		.amdhsa_kernarg_size 288
		.amdhsa_user_sgpr_count 15
		.amdhsa_user_sgpr_dispatch_ptr 0
		.amdhsa_user_sgpr_queue_ptr 0
		.amdhsa_user_sgpr_kernarg_segment_ptr 1
		.amdhsa_user_sgpr_dispatch_id 0
		.amdhsa_user_sgpr_private_segment_size 0
		.amdhsa_wavefront_size32 1
		.amdhsa_uses_dynamic_stack 0
		.amdhsa_enable_private_segment 0
		.amdhsa_system_sgpr_workgroup_id_x 1
		.amdhsa_system_sgpr_workgroup_id_y 0
		.amdhsa_system_sgpr_workgroup_id_z 0
		.amdhsa_system_sgpr_workgroup_info 0
		.amdhsa_system_vgpr_workitem_id 0
		.amdhsa_next_free_vgpr 10
		.amdhsa_next_free_sgpr 16
		.amdhsa_reserve_vcc 1
		.amdhsa_float_round_mode_32 0
		.amdhsa_float_round_mode_16_64 0
		.amdhsa_float_denorm_mode_32 3
		.amdhsa_float_denorm_mode_16_64 3
		.amdhsa_dx10_clamp 1
		.amdhsa_ieee_mode 1
		.amdhsa_fp16_overflow 0
		.amdhsa_workgroup_processor_mode 1
		.amdhsa_memory_ordered 1
		.amdhsa_forward_progress 0
		.amdhsa_shared_vgpr_count 0
		.amdhsa_exception_fp_ieee_invalid_op 0
		.amdhsa_exception_fp_denorm_src 0
		.amdhsa_exception_fp_ieee_div_zero 0
		.amdhsa_exception_fp_ieee_overflow 0
		.amdhsa_exception_fp_ieee_underflow 0
		.amdhsa_exception_fp_ieee_inexact 0
		.amdhsa_exception_int_div_zero 0
	.end_amdhsa_kernel
	.section	.text._Z33warp_exclusive_scan_reduce_kernelIfLj64ELj16EENSt9enable_ifIXsr10test_utilsE35device_test_enabled_for_warp_size_vIXT1_EEEvE4typeEPT_S4_S4_S3_,"axG",@progbits,_Z33warp_exclusive_scan_reduce_kernelIfLj64ELj16EENSt9enable_ifIXsr10test_utilsE35device_test_enabled_for_warp_size_vIXT1_EEEvE4typeEPT_S4_S4_S3_,comdat
.Lfunc_end208:
	.size	_Z33warp_exclusive_scan_reduce_kernelIfLj64ELj16EENSt9enable_ifIXsr10test_utilsE35device_test_enabled_for_warp_size_vIXT1_EEEvE4typeEPT_S4_S4_S3_, .Lfunc_end208-_Z33warp_exclusive_scan_reduce_kernelIfLj64ELj16EENSt9enable_ifIXsr10test_utilsE35device_test_enabled_for_warp_size_vIXT1_EEEvE4typeEPT_S4_S4_S3_
                                        ; -- End function
	.section	.AMDGPU.csdata,"",@progbits
; Kernel info:
; codeLenInByte = 392
; NumSgprs: 18
; NumVgprs: 10
; ScratchSize: 0
; MemoryBound: 0
; FloatMode: 240
; IeeeMode: 1
; LDSByteSize: 0 bytes/workgroup (compile time only)
; SGPRBlocks: 2
; VGPRBlocks: 1
; NumSGPRsForWavesPerEU: 18
; NumVGPRsForWavesPerEU: 10
; Occupancy: 16
; WaveLimiterHint : 0
; COMPUTE_PGM_RSRC2:SCRATCH_EN: 0
; COMPUTE_PGM_RSRC2:USER_SGPR: 15
; COMPUTE_PGM_RSRC2:TRAP_HANDLER: 0
; COMPUTE_PGM_RSRC2:TGID_X_EN: 1
; COMPUTE_PGM_RSRC2:TGID_Y_EN: 0
; COMPUTE_PGM_RSRC2:TGID_Z_EN: 0
; COMPUTE_PGM_RSRC2:TIDIG_COMP_CNT: 0
	.section	.text._Z33warp_exclusive_scan_reduce_kernelIfLj32ELj8EENSt9enable_ifIXsr10test_utilsE35device_test_enabled_for_warp_size_vIXT1_EEEvE4typeEPT_S4_S4_S3_,"axG",@progbits,_Z33warp_exclusive_scan_reduce_kernelIfLj32ELj8EENSt9enable_ifIXsr10test_utilsE35device_test_enabled_for_warp_size_vIXT1_EEEvE4typeEPT_S4_S4_S3_,comdat
	.protected	_Z33warp_exclusive_scan_reduce_kernelIfLj32ELj8EENSt9enable_ifIXsr10test_utilsE35device_test_enabled_for_warp_size_vIXT1_EEEvE4typeEPT_S4_S4_S3_ ; -- Begin function _Z33warp_exclusive_scan_reduce_kernelIfLj32ELj8EENSt9enable_ifIXsr10test_utilsE35device_test_enabled_for_warp_size_vIXT1_EEEvE4typeEPT_S4_S4_S3_
	.globl	_Z33warp_exclusive_scan_reduce_kernelIfLj32ELj8EENSt9enable_ifIXsr10test_utilsE35device_test_enabled_for_warp_size_vIXT1_EEEvE4typeEPT_S4_S4_S3_
	.p2align	8
	.type	_Z33warp_exclusive_scan_reduce_kernelIfLj32ELj8EENSt9enable_ifIXsr10test_utilsE35device_test_enabled_for_warp_size_vIXT1_EEEvE4typeEPT_S4_S4_S3_,@function
_Z33warp_exclusive_scan_reduce_kernelIfLj32ELj8EENSt9enable_ifIXsr10test_utilsE35device_test_enabled_for_warp_size_vIXT1_EEEvE4typeEPT_S4_S4_S3_: ; @_Z33warp_exclusive_scan_reduce_kernelIfLj32ELj8EENSt9enable_ifIXsr10test_utilsE35device_test_enabled_for_warp_size_vIXT1_EEEvE4typeEPT_S4_S4_S3_
; %bb.0:
	s_clause 0x2
	s_load_b32 s2, s[0:1], 0x2c
	s_load_b128 s[4:7], s[0:1], 0x0
	s_load_b32 s3, s[0:1], 0x18
	s_waitcnt lgkmcnt(0)
	s_and_b32 s2, s2, 0xffff
	s_delay_alu instid0(SALU_CYCLE_1) | instskip(SKIP_2) | instid1(VALU_DEP_2)
	v_mad_u64_u32 v[1:2], null, s15, s2, v[0:1]
	v_mov_b32_e32 v2, 0
	v_and_b32_e32 v0, 7, v0
	v_lshlrev_b64 v[3:4], 2, v[1:2]
	s_delay_alu instid0(VALU_DEP_1) | instskip(NEXT) | instid1(VALU_DEP_2)
	v_add_co_u32 v5, vcc_lo, s4, v3
	v_add_co_ci_u32_e32 v6, vcc_lo, s5, v4, vcc_lo
	global_load_b32 v2, v[5:6], off
	v_mbcnt_lo_u32_b32 v5, -1, 0
	s_delay_alu instid0(VALU_DEP_1) | instskip(SKIP_2) | instid1(VALU_DEP_3)
	v_and_b32_e32 v7, 7, v5
	v_and_b32_e32 v8, 24, v5
	v_add_nc_u32_e32 v9, -1, v5
	v_cmp_eq_u32_e32 vcc_lo, 0, v7
	v_cmp_lt_u32_e64 s2, 1, v7
	s_waitcnt vmcnt(0)
	v_mov_b32_dpp v6, v2 row_shr:1 row_mask:0xf bank_mask:0xf
	s_delay_alu instid0(VALU_DEP_1) | instskip(NEXT) | instid1(VALU_DEP_1)
	v_add_f32_e32 v6, v2, v6
	v_cndmask_b32_e32 v2, v6, v2, vcc_lo
	s_delay_alu instid0(VALU_DEP_1) | instskip(NEXT) | instid1(VALU_DEP_1)
	v_mov_b32_dpp v6, v2 row_shr:2 row_mask:0xf bank_mask:0xf
	v_add_f32_e32 v6, v2, v6
	s_delay_alu instid0(VALU_DEP_1) | instskip(SKIP_1) | instid1(VALU_DEP_2)
	v_cndmask_b32_e64 v2, v2, v6, s2
	v_cmp_lt_i32_e64 s2, v9, v8
	v_mov_b32_dpp v6, v2 row_shr:4 row_mask:0xf bank_mask:0xf
	s_delay_alu instid0(VALU_DEP_2) | instskip(SKIP_2) | instid1(VALU_DEP_4)
	v_cndmask_b32_e64 v8, v9, v5, s2
	v_cmp_lt_u32_e64 s2, 3, v7
	v_lshl_or_b32 v5, v5, 2, 28
	v_add_f32_e32 v6, v2, v6
	s_delay_alu instid0(VALU_DEP_1) | instskip(SKIP_2) | instid1(VALU_DEP_2)
	v_cndmask_b32_e64 v2, v2, v6, s2
	v_lshlrev_b32_e32 v6, 2, v8
	s_mov_b32 s2, exec_lo
	v_add_f32_e32 v7, s3, v2
	ds_bpermute_b32 v2, v5, v2
	ds_bpermute_b32 v6, v6, v7
	s_waitcnt lgkmcnt(0)
	v_cndmask_b32_e64 v5, v6, s3, vcc_lo
	v_add_co_u32 v3, vcc_lo, s6, v3
	v_add_co_ci_u32_e32 v4, vcc_lo, s7, v4, vcc_lo
	global_store_b32 v[3:4], v5, off
	v_cmpx_eq_u32_e32 0, v0
	s_cbranch_execz .LBB209_2
; %bb.1:
	s_load_b64 s[0:1], s[0:1], 0x10
	v_lshrrev_b32_e32 v0, 1, v1
	s_delay_alu instid0(VALU_DEP_1)
	v_and_b32_e32 v0, 0x7ffffffc, v0
	s_waitcnt lgkmcnt(0)
	global_store_b32 v0, v2, s[0:1]
.LBB209_2:
	s_nop 0
	s_sendmsg sendmsg(MSG_DEALLOC_VGPRS)
	s_endpgm
	.section	.rodata,"a",@progbits
	.p2align	6, 0x0
	.amdhsa_kernel _Z33warp_exclusive_scan_reduce_kernelIfLj32ELj8EENSt9enable_ifIXsr10test_utilsE35device_test_enabled_for_warp_size_vIXT1_EEEvE4typeEPT_S4_S4_S3_
		.amdhsa_group_segment_fixed_size 0
		.amdhsa_private_segment_fixed_size 0
		.amdhsa_kernarg_size 288
		.amdhsa_user_sgpr_count 15
		.amdhsa_user_sgpr_dispatch_ptr 0
		.amdhsa_user_sgpr_queue_ptr 0
		.amdhsa_user_sgpr_kernarg_segment_ptr 1
		.amdhsa_user_sgpr_dispatch_id 0
		.amdhsa_user_sgpr_private_segment_size 0
		.amdhsa_wavefront_size32 1
		.amdhsa_uses_dynamic_stack 0
		.amdhsa_enable_private_segment 0
		.amdhsa_system_sgpr_workgroup_id_x 1
		.amdhsa_system_sgpr_workgroup_id_y 0
		.amdhsa_system_sgpr_workgroup_id_z 0
		.amdhsa_system_sgpr_workgroup_info 0
		.amdhsa_system_vgpr_workitem_id 0
		.amdhsa_next_free_vgpr 10
		.amdhsa_next_free_sgpr 16
		.amdhsa_reserve_vcc 1
		.amdhsa_float_round_mode_32 0
		.amdhsa_float_round_mode_16_64 0
		.amdhsa_float_denorm_mode_32 3
		.amdhsa_float_denorm_mode_16_64 3
		.amdhsa_dx10_clamp 1
		.amdhsa_ieee_mode 1
		.amdhsa_fp16_overflow 0
		.amdhsa_workgroup_processor_mode 1
		.amdhsa_memory_ordered 1
		.amdhsa_forward_progress 0
		.amdhsa_shared_vgpr_count 0
		.amdhsa_exception_fp_ieee_invalid_op 0
		.amdhsa_exception_fp_denorm_src 0
		.amdhsa_exception_fp_ieee_div_zero 0
		.amdhsa_exception_fp_ieee_overflow 0
		.amdhsa_exception_fp_ieee_underflow 0
		.amdhsa_exception_fp_ieee_inexact 0
		.amdhsa_exception_int_div_zero 0
	.end_amdhsa_kernel
	.section	.text._Z33warp_exclusive_scan_reduce_kernelIfLj32ELj8EENSt9enable_ifIXsr10test_utilsE35device_test_enabled_for_warp_size_vIXT1_EEEvE4typeEPT_S4_S4_S3_,"axG",@progbits,_Z33warp_exclusive_scan_reduce_kernelIfLj32ELj8EENSt9enable_ifIXsr10test_utilsE35device_test_enabled_for_warp_size_vIXT1_EEEvE4typeEPT_S4_S4_S3_,comdat
.Lfunc_end209:
	.size	_Z33warp_exclusive_scan_reduce_kernelIfLj32ELj8EENSt9enable_ifIXsr10test_utilsE35device_test_enabled_for_warp_size_vIXT1_EEEvE4typeEPT_S4_S4_S3_, .Lfunc_end209-_Z33warp_exclusive_scan_reduce_kernelIfLj32ELj8EENSt9enable_ifIXsr10test_utilsE35device_test_enabled_for_warp_size_vIXT1_EEEvE4typeEPT_S4_S4_S3_
                                        ; -- End function
	.section	.AMDGPU.csdata,"",@progbits
; Kernel info:
; codeLenInByte = 356
; NumSgprs: 18
; NumVgprs: 10
; ScratchSize: 0
; MemoryBound: 0
; FloatMode: 240
; IeeeMode: 1
; LDSByteSize: 0 bytes/workgroup (compile time only)
; SGPRBlocks: 2
; VGPRBlocks: 1
; NumSGPRsForWavesPerEU: 18
; NumVGPRsForWavesPerEU: 10
; Occupancy: 16
; WaveLimiterHint : 0
; COMPUTE_PGM_RSRC2:SCRATCH_EN: 0
; COMPUTE_PGM_RSRC2:USER_SGPR: 15
; COMPUTE_PGM_RSRC2:TRAP_HANDLER: 0
; COMPUTE_PGM_RSRC2:TGID_X_EN: 1
; COMPUTE_PGM_RSRC2:TGID_Y_EN: 0
; COMPUTE_PGM_RSRC2:TGID_Z_EN: 0
; COMPUTE_PGM_RSRC2:TIDIG_COMP_CNT: 0
	.section	.text._Z33warp_exclusive_scan_reduce_kernelIfLj64ELj8EENSt9enable_ifIXsr10test_utilsE35device_test_enabled_for_warp_size_vIXT1_EEEvE4typeEPT_S4_S4_S3_,"axG",@progbits,_Z33warp_exclusive_scan_reduce_kernelIfLj64ELj8EENSt9enable_ifIXsr10test_utilsE35device_test_enabled_for_warp_size_vIXT1_EEEvE4typeEPT_S4_S4_S3_,comdat
	.protected	_Z33warp_exclusive_scan_reduce_kernelIfLj64ELj8EENSt9enable_ifIXsr10test_utilsE35device_test_enabled_for_warp_size_vIXT1_EEEvE4typeEPT_S4_S4_S3_ ; -- Begin function _Z33warp_exclusive_scan_reduce_kernelIfLj64ELj8EENSt9enable_ifIXsr10test_utilsE35device_test_enabled_for_warp_size_vIXT1_EEEvE4typeEPT_S4_S4_S3_
	.globl	_Z33warp_exclusive_scan_reduce_kernelIfLj64ELj8EENSt9enable_ifIXsr10test_utilsE35device_test_enabled_for_warp_size_vIXT1_EEEvE4typeEPT_S4_S4_S3_
	.p2align	8
	.type	_Z33warp_exclusive_scan_reduce_kernelIfLj64ELj8EENSt9enable_ifIXsr10test_utilsE35device_test_enabled_for_warp_size_vIXT1_EEEvE4typeEPT_S4_S4_S3_,@function
_Z33warp_exclusive_scan_reduce_kernelIfLj64ELj8EENSt9enable_ifIXsr10test_utilsE35device_test_enabled_for_warp_size_vIXT1_EEEvE4typeEPT_S4_S4_S3_: ; @_Z33warp_exclusive_scan_reduce_kernelIfLj64ELj8EENSt9enable_ifIXsr10test_utilsE35device_test_enabled_for_warp_size_vIXT1_EEEvE4typeEPT_S4_S4_S3_
; %bb.0:
	s_clause 0x2
	s_load_b32 s2, s[0:1], 0x2c
	s_load_b128 s[4:7], s[0:1], 0x0
	s_load_b32 s3, s[0:1], 0x18
	s_waitcnt lgkmcnt(0)
	s_and_b32 s2, s2, 0xffff
	s_delay_alu instid0(SALU_CYCLE_1) | instskip(SKIP_2) | instid1(VALU_DEP_2)
	v_mad_u64_u32 v[1:2], null, s15, s2, v[0:1]
	v_mov_b32_e32 v2, 0
	v_and_b32_e32 v0, 7, v0
	v_lshlrev_b64 v[3:4], 2, v[1:2]
	s_delay_alu instid0(VALU_DEP_1) | instskip(NEXT) | instid1(VALU_DEP_2)
	v_add_co_u32 v5, vcc_lo, s4, v3
	v_add_co_ci_u32_e32 v6, vcc_lo, s5, v4, vcc_lo
	global_load_b32 v2, v[5:6], off
	v_mbcnt_lo_u32_b32 v5, -1, 0
	s_delay_alu instid0(VALU_DEP_1) | instskip(SKIP_2) | instid1(VALU_DEP_3)
	v_and_b32_e32 v7, 7, v5
	v_and_b32_e32 v8, 24, v5
	v_add_nc_u32_e32 v9, -1, v5
	v_cmp_eq_u32_e32 vcc_lo, 0, v7
	v_cmp_lt_u32_e64 s2, 1, v7
	s_waitcnt vmcnt(0)
	v_mov_b32_dpp v6, v2 row_shr:1 row_mask:0xf bank_mask:0xf
	s_delay_alu instid0(VALU_DEP_1) | instskip(NEXT) | instid1(VALU_DEP_1)
	v_add_f32_e32 v6, v2, v6
	v_cndmask_b32_e32 v2, v6, v2, vcc_lo
	s_delay_alu instid0(VALU_DEP_1) | instskip(NEXT) | instid1(VALU_DEP_1)
	v_mov_b32_dpp v6, v2 row_shr:2 row_mask:0xf bank_mask:0xf
	v_add_f32_e32 v6, v2, v6
	s_delay_alu instid0(VALU_DEP_1) | instskip(SKIP_1) | instid1(VALU_DEP_2)
	v_cndmask_b32_e64 v2, v2, v6, s2
	v_cmp_lt_i32_e64 s2, v9, v8
	v_mov_b32_dpp v6, v2 row_shr:4 row_mask:0xf bank_mask:0xf
	s_delay_alu instid0(VALU_DEP_2) | instskip(SKIP_2) | instid1(VALU_DEP_4)
	v_cndmask_b32_e64 v8, v9, v5, s2
	v_cmp_lt_u32_e64 s2, 3, v7
	v_lshl_or_b32 v5, v5, 2, 28
	v_add_f32_e32 v6, v2, v6
	s_delay_alu instid0(VALU_DEP_1) | instskip(SKIP_2) | instid1(VALU_DEP_2)
	v_cndmask_b32_e64 v2, v2, v6, s2
	v_lshlrev_b32_e32 v6, 2, v8
	s_mov_b32 s2, exec_lo
	v_add_f32_e32 v7, s3, v2
	ds_bpermute_b32 v2, v5, v2
	ds_bpermute_b32 v6, v6, v7
	s_waitcnt lgkmcnt(0)
	v_cndmask_b32_e64 v5, v6, s3, vcc_lo
	v_add_co_u32 v3, vcc_lo, s6, v3
	v_add_co_ci_u32_e32 v4, vcc_lo, s7, v4, vcc_lo
	global_store_b32 v[3:4], v5, off
	v_cmpx_eq_u32_e32 0, v0
	s_cbranch_execz .LBB210_2
; %bb.1:
	s_load_b64 s[0:1], s[0:1], 0x10
	v_lshrrev_b32_e32 v0, 1, v1
	s_delay_alu instid0(VALU_DEP_1)
	v_and_b32_e32 v0, 0x7ffffffc, v0
	s_waitcnt lgkmcnt(0)
	global_store_b32 v0, v2, s[0:1]
.LBB210_2:
	s_nop 0
	s_sendmsg sendmsg(MSG_DEALLOC_VGPRS)
	s_endpgm
	.section	.rodata,"a",@progbits
	.p2align	6, 0x0
	.amdhsa_kernel _Z33warp_exclusive_scan_reduce_kernelIfLj64ELj8EENSt9enable_ifIXsr10test_utilsE35device_test_enabled_for_warp_size_vIXT1_EEEvE4typeEPT_S4_S4_S3_
		.amdhsa_group_segment_fixed_size 0
		.amdhsa_private_segment_fixed_size 0
		.amdhsa_kernarg_size 288
		.amdhsa_user_sgpr_count 15
		.amdhsa_user_sgpr_dispatch_ptr 0
		.amdhsa_user_sgpr_queue_ptr 0
		.amdhsa_user_sgpr_kernarg_segment_ptr 1
		.amdhsa_user_sgpr_dispatch_id 0
		.amdhsa_user_sgpr_private_segment_size 0
		.amdhsa_wavefront_size32 1
		.amdhsa_uses_dynamic_stack 0
		.amdhsa_enable_private_segment 0
		.amdhsa_system_sgpr_workgroup_id_x 1
		.amdhsa_system_sgpr_workgroup_id_y 0
		.amdhsa_system_sgpr_workgroup_id_z 0
		.amdhsa_system_sgpr_workgroup_info 0
		.amdhsa_system_vgpr_workitem_id 0
		.amdhsa_next_free_vgpr 10
		.amdhsa_next_free_sgpr 16
		.amdhsa_reserve_vcc 1
		.amdhsa_float_round_mode_32 0
		.amdhsa_float_round_mode_16_64 0
		.amdhsa_float_denorm_mode_32 3
		.amdhsa_float_denorm_mode_16_64 3
		.amdhsa_dx10_clamp 1
		.amdhsa_ieee_mode 1
		.amdhsa_fp16_overflow 0
		.amdhsa_workgroup_processor_mode 1
		.amdhsa_memory_ordered 1
		.amdhsa_forward_progress 0
		.amdhsa_shared_vgpr_count 0
		.amdhsa_exception_fp_ieee_invalid_op 0
		.amdhsa_exception_fp_denorm_src 0
		.amdhsa_exception_fp_ieee_div_zero 0
		.amdhsa_exception_fp_ieee_overflow 0
		.amdhsa_exception_fp_ieee_underflow 0
		.amdhsa_exception_fp_ieee_inexact 0
		.amdhsa_exception_int_div_zero 0
	.end_amdhsa_kernel
	.section	.text._Z33warp_exclusive_scan_reduce_kernelIfLj64ELj8EENSt9enable_ifIXsr10test_utilsE35device_test_enabled_for_warp_size_vIXT1_EEEvE4typeEPT_S4_S4_S3_,"axG",@progbits,_Z33warp_exclusive_scan_reduce_kernelIfLj64ELj8EENSt9enable_ifIXsr10test_utilsE35device_test_enabled_for_warp_size_vIXT1_EEEvE4typeEPT_S4_S4_S3_,comdat
.Lfunc_end210:
	.size	_Z33warp_exclusive_scan_reduce_kernelIfLj64ELj8EENSt9enable_ifIXsr10test_utilsE35device_test_enabled_for_warp_size_vIXT1_EEEvE4typeEPT_S4_S4_S3_, .Lfunc_end210-_Z33warp_exclusive_scan_reduce_kernelIfLj64ELj8EENSt9enable_ifIXsr10test_utilsE35device_test_enabled_for_warp_size_vIXT1_EEEvE4typeEPT_S4_S4_S3_
                                        ; -- End function
	.section	.AMDGPU.csdata,"",@progbits
; Kernel info:
; codeLenInByte = 356
; NumSgprs: 18
; NumVgprs: 10
; ScratchSize: 0
; MemoryBound: 0
; FloatMode: 240
; IeeeMode: 1
; LDSByteSize: 0 bytes/workgroup (compile time only)
; SGPRBlocks: 2
; VGPRBlocks: 1
; NumSGPRsForWavesPerEU: 18
; NumVGPRsForWavesPerEU: 10
; Occupancy: 16
; WaveLimiterHint : 0
; COMPUTE_PGM_RSRC2:SCRATCH_EN: 0
; COMPUTE_PGM_RSRC2:USER_SGPR: 15
; COMPUTE_PGM_RSRC2:TRAP_HANDLER: 0
; COMPUTE_PGM_RSRC2:TGID_X_EN: 1
; COMPUTE_PGM_RSRC2:TGID_Y_EN: 0
; COMPUTE_PGM_RSRC2:TGID_Z_EN: 0
; COMPUTE_PGM_RSRC2:TIDIG_COMP_CNT: 0
	.section	.text._Z33warp_exclusive_scan_reduce_kernelIfLj32ELj4EENSt9enable_ifIXsr10test_utilsE35device_test_enabled_for_warp_size_vIXT1_EEEvE4typeEPT_S4_S4_S3_,"axG",@progbits,_Z33warp_exclusive_scan_reduce_kernelIfLj32ELj4EENSt9enable_ifIXsr10test_utilsE35device_test_enabled_for_warp_size_vIXT1_EEEvE4typeEPT_S4_S4_S3_,comdat
	.protected	_Z33warp_exclusive_scan_reduce_kernelIfLj32ELj4EENSt9enable_ifIXsr10test_utilsE35device_test_enabled_for_warp_size_vIXT1_EEEvE4typeEPT_S4_S4_S3_ ; -- Begin function _Z33warp_exclusive_scan_reduce_kernelIfLj32ELj4EENSt9enable_ifIXsr10test_utilsE35device_test_enabled_for_warp_size_vIXT1_EEEvE4typeEPT_S4_S4_S3_
	.globl	_Z33warp_exclusive_scan_reduce_kernelIfLj32ELj4EENSt9enable_ifIXsr10test_utilsE35device_test_enabled_for_warp_size_vIXT1_EEEvE4typeEPT_S4_S4_S3_
	.p2align	8
	.type	_Z33warp_exclusive_scan_reduce_kernelIfLj32ELj4EENSt9enable_ifIXsr10test_utilsE35device_test_enabled_for_warp_size_vIXT1_EEEvE4typeEPT_S4_S4_S3_,@function
_Z33warp_exclusive_scan_reduce_kernelIfLj32ELj4EENSt9enable_ifIXsr10test_utilsE35device_test_enabled_for_warp_size_vIXT1_EEEvE4typeEPT_S4_S4_S3_: ; @_Z33warp_exclusive_scan_reduce_kernelIfLj32ELj4EENSt9enable_ifIXsr10test_utilsE35device_test_enabled_for_warp_size_vIXT1_EEEvE4typeEPT_S4_S4_S3_
; %bb.0:
	s_clause 0x2
	s_load_b32 s2, s[0:1], 0x2c
	s_load_b128 s[4:7], s[0:1], 0x0
	s_load_b32 s3, s[0:1], 0x18
	s_waitcnt lgkmcnt(0)
	s_and_b32 s2, s2, 0xffff
	s_delay_alu instid0(SALU_CYCLE_1) | instskip(SKIP_2) | instid1(VALU_DEP_2)
	v_mad_u64_u32 v[1:2], null, s15, s2, v[0:1]
	v_mov_b32_e32 v2, 0
	v_and_b32_e32 v0, 3, v0
	v_lshlrev_b64 v[3:4], 2, v[1:2]
	s_delay_alu instid0(VALU_DEP_1) | instskip(NEXT) | instid1(VALU_DEP_2)
	v_add_co_u32 v5, vcc_lo, s4, v3
	v_add_co_ci_u32_e32 v6, vcc_lo, s5, v4, vcc_lo
	global_load_b32 v2, v[5:6], off
	v_mbcnt_lo_u32_b32 v5, -1, 0
	s_delay_alu instid0(VALU_DEP_1) | instskip(SKIP_2) | instid1(VALU_DEP_3)
	v_and_b32_e32 v7, 3, v5
	v_and_b32_e32 v8, 28, v5
	v_add_nc_u32_e32 v9, -1, v5
	v_cmp_eq_u32_e32 vcc_lo, 0, v7
	s_delay_alu instid0(VALU_DEP_2) | instskip(NEXT) | instid1(VALU_DEP_1)
	v_cmp_lt_i32_e64 s2, v9, v8
	v_cndmask_b32_e64 v8, v9, v5, s2
	v_cmp_lt_u32_e64 s2, 1, v7
	v_lshl_or_b32 v5, v5, 2, 12
	s_waitcnt vmcnt(0)
	v_mov_b32_dpp v6, v2 row_shr:1 row_mask:0xf bank_mask:0xf
	s_delay_alu instid0(VALU_DEP_1) | instskip(NEXT) | instid1(VALU_DEP_1)
	v_add_f32_e32 v6, v2, v6
	v_cndmask_b32_e32 v2, v6, v2, vcc_lo
	s_delay_alu instid0(VALU_DEP_1) | instskip(NEXT) | instid1(VALU_DEP_1)
	v_mov_b32_dpp v6, v2 row_shr:2 row_mask:0xf bank_mask:0xf
	v_add_f32_e32 v6, v2, v6
	s_delay_alu instid0(VALU_DEP_1) | instskip(SKIP_2) | instid1(VALU_DEP_2)
	v_cndmask_b32_e64 v2, v2, v6, s2
	v_lshlrev_b32_e32 v6, 2, v8
	s_mov_b32 s2, exec_lo
	v_add_f32_e32 v7, s3, v2
	ds_bpermute_b32 v2, v5, v2
	ds_bpermute_b32 v6, v6, v7
	s_waitcnt lgkmcnt(0)
	v_cndmask_b32_e64 v5, v6, s3, vcc_lo
	v_add_co_u32 v3, vcc_lo, s6, v3
	v_add_co_ci_u32_e32 v4, vcc_lo, s7, v4, vcc_lo
	global_store_b32 v[3:4], v5, off
	v_cmpx_eq_u32_e32 0, v0
	s_cbranch_execz .LBB211_2
; %bb.1:
	s_load_b64 s[0:1], s[0:1], 0x10
	v_and_b32_e32 v0, -4, v1
	s_waitcnt lgkmcnt(0)
	global_store_b32 v0, v2, s[0:1]
.LBB211_2:
	s_nop 0
	s_sendmsg sendmsg(MSG_DEALLOC_VGPRS)
	s_endpgm
	.section	.rodata,"a",@progbits
	.p2align	6, 0x0
	.amdhsa_kernel _Z33warp_exclusive_scan_reduce_kernelIfLj32ELj4EENSt9enable_ifIXsr10test_utilsE35device_test_enabled_for_warp_size_vIXT1_EEEvE4typeEPT_S4_S4_S3_
		.amdhsa_group_segment_fixed_size 0
		.amdhsa_private_segment_fixed_size 0
		.amdhsa_kernarg_size 288
		.amdhsa_user_sgpr_count 15
		.amdhsa_user_sgpr_dispatch_ptr 0
		.amdhsa_user_sgpr_queue_ptr 0
		.amdhsa_user_sgpr_kernarg_segment_ptr 1
		.amdhsa_user_sgpr_dispatch_id 0
		.amdhsa_user_sgpr_private_segment_size 0
		.amdhsa_wavefront_size32 1
		.amdhsa_uses_dynamic_stack 0
		.amdhsa_enable_private_segment 0
		.amdhsa_system_sgpr_workgroup_id_x 1
		.amdhsa_system_sgpr_workgroup_id_y 0
		.amdhsa_system_sgpr_workgroup_id_z 0
		.amdhsa_system_sgpr_workgroup_info 0
		.amdhsa_system_vgpr_workitem_id 0
		.amdhsa_next_free_vgpr 10
		.amdhsa_next_free_sgpr 16
		.amdhsa_reserve_vcc 1
		.amdhsa_float_round_mode_32 0
		.amdhsa_float_round_mode_16_64 0
		.amdhsa_float_denorm_mode_32 3
		.amdhsa_float_denorm_mode_16_64 3
		.amdhsa_dx10_clamp 1
		.amdhsa_ieee_mode 1
		.amdhsa_fp16_overflow 0
		.amdhsa_workgroup_processor_mode 1
		.amdhsa_memory_ordered 1
		.amdhsa_forward_progress 0
		.amdhsa_shared_vgpr_count 0
		.amdhsa_exception_fp_ieee_invalid_op 0
		.amdhsa_exception_fp_denorm_src 0
		.amdhsa_exception_fp_ieee_div_zero 0
		.amdhsa_exception_fp_ieee_overflow 0
		.amdhsa_exception_fp_ieee_underflow 0
		.amdhsa_exception_fp_ieee_inexact 0
		.amdhsa_exception_int_div_zero 0
	.end_amdhsa_kernel
	.section	.text._Z33warp_exclusive_scan_reduce_kernelIfLj32ELj4EENSt9enable_ifIXsr10test_utilsE35device_test_enabled_for_warp_size_vIXT1_EEEvE4typeEPT_S4_S4_S3_,"axG",@progbits,_Z33warp_exclusive_scan_reduce_kernelIfLj32ELj4EENSt9enable_ifIXsr10test_utilsE35device_test_enabled_for_warp_size_vIXT1_EEEvE4typeEPT_S4_S4_S3_,comdat
.Lfunc_end211:
	.size	_Z33warp_exclusive_scan_reduce_kernelIfLj32ELj4EENSt9enable_ifIXsr10test_utilsE35device_test_enabled_for_warp_size_vIXT1_EEEvE4typeEPT_S4_S4_S3_, .Lfunc_end211-_Z33warp_exclusive_scan_reduce_kernelIfLj32ELj4EENSt9enable_ifIXsr10test_utilsE35device_test_enabled_for_warp_size_vIXT1_EEEvE4typeEPT_S4_S4_S3_
                                        ; -- End function
	.section	.AMDGPU.csdata,"",@progbits
; Kernel info:
; codeLenInByte = 312
; NumSgprs: 18
; NumVgprs: 10
; ScratchSize: 0
; MemoryBound: 0
; FloatMode: 240
; IeeeMode: 1
; LDSByteSize: 0 bytes/workgroup (compile time only)
; SGPRBlocks: 2
; VGPRBlocks: 1
; NumSGPRsForWavesPerEU: 18
; NumVGPRsForWavesPerEU: 10
; Occupancy: 16
; WaveLimiterHint : 0
; COMPUTE_PGM_RSRC2:SCRATCH_EN: 0
; COMPUTE_PGM_RSRC2:USER_SGPR: 15
; COMPUTE_PGM_RSRC2:TRAP_HANDLER: 0
; COMPUTE_PGM_RSRC2:TGID_X_EN: 1
; COMPUTE_PGM_RSRC2:TGID_Y_EN: 0
; COMPUTE_PGM_RSRC2:TGID_Z_EN: 0
; COMPUTE_PGM_RSRC2:TIDIG_COMP_CNT: 0
	.section	.text._Z33warp_exclusive_scan_reduce_kernelIfLj64ELj4EENSt9enable_ifIXsr10test_utilsE35device_test_enabled_for_warp_size_vIXT1_EEEvE4typeEPT_S4_S4_S3_,"axG",@progbits,_Z33warp_exclusive_scan_reduce_kernelIfLj64ELj4EENSt9enable_ifIXsr10test_utilsE35device_test_enabled_for_warp_size_vIXT1_EEEvE4typeEPT_S4_S4_S3_,comdat
	.protected	_Z33warp_exclusive_scan_reduce_kernelIfLj64ELj4EENSt9enable_ifIXsr10test_utilsE35device_test_enabled_for_warp_size_vIXT1_EEEvE4typeEPT_S4_S4_S3_ ; -- Begin function _Z33warp_exclusive_scan_reduce_kernelIfLj64ELj4EENSt9enable_ifIXsr10test_utilsE35device_test_enabled_for_warp_size_vIXT1_EEEvE4typeEPT_S4_S4_S3_
	.globl	_Z33warp_exclusive_scan_reduce_kernelIfLj64ELj4EENSt9enable_ifIXsr10test_utilsE35device_test_enabled_for_warp_size_vIXT1_EEEvE4typeEPT_S4_S4_S3_
	.p2align	8
	.type	_Z33warp_exclusive_scan_reduce_kernelIfLj64ELj4EENSt9enable_ifIXsr10test_utilsE35device_test_enabled_for_warp_size_vIXT1_EEEvE4typeEPT_S4_S4_S3_,@function
_Z33warp_exclusive_scan_reduce_kernelIfLj64ELj4EENSt9enable_ifIXsr10test_utilsE35device_test_enabled_for_warp_size_vIXT1_EEEvE4typeEPT_S4_S4_S3_: ; @_Z33warp_exclusive_scan_reduce_kernelIfLj64ELj4EENSt9enable_ifIXsr10test_utilsE35device_test_enabled_for_warp_size_vIXT1_EEEvE4typeEPT_S4_S4_S3_
; %bb.0:
	s_clause 0x2
	s_load_b32 s2, s[0:1], 0x2c
	s_load_b128 s[4:7], s[0:1], 0x0
	s_load_b32 s3, s[0:1], 0x18
	s_waitcnt lgkmcnt(0)
	s_and_b32 s2, s2, 0xffff
	s_delay_alu instid0(SALU_CYCLE_1) | instskip(SKIP_2) | instid1(VALU_DEP_2)
	v_mad_u64_u32 v[1:2], null, s15, s2, v[0:1]
	v_mov_b32_e32 v2, 0
	v_and_b32_e32 v0, 3, v0
	v_lshlrev_b64 v[3:4], 2, v[1:2]
	s_delay_alu instid0(VALU_DEP_1) | instskip(NEXT) | instid1(VALU_DEP_2)
	v_add_co_u32 v5, vcc_lo, s4, v3
	v_add_co_ci_u32_e32 v6, vcc_lo, s5, v4, vcc_lo
	global_load_b32 v2, v[5:6], off
	v_mbcnt_lo_u32_b32 v5, -1, 0
	s_delay_alu instid0(VALU_DEP_1) | instskip(SKIP_2) | instid1(VALU_DEP_3)
	v_and_b32_e32 v7, 3, v5
	v_and_b32_e32 v8, 28, v5
	v_add_nc_u32_e32 v9, -1, v5
	v_cmp_eq_u32_e32 vcc_lo, 0, v7
	s_delay_alu instid0(VALU_DEP_2) | instskip(NEXT) | instid1(VALU_DEP_1)
	v_cmp_lt_i32_e64 s2, v9, v8
	v_cndmask_b32_e64 v8, v9, v5, s2
	v_cmp_lt_u32_e64 s2, 1, v7
	v_lshl_or_b32 v5, v5, 2, 12
	s_waitcnt vmcnt(0)
	v_mov_b32_dpp v6, v2 row_shr:1 row_mask:0xf bank_mask:0xf
	s_delay_alu instid0(VALU_DEP_1) | instskip(NEXT) | instid1(VALU_DEP_1)
	v_add_f32_e32 v6, v2, v6
	v_cndmask_b32_e32 v2, v6, v2, vcc_lo
	s_delay_alu instid0(VALU_DEP_1) | instskip(NEXT) | instid1(VALU_DEP_1)
	v_mov_b32_dpp v6, v2 row_shr:2 row_mask:0xf bank_mask:0xf
	v_add_f32_e32 v6, v2, v6
	s_delay_alu instid0(VALU_DEP_1) | instskip(SKIP_2) | instid1(VALU_DEP_2)
	v_cndmask_b32_e64 v2, v2, v6, s2
	v_lshlrev_b32_e32 v6, 2, v8
	s_mov_b32 s2, exec_lo
	v_add_f32_e32 v7, s3, v2
	ds_bpermute_b32 v2, v5, v2
	ds_bpermute_b32 v6, v6, v7
	s_waitcnt lgkmcnt(0)
	v_cndmask_b32_e64 v5, v6, s3, vcc_lo
	v_add_co_u32 v3, vcc_lo, s6, v3
	v_add_co_ci_u32_e32 v4, vcc_lo, s7, v4, vcc_lo
	global_store_b32 v[3:4], v5, off
	v_cmpx_eq_u32_e32 0, v0
	s_cbranch_execz .LBB212_2
; %bb.1:
	s_load_b64 s[0:1], s[0:1], 0x10
	v_and_b32_e32 v0, -4, v1
	s_waitcnt lgkmcnt(0)
	global_store_b32 v0, v2, s[0:1]
.LBB212_2:
	s_nop 0
	s_sendmsg sendmsg(MSG_DEALLOC_VGPRS)
	s_endpgm
	.section	.rodata,"a",@progbits
	.p2align	6, 0x0
	.amdhsa_kernel _Z33warp_exclusive_scan_reduce_kernelIfLj64ELj4EENSt9enable_ifIXsr10test_utilsE35device_test_enabled_for_warp_size_vIXT1_EEEvE4typeEPT_S4_S4_S3_
		.amdhsa_group_segment_fixed_size 0
		.amdhsa_private_segment_fixed_size 0
		.amdhsa_kernarg_size 288
		.amdhsa_user_sgpr_count 15
		.amdhsa_user_sgpr_dispatch_ptr 0
		.amdhsa_user_sgpr_queue_ptr 0
		.amdhsa_user_sgpr_kernarg_segment_ptr 1
		.amdhsa_user_sgpr_dispatch_id 0
		.amdhsa_user_sgpr_private_segment_size 0
		.amdhsa_wavefront_size32 1
		.amdhsa_uses_dynamic_stack 0
		.amdhsa_enable_private_segment 0
		.amdhsa_system_sgpr_workgroup_id_x 1
		.amdhsa_system_sgpr_workgroup_id_y 0
		.amdhsa_system_sgpr_workgroup_id_z 0
		.amdhsa_system_sgpr_workgroup_info 0
		.amdhsa_system_vgpr_workitem_id 0
		.amdhsa_next_free_vgpr 10
		.amdhsa_next_free_sgpr 16
		.amdhsa_reserve_vcc 1
		.amdhsa_float_round_mode_32 0
		.amdhsa_float_round_mode_16_64 0
		.amdhsa_float_denorm_mode_32 3
		.amdhsa_float_denorm_mode_16_64 3
		.amdhsa_dx10_clamp 1
		.amdhsa_ieee_mode 1
		.amdhsa_fp16_overflow 0
		.amdhsa_workgroup_processor_mode 1
		.amdhsa_memory_ordered 1
		.amdhsa_forward_progress 0
		.amdhsa_shared_vgpr_count 0
		.amdhsa_exception_fp_ieee_invalid_op 0
		.amdhsa_exception_fp_denorm_src 0
		.amdhsa_exception_fp_ieee_div_zero 0
		.amdhsa_exception_fp_ieee_overflow 0
		.amdhsa_exception_fp_ieee_underflow 0
		.amdhsa_exception_fp_ieee_inexact 0
		.amdhsa_exception_int_div_zero 0
	.end_amdhsa_kernel
	.section	.text._Z33warp_exclusive_scan_reduce_kernelIfLj64ELj4EENSt9enable_ifIXsr10test_utilsE35device_test_enabled_for_warp_size_vIXT1_EEEvE4typeEPT_S4_S4_S3_,"axG",@progbits,_Z33warp_exclusive_scan_reduce_kernelIfLj64ELj4EENSt9enable_ifIXsr10test_utilsE35device_test_enabled_for_warp_size_vIXT1_EEEvE4typeEPT_S4_S4_S3_,comdat
.Lfunc_end212:
	.size	_Z33warp_exclusive_scan_reduce_kernelIfLj64ELj4EENSt9enable_ifIXsr10test_utilsE35device_test_enabled_for_warp_size_vIXT1_EEEvE4typeEPT_S4_S4_S3_, .Lfunc_end212-_Z33warp_exclusive_scan_reduce_kernelIfLj64ELj4EENSt9enable_ifIXsr10test_utilsE35device_test_enabled_for_warp_size_vIXT1_EEEvE4typeEPT_S4_S4_S3_
                                        ; -- End function
	.section	.AMDGPU.csdata,"",@progbits
; Kernel info:
; codeLenInByte = 312
; NumSgprs: 18
; NumVgprs: 10
; ScratchSize: 0
; MemoryBound: 0
; FloatMode: 240
; IeeeMode: 1
; LDSByteSize: 0 bytes/workgroup (compile time only)
; SGPRBlocks: 2
; VGPRBlocks: 1
; NumSGPRsForWavesPerEU: 18
; NumVGPRsForWavesPerEU: 10
; Occupancy: 16
; WaveLimiterHint : 0
; COMPUTE_PGM_RSRC2:SCRATCH_EN: 0
; COMPUTE_PGM_RSRC2:USER_SGPR: 15
; COMPUTE_PGM_RSRC2:TRAP_HANDLER: 0
; COMPUTE_PGM_RSRC2:TGID_X_EN: 1
; COMPUTE_PGM_RSRC2:TGID_Y_EN: 0
; COMPUTE_PGM_RSRC2:TGID_Z_EN: 0
; COMPUTE_PGM_RSRC2:TIDIG_COMP_CNT: 0
	.section	.text._Z33warp_exclusive_scan_reduce_kernelIfLj32ELj2EENSt9enable_ifIXsr10test_utilsE35device_test_enabled_for_warp_size_vIXT1_EEEvE4typeEPT_S4_S4_S3_,"axG",@progbits,_Z33warp_exclusive_scan_reduce_kernelIfLj32ELj2EENSt9enable_ifIXsr10test_utilsE35device_test_enabled_for_warp_size_vIXT1_EEEvE4typeEPT_S4_S4_S3_,comdat
	.protected	_Z33warp_exclusive_scan_reduce_kernelIfLj32ELj2EENSt9enable_ifIXsr10test_utilsE35device_test_enabled_for_warp_size_vIXT1_EEEvE4typeEPT_S4_S4_S3_ ; -- Begin function _Z33warp_exclusive_scan_reduce_kernelIfLj32ELj2EENSt9enable_ifIXsr10test_utilsE35device_test_enabled_for_warp_size_vIXT1_EEEvE4typeEPT_S4_S4_S3_
	.globl	_Z33warp_exclusive_scan_reduce_kernelIfLj32ELj2EENSt9enable_ifIXsr10test_utilsE35device_test_enabled_for_warp_size_vIXT1_EEEvE4typeEPT_S4_S4_S3_
	.p2align	8
	.type	_Z33warp_exclusive_scan_reduce_kernelIfLj32ELj2EENSt9enable_ifIXsr10test_utilsE35device_test_enabled_for_warp_size_vIXT1_EEEvE4typeEPT_S4_S4_S3_,@function
_Z33warp_exclusive_scan_reduce_kernelIfLj32ELj2EENSt9enable_ifIXsr10test_utilsE35device_test_enabled_for_warp_size_vIXT1_EEEvE4typeEPT_S4_S4_S3_: ; @_Z33warp_exclusive_scan_reduce_kernelIfLj32ELj2EENSt9enable_ifIXsr10test_utilsE35device_test_enabled_for_warp_size_vIXT1_EEEvE4typeEPT_S4_S4_S3_
; %bb.0:
	s_clause 0x1
	s_load_b32 s2, s[0:1], 0x2c
	s_load_b128 s[4:7], s[0:1], 0x0
	s_waitcnt lgkmcnt(0)
	s_and_b32 s2, s2, 0xffff
	s_delay_alu instid0(SALU_CYCLE_1) | instskip(SKIP_3) | instid1(VALU_DEP_2)
	v_mad_u64_u32 v[1:2], null, s15, s2, v[0:1]
	v_mov_b32_e32 v2, 0
	s_load_b32 s2, s[0:1], 0x18
	v_and_b32_e32 v0, 1, v0
	v_lshlrev_b64 v[4:5], 2, v[1:2]
	s_delay_alu instid0(VALU_DEP_1) | instskip(NEXT) | instid1(VALU_DEP_2)
	v_add_co_u32 v6, vcc_lo, s4, v4
	v_add_co_ci_u32_e32 v7, vcc_lo, s5, v5, vcc_lo
	global_load_b32 v3, v[6:7], off
	v_mbcnt_lo_u32_b32 v6, -1, 0
	s_delay_alu instid0(VALU_DEP_1) | instskip(SKIP_2) | instid1(VALU_DEP_1)
	v_add_nc_u32_e32 v9, -1, v6
	s_waitcnt vmcnt(0)
	v_mov_b32_dpp v7, v3 row_shr:1 row_mask:0xf bank_mask:0xf
	v_dual_add_f32 v7, v3, v7 :: v_dual_and_b32 v8, 30, v6
	v_and_b32_e32 v10, 1, v6
	s_delay_alu instid0(VALU_DEP_2) | instskip(SKIP_1) | instid1(VALU_DEP_3)
	v_cmp_lt_i32_e32 vcc_lo, v9, v8
	v_cndmask_b32_e32 v8, v9, v6, vcc_lo
	v_cmp_eq_u32_e32 vcc_lo, 0, v10
	v_lshl_or_b32 v6, v6, 2, 4
	v_cndmask_b32_e32 v3, v7, v3, vcc_lo
	s_waitcnt lgkmcnt(0)
	s_delay_alu instid0(VALU_DEP_1)
	v_dual_add_f32 v8, s2, v3 :: v_dual_lshlrev_b32 v7, 2, v8
	ds_bpermute_b32 v3, v6, v3
	ds_bpermute_b32 v7, v7, v8
	s_waitcnt lgkmcnt(0)
	v_cndmask_b32_e64 v6, v7, s2, vcc_lo
	v_add_co_u32 v4, vcc_lo, s6, v4
	v_add_co_ci_u32_e32 v5, vcc_lo, s7, v5, vcc_lo
	s_mov_b32 s2, exec_lo
	global_store_b32 v[4:5], v6, off
	v_cmpx_eq_u32_e32 0, v0
	s_cbranch_execz .LBB213_2
; %bb.1:
	s_load_b64 s[0:1], s[0:1], 0x10
	v_lshrrev_b32_e32 v1, 1, v1
	s_delay_alu instid0(VALU_DEP_1) | instskip(SKIP_1) | instid1(VALU_DEP_1)
	v_lshlrev_b64 v[0:1], 2, v[1:2]
	s_waitcnt lgkmcnt(0)
	v_add_co_u32 v0, vcc_lo, s0, v0
	s_delay_alu instid0(VALU_DEP_2)
	v_add_co_ci_u32_e32 v1, vcc_lo, s1, v1, vcc_lo
	global_store_b32 v[0:1], v3, off
.LBB213_2:
	s_nop 0
	s_sendmsg sendmsg(MSG_DEALLOC_VGPRS)
	s_endpgm
	.section	.rodata,"a",@progbits
	.p2align	6, 0x0
	.amdhsa_kernel _Z33warp_exclusive_scan_reduce_kernelIfLj32ELj2EENSt9enable_ifIXsr10test_utilsE35device_test_enabled_for_warp_size_vIXT1_EEEvE4typeEPT_S4_S4_S3_
		.amdhsa_group_segment_fixed_size 0
		.amdhsa_private_segment_fixed_size 0
		.amdhsa_kernarg_size 288
		.amdhsa_user_sgpr_count 15
		.amdhsa_user_sgpr_dispatch_ptr 0
		.amdhsa_user_sgpr_queue_ptr 0
		.amdhsa_user_sgpr_kernarg_segment_ptr 1
		.amdhsa_user_sgpr_dispatch_id 0
		.amdhsa_user_sgpr_private_segment_size 0
		.amdhsa_wavefront_size32 1
		.amdhsa_uses_dynamic_stack 0
		.amdhsa_enable_private_segment 0
		.amdhsa_system_sgpr_workgroup_id_x 1
		.amdhsa_system_sgpr_workgroup_id_y 0
		.amdhsa_system_sgpr_workgroup_id_z 0
		.amdhsa_system_sgpr_workgroup_info 0
		.amdhsa_system_vgpr_workitem_id 0
		.amdhsa_next_free_vgpr 11
		.amdhsa_next_free_sgpr 16
		.amdhsa_reserve_vcc 1
		.amdhsa_float_round_mode_32 0
		.amdhsa_float_round_mode_16_64 0
		.amdhsa_float_denorm_mode_32 3
		.amdhsa_float_denorm_mode_16_64 3
		.amdhsa_dx10_clamp 1
		.amdhsa_ieee_mode 1
		.amdhsa_fp16_overflow 0
		.amdhsa_workgroup_processor_mode 1
		.amdhsa_memory_ordered 1
		.amdhsa_forward_progress 0
		.amdhsa_shared_vgpr_count 0
		.amdhsa_exception_fp_ieee_invalid_op 0
		.amdhsa_exception_fp_denorm_src 0
		.amdhsa_exception_fp_ieee_div_zero 0
		.amdhsa_exception_fp_ieee_overflow 0
		.amdhsa_exception_fp_ieee_underflow 0
		.amdhsa_exception_fp_ieee_inexact 0
		.amdhsa_exception_int_div_zero 0
	.end_amdhsa_kernel
	.section	.text._Z33warp_exclusive_scan_reduce_kernelIfLj32ELj2EENSt9enable_ifIXsr10test_utilsE35device_test_enabled_for_warp_size_vIXT1_EEEvE4typeEPT_S4_S4_S3_,"axG",@progbits,_Z33warp_exclusive_scan_reduce_kernelIfLj32ELj2EENSt9enable_ifIXsr10test_utilsE35device_test_enabled_for_warp_size_vIXT1_EEEvE4typeEPT_S4_S4_S3_,comdat
.Lfunc_end213:
	.size	_Z33warp_exclusive_scan_reduce_kernelIfLj32ELj2EENSt9enable_ifIXsr10test_utilsE35device_test_enabled_for_warp_size_vIXT1_EEEvE4typeEPT_S4_S4_S3_, .Lfunc_end213-_Z33warp_exclusive_scan_reduce_kernelIfLj32ELj2EENSt9enable_ifIXsr10test_utilsE35device_test_enabled_for_warp_size_vIXT1_EEEvE4typeEPT_S4_S4_S3_
                                        ; -- End function
	.section	.AMDGPU.csdata,"",@progbits
; Kernel info:
; codeLenInByte = 300
; NumSgprs: 18
; NumVgprs: 11
; ScratchSize: 0
; MemoryBound: 0
; FloatMode: 240
; IeeeMode: 1
; LDSByteSize: 0 bytes/workgroup (compile time only)
; SGPRBlocks: 2
; VGPRBlocks: 1
; NumSGPRsForWavesPerEU: 18
; NumVGPRsForWavesPerEU: 11
; Occupancy: 16
; WaveLimiterHint : 0
; COMPUTE_PGM_RSRC2:SCRATCH_EN: 0
; COMPUTE_PGM_RSRC2:USER_SGPR: 15
; COMPUTE_PGM_RSRC2:TRAP_HANDLER: 0
; COMPUTE_PGM_RSRC2:TGID_X_EN: 1
; COMPUTE_PGM_RSRC2:TGID_Y_EN: 0
; COMPUTE_PGM_RSRC2:TGID_Z_EN: 0
; COMPUTE_PGM_RSRC2:TIDIG_COMP_CNT: 0
	.section	.text._Z33warp_exclusive_scan_reduce_kernelIfLj64ELj2EENSt9enable_ifIXsr10test_utilsE35device_test_enabled_for_warp_size_vIXT1_EEEvE4typeEPT_S4_S4_S3_,"axG",@progbits,_Z33warp_exclusive_scan_reduce_kernelIfLj64ELj2EENSt9enable_ifIXsr10test_utilsE35device_test_enabled_for_warp_size_vIXT1_EEEvE4typeEPT_S4_S4_S3_,comdat
	.protected	_Z33warp_exclusive_scan_reduce_kernelIfLj64ELj2EENSt9enable_ifIXsr10test_utilsE35device_test_enabled_for_warp_size_vIXT1_EEEvE4typeEPT_S4_S4_S3_ ; -- Begin function _Z33warp_exclusive_scan_reduce_kernelIfLj64ELj2EENSt9enable_ifIXsr10test_utilsE35device_test_enabled_for_warp_size_vIXT1_EEEvE4typeEPT_S4_S4_S3_
	.globl	_Z33warp_exclusive_scan_reduce_kernelIfLj64ELj2EENSt9enable_ifIXsr10test_utilsE35device_test_enabled_for_warp_size_vIXT1_EEEvE4typeEPT_S4_S4_S3_
	.p2align	8
	.type	_Z33warp_exclusive_scan_reduce_kernelIfLj64ELj2EENSt9enable_ifIXsr10test_utilsE35device_test_enabled_for_warp_size_vIXT1_EEEvE4typeEPT_S4_S4_S3_,@function
_Z33warp_exclusive_scan_reduce_kernelIfLj64ELj2EENSt9enable_ifIXsr10test_utilsE35device_test_enabled_for_warp_size_vIXT1_EEEvE4typeEPT_S4_S4_S3_: ; @_Z33warp_exclusive_scan_reduce_kernelIfLj64ELj2EENSt9enable_ifIXsr10test_utilsE35device_test_enabled_for_warp_size_vIXT1_EEEvE4typeEPT_S4_S4_S3_
; %bb.0:
	s_clause 0x1
	s_load_b32 s2, s[0:1], 0x2c
	s_load_b128 s[4:7], s[0:1], 0x0
	s_waitcnt lgkmcnt(0)
	s_and_b32 s2, s2, 0xffff
	s_delay_alu instid0(SALU_CYCLE_1) | instskip(SKIP_3) | instid1(VALU_DEP_2)
	v_mad_u64_u32 v[1:2], null, s15, s2, v[0:1]
	v_mov_b32_e32 v2, 0
	s_load_b32 s2, s[0:1], 0x18
	v_and_b32_e32 v0, 1, v0
	v_lshlrev_b64 v[4:5], 2, v[1:2]
	s_delay_alu instid0(VALU_DEP_1) | instskip(NEXT) | instid1(VALU_DEP_2)
	v_add_co_u32 v6, vcc_lo, s4, v4
	v_add_co_ci_u32_e32 v7, vcc_lo, s5, v5, vcc_lo
	global_load_b32 v3, v[6:7], off
	v_mbcnt_lo_u32_b32 v6, -1, 0
	s_delay_alu instid0(VALU_DEP_1) | instskip(SKIP_2) | instid1(VALU_DEP_1)
	v_add_nc_u32_e32 v9, -1, v6
	s_waitcnt vmcnt(0)
	v_mov_b32_dpp v7, v3 row_shr:1 row_mask:0xf bank_mask:0xf
	v_dual_add_f32 v7, v3, v7 :: v_dual_and_b32 v8, 30, v6
	v_and_b32_e32 v10, 1, v6
	s_delay_alu instid0(VALU_DEP_2) | instskip(SKIP_1) | instid1(VALU_DEP_3)
	v_cmp_lt_i32_e32 vcc_lo, v9, v8
	v_cndmask_b32_e32 v8, v9, v6, vcc_lo
	v_cmp_eq_u32_e32 vcc_lo, 0, v10
	v_lshl_or_b32 v6, v6, 2, 4
	v_cndmask_b32_e32 v3, v7, v3, vcc_lo
	s_waitcnt lgkmcnt(0)
	s_delay_alu instid0(VALU_DEP_1)
	v_dual_add_f32 v8, s2, v3 :: v_dual_lshlrev_b32 v7, 2, v8
	ds_bpermute_b32 v3, v6, v3
	ds_bpermute_b32 v7, v7, v8
	s_waitcnt lgkmcnt(0)
	v_cndmask_b32_e64 v6, v7, s2, vcc_lo
	v_add_co_u32 v4, vcc_lo, s6, v4
	v_add_co_ci_u32_e32 v5, vcc_lo, s7, v5, vcc_lo
	s_mov_b32 s2, exec_lo
	global_store_b32 v[4:5], v6, off
	v_cmpx_eq_u32_e32 0, v0
	s_cbranch_execz .LBB214_2
; %bb.1:
	s_load_b64 s[0:1], s[0:1], 0x10
	v_lshrrev_b32_e32 v1, 1, v1
	s_delay_alu instid0(VALU_DEP_1) | instskip(SKIP_1) | instid1(VALU_DEP_1)
	v_lshlrev_b64 v[0:1], 2, v[1:2]
	s_waitcnt lgkmcnt(0)
	v_add_co_u32 v0, vcc_lo, s0, v0
	s_delay_alu instid0(VALU_DEP_2)
	v_add_co_ci_u32_e32 v1, vcc_lo, s1, v1, vcc_lo
	global_store_b32 v[0:1], v3, off
.LBB214_2:
	s_nop 0
	s_sendmsg sendmsg(MSG_DEALLOC_VGPRS)
	s_endpgm
	.section	.rodata,"a",@progbits
	.p2align	6, 0x0
	.amdhsa_kernel _Z33warp_exclusive_scan_reduce_kernelIfLj64ELj2EENSt9enable_ifIXsr10test_utilsE35device_test_enabled_for_warp_size_vIXT1_EEEvE4typeEPT_S4_S4_S3_
		.amdhsa_group_segment_fixed_size 0
		.amdhsa_private_segment_fixed_size 0
		.amdhsa_kernarg_size 288
		.amdhsa_user_sgpr_count 15
		.amdhsa_user_sgpr_dispatch_ptr 0
		.amdhsa_user_sgpr_queue_ptr 0
		.amdhsa_user_sgpr_kernarg_segment_ptr 1
		.amdhsa_user_sgpr_dispatch_id 0
		.amdhsa_user_sgpr_private_segment_size 0
		.amdhsa_wavefront_size32 1
		.amdhsa_uses_dynamic_stack 0
		.amdhsa_enable_private_segment 0
		.amdhsa_system_sgpr_workgroup_id_x 1
		.amdhsa_system_sgpr_workgroup_id_y 0
		.amdhsa_system_sgpr_workgroup_id_z 0
		.amdhsa_system_sgpr_workgroup_info 0
		.amdhsa_system_vgpr_workitem_id 0
		.amdhsa_next_free_vgpr 11
		.amdhsa_next_free_sgpr 16
		.amdhsa_reserve_vcc 1
		.amdhsa_float_round_mode_32 0
		.amdhsa_float_round_mode_16_64 0
		.amdhsa_float_denorm_mode_32 3
		.amdhsa_float_denorm_mode_16_64 3
		.amdhsa_dx10_clamp 1
		.amdhsa_ieee_mode 1
		.amdhsa_fp16_overflow 0
		.amdhsa_workgroup_processor_mode 1
		.amdhsa_memory_ordered 1
		.amdhsa_forward_progress 0
		.amdhsa_shared_vgpr_count 0
		.amdhsa_exception_fp_ieee_invalid_op 0
		.amdhsa_exception_fp_denorm_src 0
		.amdhsa_exception_fp_ieee_div_zero 0
		.amdhsa_exception_fp_ieee_overflow 0
		.amdhsa_exception_fp_ieee_underflow 0
		.amdhsa_exception_fp_ieee_inexact 0
		.amdhsa_exception_int_div_zero 0
	.end_amdhsa_kernel
	.section	.text._Z33warp_exclusive_scan_reduce_kernelIfLj64ELj2EENSt9enable_ifIXsr10test_utilsE35device_test_enabled_for_warp_size_vIXT1_EEEvE4typeEPT_S4_S4_S3_,"axG",@progbits,_Z33warp_exclusive_scan_reduce_kernelIfLj64ELj2EENSt9enable_ifIXsr10test_utilsE35device_test_enabled_for_warp_size_vIXT1_EEEvE4typeEPT_S4_S4_S3_,comdat
.Lfunc_end214:
	.size	_Z33warp_exclusive_scan_reduce_kernelIfLj64ELj2EENSt9enable_ifIXsr10test_utilsE35device_test_enabled_for_warp_size_vIXT1_EEEvE4typeEPT_S4_S4_S3_, .Lfunc_end214-_Z33warp_exclusive_scan_reduce_kernelIfLj64ELj2EENSt9enable_ifIXsr10test_utilsE35device_test_enabled_for_warp_size_vIXT1_EEEvE4typeEPT_S4_S4_S3_
                                        ; -- End function
	.section	.AMDGPU.csdata,"",@progbits
; Kernel info:
; codeLenInByte = 300
; NumSgprs: 18
; NumVgprs: 11
; ScratchSize: 0
; MemoryBound: 0
; FloatMode: 240
; IeeeMode: 1
; LDSByteSize: 0 bytes/workgroup (compile time only)
; SGPRBlocks: 2
; VGPRBlocks: 1
; NumSGPRsForWavesPerEU: 18
; NumVGPRsForWavesPerEU: 11
; Occupancy: 16
; WaveLimiterHint : 0
; COMPUTE_PGM_RSRC2:SCRATCH_EN: 0
; COMPUTE_PGM_RSRC2:USER_SGPR: 15
; COMPUTE_PGM_RSRC2:TRAP_HANDLER: 0
; COMPUTE_PGM_RSRC2:TGID_X_EN: 1
; COMPUTE_PGM_RSRC2:TGID_Y_EN: 0
; COMPUTE_PGM_RSRC2:TGID_Z_EN: 0
; COMPUTE_PGM_RSRC2:TIDIG_COMP_CNT: 0
	.section	.text._Z33warp_exclusive_scan_reduce_kernelIiLj256ELj64EENSt9enable_ifIXntsr10test_utilsE35device_test_enabled_for_warp_size_vIXT1_EEEvE4typeEPT_S4_S4_S3_,"axG",@progbits,_Z33warp_exclusive_scan_reduce_kernelIiLj256ELj64EENSt9enable_ifIXntsr10test_utilsE35device_test_enabled_for_warp_size_vIXT1_EEEvE4typeEPT_S4_S4_S3_,comdat
	.protected	_Z33warp_exclusive_scan_reduce_kernelIiLj256ELj64EENSt9enable_ifIXntsr10test_utilsE35device_test_enabled_for_warp_size_vIXT1_EEEvE4typeEPT_S4_S4_S3_ ; -- Begin function _Z33warp_exclusive_scan_reduce_kernelIiLj256ELj64EENSt9enable_ifIXntsr10test_utilsE35device_test_enabled_for_warp_size_vIXT1_EEEvE4typeEPT_S4_S4_S3_
	.globl	_Z33warp_exclusive_scan_reduce_kernelIiLj256ELj64EENSt9enable_ifIXntsr10test_utilsE35device_test_enabled_for_warp_size_vIXT1_EEEvE4typeEPT_S4_S4_S3_
	.p2align	8
	.type	_Z33warp_exclusive_scan_reduce_kernelIiLj256ELj64EENSt9enable_ifIXntsr10test_utilsE35device_test_enabled_for_warp_size_vIXT1_EEEvE4typeEPT_S4_S4_S3_,@function
_Z33warp_exclusive_scan_reduce_kernelIiLj256ELj64EENSt9enable_ifIXntsr10test_utilsE35device_test_enabled_for_warp_size_vIXT1_EEEvE4typeEPT_S4_S4_S3_: ; @_Z33warp_exclusive_scan_reduce_kernelIiLj256ELj64EENSt9enable_ifIXntsr10test_utilsE35device_test_enabled_for_warp_size_vIXT1_EEEvE4typeEPT_S4_S4_S3_
; %bb.0:
	s_endpgm
	.section	.rodata,"a",@progbits
	.p2align	6, 0x0
	.amdhsa_kernel _Z33warp_exclusive_scan_reduce_kernelIiLj256ELj64EENSt9enable_ifIXntsr10test_utilsE35device_test_enabled_for_warp_size_vIXT1_EEEvE4typeEPT_S4_S4_S3_
		.amdhsa_group_segment_fixed_size 0
		.amdhsa_private_segment_fixed_size 0
		.amdhsa_kernarg_size 28
		.amdhsa_user_sgpr_count 15
		.amdhsa_user_sgpr_dispatch_ptr 0
		.amdhsa_user_sgpr_queue_ptr 0
		.amdhsa_user_sgpr_kernarg_segment_ptr 1
		.amdhsa_user_sgpr_dispatch_id 0
		.amdhsa_user_sgpr_private_segment_size 0
		.amdhsa_wavefront_size32 1
		.amdhsa_uses_dynamic_stack 0
		.amdhsa_enable_private_segment 0
		.amdhsa_system_sgpr_workgroup_id_x 1
		.amdhsa_system_sgpr_workgroup_id_y 0
		.amdhsa_system_sgpr_workgroup_id_z 0
		.amdhsa_system_sgpr_workgroup_info 0
		.amdhsa_system_vgpr_workitem_id 0
		.amdhsa_next_free_vgpr 1
		.amdhsa_next_free_sgpr 1
		.amdhsa_reserve_vcc 0
		.amdhsa_float_round_mode_32 0
		.amdhsa_float_round_mode_16_64 0
		.amdhsa_float_denorm_mode_32 3
		.amdhsa_float_denorm_mode_16_64 3
		.amdhsa_dx10_clamp 1
		.amdhsa_ieee_mode 1
		.amdhsa_fp16_overflow 0
		.amdhsa_workgroup_processor_mode 1
		.amdhsa_memory_ordered 1
		.amdhsa_forward_progress 0
		.amdhsa_shared_vgpr_count 0
		.amdhsa_exception_fp_ieee_invalid_op 0
		.amdhsa_exception_fp_denorm_src 0
		.amdhsa_exception_fp_ieee_div_zero 0
		.amdhsa_exception_fp_ieee_overflow 0
		.amdhsa_exception_fp_ieee_underflow 0
		.amdhsa_exception_fp_ieee_inexact 0
		.amdhsa_exception_int_div_zero 0
	.end_amdhsa_kernel
	.section	.text._Z33warp_exclusive_scan_reduce_kernelIiLj256ELj64EENSt9enable_ifIXntsr10test_utilsE35device_test_enabled_for_warp_size_vIXT1_EEEvE4typeEPT_S4_S4_S3_,"axG",@progbits,_Z33warp_exclusive_scan_reduce_kernelIiLj256ELj64EENSt9enable_ifIXntsr10test_utilsE35device_test_enabled_for_warp_size_vIXT1_EEEvE4typeEPT_S4_S4_S3_,comdat
.Lfunc_end215:
	.size	_Z33warp_exclusive_scan_reduce_kernelIiLj256ELj64EENSt9enable_ifIXntsr10test_utilsE35device_test_enabled_for_warp_size_vIXT1_EEEvE4typeEPT_S4_S4_S3_, .Lfunc_end215-_Z33warp_exclusive_scan_reduce_kernelIiLj256ELj64EENSt9enable_ifIXntsr10test_utilsE35device_test_enabled_for_warp_size_vIXT1_EEEvE4typeEPT_S4_S4_S3_
                                        ; -- End function
	.section	.AMDGPU.csdata,"",@progbits
; Kernel info:
; codeLenInByte = 4
; NumSgprs: 0
; NumVgprs: 0
; ScratchSize: 0
; MemoryBound: 0
; FloatMode: 240
; IeeeMode: 1
; LDSByteSize: 0 bytes/workgroup (compile time only)
; SGPRBlocks: 0
; VGPRBlocks: 0
; NumSGPRsForWavesPerEU: 1
; NumVGPRsForWavesPerEU: 1
; Occupancy: 16
; WaveLimiterHint : 0
; COMPUTE_PGM_RSRC2:SCRATCH_EN: 0
; COMPUTE_PGM_RSRC2:USER_SGPR: 15
; COMPUTE_PGM_RSRC2:TRAP_HANDLER: 0
; COMPUTE_PGM_RSRC2:TGID_X_EN: 1
; COMPUTE_PGM_RSRC2:TGID_Y_EN: 0
; COMPUTE_PGM_RSRC2:TGID_Z_EN: 0
; COMPUTE_PGM_RSRC2:TIDIG_COMP_CNT: 0
	.section	.text._Z33warp_exclusive_scan_reduce_kernelIiLj128ELj32EENSt9enable_ifIXsr10test_utilsE35device_test_enabled_for_warp_size_vIXT1_EEEvE4typeEPT_S4_S4_S3_,"axG",@progbits,_Z33warp_exclusive_scan_reduce_kernelIiLj128ELj32EENSt9enable_ifIXsr10test_utilsE35device_test_enabled_for_warp_size_vIXT1_EEEvE4typeEPT_S4_S4_S3_,comdat
	.protected	_Z33warp_exclusive_scan_reduce_kernelIiLj128ELj32EENSt9enable_ifIXsr10test_utilsE35device_test_enabled_for_warp_size_vIXT1_EEEvE4typeEPT_S4_S4_S3_ ; -- Begin function _Z33warp_exclusive_scan_reduce_kernelIiLj128ELj32EENSt9enable_ifIXsr10test_utilsE35device_test_enabled_for_warp_size_vIXT1_EEEvE4typeEPT_S4_S4_S3_
	.globl	_Z33warp_exclusive_scan_reduce_kernelIiLj128ELj32EENSt9enable_ifIXsr10test_utilsE35device_test_enabled_for_warp_size_vIXT1_EEEvE4typeEPT_S4_S4_S3_
	.p2align	8
	.type	_Z33warp_exclusive_scan_reduce_kernelIiLj128ELj32EENSt9enable_ifIXsr10test_utilsE35device_test_enabled_for_warp_size_vIXT1_EEEvE4typeEPT_S4_S4_S3_,@function
_Z33warp_exclusive_scan_reduce_kernelIiLj128ELj32EENSt9enable_ifIXsr10test_utilsE35device_test_enabled_for_warp_size_vIXT1_EEEvE4typeEPT_S4_S4_S3_: ; @_Z33warp_exclusive_scan_reduce_kernelIiLj128ELj32EENSt9enable_ifIXsr10test_utilsE35device_test_enabled_for_warp_size_vIXT1_EEEvE4typeEPT_S4_S4_S3_
; %bb.0:
	s_clause 0x1
	s_load_b32 s2, s[0:1], 0x2c
	s_load_b128 s[4:7], s[0:1], 0x0
	s_waitcnt lgkmcnt(0)
	s_and_b32 s2, s2, 0xffff
	s_delay_alu instid0(SALU_CYCLE_1) | instskip(SKIP_3) | instid1(VALU_DEP_2)
	v_mad_u64_u32 v[1:2], null, s15, s2, v[0:1]
	v_mov_b32_e32 v2, 0
	s_load_b32 s2, s[0:1], 0x18
	v_and_b32_e32 v0, 31, v0
	v_lshlrev_b64 v[3:4], 2, v[1:2]
	s_delay_alu instid0(VALU_DEP_1) | instskip(NEXT) | instid1(VALU_DEP_2)
	v_add_co_u32 v5, vcc_lo, s4, v3
	v_add_co_ci_u32_e32 v6, vcc_lo, s5, v4, vcc_lo
	global_load_b32 v5, v[5:6], off
	v_mbcnt_lo_u32_b32 v6, -1, 0
	s_delay_alu instid0(VALU_DEP_1) | instskip(SKIP_1) | instid1(VALU_DEP_2)
	v_and_b32_e32 v7, 15, v6
	v_add_nc_u32_e32 v9, -1, v6
	v_cmp_ne_u32_e32 vcc_lo, 0, v7
	s_waitcnt vmcnt(0)
	v_mov_b32_dpp v8, v5 row_shr:1 row_mask:0xf bank_mask:0xf
	s_delay_alu instid0(VALU_DEP_1) | instskip(SKIP_1) | instid1(VALU_DEP_2)
	v_cndmask_b32_e32 v8, 0, v8, vcc_lo
	v_cmp_lt_u32_e32 vcc_lo, 1, v7
	v_add_nc_u32_e32 v5, v8, v5
	s_delay_alu instid0(VALU_DEP_1) | instskip(NEXT) | instid1(VALU_DEP_1)
	v_mov_b32_dpp v8, v5 row_shr:2 row_mask:0xf bank_mask:0xf
	v_cndmask_b32_e32 v8, 0, v8, vcc_lo
	v_cmp_lt_u32_e32 vcc_lo, 3, v7
	s_delay_alu instid0(VALU_DEP_2) | instskip(NEXT) | instid1(VALU_DEP_1)
	v_add_nc_u32_e32 v5, v5, v8
	v_mov_b32_dpp v8, v5 row_shr:4 row_mask:0xf bank_mask:0xf
	s_delay_alu instid0(VALU_DEP_1) | instskip(SKIP_1) | instid1(VALU_DEP_2)
	v_cndmask_b32_e32 v8, 0, v8, vcc_lo
	v_cmp_lt_u32_e32 vcc_lo, 7, v7
	v_add_nc_u32_e32 v5, v5, v8
	s_delay_alu instid0(VALU_DEP_1) | instskip(NEXT) | instid1(VALU_DEP_1)
	v_mov_b32_dpp v8, v5 row_shr:8 row_mask:0xf bank_mask:0xf
	v_cndmask_b32_e32 v7, 0, v8, vcc_lo
	v_bfe_i32 v8, v6, 4, 1
	v_cmp_gt_i32_e32 vcc_lo, 0, v9
	s_delay_alu instid0(VALU_DEP_3) | instskip(SKIP_4) | instid1(VALU_DEP_2)
	v_add_nc_u32_e32 v5, v5, v7
	ds_swizzle_b32 v7, v5 offset:swizzle(BROADCAST,32,15)
	s_waitcnt lgkmcnt(0)
	v_dual_cndmask_b32 v8, v9, v6 :: v_dual_and_b32 v7, v8, v7
	v_cmp_eq_u32_e32 vcc_lo, 0, v6
	v_add_nc_u32_e32 v5, v5, v7
	s_delay_alu instid0(VALU_DEP_3) | instskip(NEXT) | instid1(VALU_DEP_2)
	v_lshlrev_b32_e32 v7, 2, v8
	v_add_nc_u32_e32 v8, s2, v5
	ds_bpermute_b32 v2, v2, v5 offset:124
	ds_bpermute_b32 v7, v7, v8
	s_waitcnt lgkmcnt(0)
	v_cndmask_b32_e64 v5, v7, s2, vcc_lo
	v_add_co_u32 v3, vcc_lo, s6, v3
	v_add_co_ci_u32_e32 v4, vcc_lo, s7, v4, vcc_lo
	s_mov_b32 s2, exec_lo
	global_store_b32 v[3:4], v5, off
	v_cmpx_eq_u32_e32 0, v0
	s_cbranch_execz .LBB216_2
; %bb.1:
	s_load_b64 s[0:1], s[0:1], 0x10
	v_lshrrev_b32_e32 v0, 3, v1
	s_delay_alu instid0(VALU_DEP_1)
	v_and_b32_e32 v0, 0x1ffffffc, v0
	s_waitcnt lgkmcnt(0)
	global_store_b32 v0, v2, s[0:1]
.LBB216_2:
	s_nop 0
	s_sendmsg sendmsg(MSG_DEALLOC_VGPRS)
	s_endpgm
	.section	.rodata,"a",@progbits
	.p2align	6, 0x0
	.amdhsa_kernel _Z33warp_exclusive_scan_reduce_kernelIiLj128ELj32EENSt9enable_ifIXsr10test_utilsE35device_test_enabled_for_warp_size_vIXT1_EEEvE4typeEPT_S4_S4_S3_
		.amdhsa_group_segment_fixed_size 0
		.amdhsa_private_segment_fixed_size 0
		.amdhsa_kernarg_size 288
		.amdhsa_user_sgpr_count 15
		.amdhsa_user_sgpr_dispatch_ptr 0
		.amdhsa_user_sgpr_queue_ptr 0
		.amdhsa_user_sgpr_kernarg_segment_ptr 1
		.amdhsa_user_sgpr_dispatch_id 0
		.amdhsa_user_sgpr_private_segment_size 0
		.amdhsa_wavefront_size32 1
		.amdhsa_uses_dynamic_stack 0
		.amdhsa_enable_private_segment 0
		.amdhsa_system_sgpr_workgroup_id_x 1
		.amdhsa_system_sgpr_workgroup_id_y 0
		.amdhsa_system_sgpr_workgroup_id_z 0
		.amdhsa_system_sgpr_workgroup_info 0
		.amdhsa_system_vgpr_workitem_id 0
		.amdhsa_next_free_vgpr 10
		.amdhsa_next_free_sgpr 16
		.amdhsa_reserve_vcc 1
		.amdhsa_float_round_mode_32 0
		.amdhsa_float_round_mode_16_64 0
		.amdhsa_float_denorm_mode_32 3
		.amdhsa_float_denorm_mode_16_64 3
		.amdhsa_dx10_clamp 1
		.amdhsa_ieee_mode 1
		.amdhsa_fp16_overflow 0
		.amdhsa_workgroup_processor_mode 1
		.amdhsa_memory_ordered 1
		.amdhsa_forward_progress 0
		.amdhsa_shared_vgpr_count 0
		.amdhsa_exception_fp_ieee_invalid_op 0
		.amdhsa_exception_fp_denorm_src 0
		.amdhsa_exception_fp_ieee_div_zero 0
		.amdhsa_exception_fp_ieee_overflow 0
		.amdhsa_exception_fp_ieee_underflow 0
		.amdhsa_exception_fp_ieee_inexact 0
		.amdhsa_exception_int_div_zero 0
	.end_amdhsa_kernel
	.section	.text._Z33warp_exclusive_scan_reduce_kernelIiLj128ELj32EENSt9enable_ifIXsr10test_utilsE35device_test_enabled_for_warp_size_vIXT1_EEEvE4typeEPT_S4_S4_S3_,"axG",@progbits,_Z33warp_exclusive_scan_reduce_kernelIiLj128ELj32EENSt9enable_ifIXsr10test_utilsE35device_test_enabled_for_warp_size_vIXT1_EEEvE4typeEPT_S4_S4_S3_,comdat
.Lfunc_end216:
	.size	_Z33warp_exclusive_scan_reduce_kernelIiLj128ELj32EENSt9enable_ifIXsr10test_utilsE35device_test_enabled_for_warp_size_vIXT1_EEEvE4typeEPT_S4_S4_S3_, .Lfunc_end216-_Z33warp_exclusive_scan_reduce_kernelIiLj128ELj32EENSt9enable_ifIXsr10test_utilsE35device_test_enabled_for_warp_size_vIXT1_EEEvE4typeEPT_S4_S4_S3_
                                        ; -- End function
	.section	.AMDGPU.csdata,"",@progbits
; Kernel info:
; codeLenInByte = 380
; NumSgprs: 18
; NumVgprs: 10
; ScratchSize: 0
; MemoryBound: 0
; FloatMode: 240
; IeeeMode: 1
; LDSByteSize: 0 bytes/workgroup (compile time only)
; SGPRBlocks: 2
; VGPRBlocks: 1
; NumSGPRsForWavesPerEU: 18
; NumVGPRsForWavesPerEU: 10
; Occupancy: 16
; WaveLimiterHint : 0
; COMPUTE_PGM_RSRC2:SCRATCH_EN: 0
; COMPUTE_PGM_RSRC2:USER_SGPR: 15
; COMPUTE_PGM_RSRC2:TRAP_HANDLER: 0
; COMPUTE_PGM_RSRC2:TGID_X_EN: 1
; COMPUTE_PGM_RSRC2:TGID_Y_EN: 0
; COMPUTE_PGM_RSRC2:TGID_Z_EN: 0
; COMPUTE_PGM_RSRC2:TIDIG_COMP_CNT: 0
	.section	.text._Z33warp_exclusive_scan_reduce_kernelIiLj64ELj16EENSt9enable_ifIXsr10test_utilsE35device_test_enabled_for_warp_size_vIXT1_EEEvE4typeEPT_S4_S4_S3_,"axG",@progbits,_Z33warp_exclusive_scan_reduce_kernelIiLj64ELj16EENSt9enable_ifIXsr10test_utilsE35device_test_enabled_for_warp_size_vIXT1_EEEvE4typeEPT_S4_S4_S3_,comdat
	.protected	_Z33warp_exclusive_scan_reduce_kernelIiLj64ELj16EENSt9enable_ifIXsr10test_utilsE35device_test_enabled_for_warp_size_vIXT1_EEEvE4typeEPT_S4_S4_S3_ ; -- Begin function _Z33warp_exclusive_scan_reduce_kernelIiLj64ELj16EENSt9enable_ifIXsr10test_utilsE35device_test_enabled_for_warp_size_vIXT1_EEEvE4typeEPT_S4_S4_S3_
	.globl	_Z33warp_exclusive_scan_reduce_kernelIiLj64ELj16EENSt9enable_ifIXsr10test_utilsE35device_test_enabled_for_warp_size_vIXT1_EEEvE4typeEPT_S4_S4_S3_
	.p2align	8
	.type	_Z33warp_exclusive_scan_reduce_kernelIiLj64ELj16EENSt9enable_ifIXsr10test_utilsE35device_test_enabled_for_warp_size_vIXT1_EEEvE4typeEPT_S4_S4_S3_,@function
_Z33warp_exclusive_scan_reduce_kernelIiLj64ELj16EENSt9enable_ifIXsr10test_utilsE35device_test_enabled_for_warp_size_vIXT1_EEEvE4typeEPT_S4_S4_S3_: ; @_Z33warp_exclusive_scan_reduce_kernelIiLj64ELj16EENSt9enable_ifIXsr10test_utilsE35device_test_enabled_for_warp_size_vIXT1_EEEvE4typeEPT_S4_S4_S3_
; %bb.0:
	s_clause 0x2
	s_load_b32 s2, s[0:1], 0x2c
	s_load_b128 s[4:7], s[0:1], 0x0
	s_load_b32 s3, s[0:1], 0x18
	s_waitcnt lgkmcnt(0)
	s_and_b32 s2, s2, 0xffff
	s_delay_alu instid0(SALU_CYCLE_1) | instskip(SKIP_2) | instid1(VALU_DEP_2)
	v_mad_u64_u32 v[1:2], null, s15, s2, v[0:1]
	v_mov_b32_e32 v2, 0
	v_and_b32_e32 v0, 15, v0
	v_lshlrev_b64 v[3:4], 2, v[1:2]
	s_delay_alu instid0(VALU_DEP_1) | instskip(NEXT) | instid1(VALU_DEP_2)
	v_add_co_u32 v5, vcc_lo, s4, v3
	v_add_co_ci_u32_e32 v6, vcc_lo, s5, v4, vcc_lo
	global_load_b32 v2, v[5:6], off
	v_mbcnt_lo_u32_b32 v5, -1, 0
	s_delay_alu instid0(VALU_DEP_1) | instskip(SKIP_2) | instid1(VALU_DEP_2)
	v_add_nc_u32_e32 v9, -1, v5
	v_and_b32_e32 v6, 15, v5
	v_and_b32_e32 v8, 16, v5
	v_cmp_eq_u32_e32 vcc_lo, 0, v6
	v_cmp_lt_u32_e64 s2, 1, v6
	s_waitcnt vmcnt(0)
	v_mov_b32_dpp v7, v2 row_shr:1 row_mask:0xf bank_mask:0xf
	s_delay_alu instid0(VALU_DEP_1) | instskip(NEXT) | instid1(VALU_DEP_1)
	v_cndmask_b32_e64 v7, v7, 0, vcc_lo
	v_add_nc_u32_e32 v2, v7, v2
	s_delay_alu instid0(VALU_DEP_1) | instskip(NEXT) | instid1(VALU_DEP_1)
	v_mov_b32_dpp v7, v2 row_shr:2 row_mask:0xf bank_mask:0xf
	v_cndmask_b32_e64 v7, 0, v7, s2
	v_cmp_lt_u32_e64 s2, 3, v6
	s_delay_alu instid0(VALU_DEP_2) | instskip(NEXT) | instid1(VALU_DEP_1)
	v_add_nc_u32_e32 v2, v2, v7
	v_mov_b32_dpp v7, v2 row_shr:4 row_mask:0xf bank_mask:0xf
	s_delay_alu instid0(VALU_DEP_1) | instskip(SKIP_1) | instid1(VALU_DEP_2)
	v_cndmask_b32_e64 v7, 0, v7, s2
	v_cmp_lt_u32_e64 s2, 7, v6
	v_add_nc_u32_e32 v2, v2, v7
	s_delay_alu instid0(VALU_DEP_1) | instskip(NEXT) | instid1(VALU_DEP_1)
	v_mov_b32_dpp v7, v2 row_shr:8 row_mask:0xf bank_mask:0xf
	v_cndmask_b32_e64 v6, 0, v7, s2
	v_cmp_lt_i32_e64 s2, v9, v8
	s_delay_alu instid0(VALU_DEP_2) | instskip(NEXT) | instid1(VALU_DEP_2)
	v_add_nc_u32_e32 v2, v2, v6
	v_cndmask_b32_e64 v7, v9, v5, s2
	v_lshl_or_b32 v5, v5, 2, 60
	s_mov_b32 s2, exec_lo
	s_delay_alu instid0(VALU_DEP_2)
	v_lshlrev_b32_e32 v6, 2, v7
	v_add_nc_u32_e32 v7, s3, v2
	ds_bpermute_b32 v2, v5, v2
	ds_bpermute_b32 v6, v6, v7
	s_waitcnt lgkmcnt(0)
	v_cndmask_b32_e64 v5, v6, s3, vcc_lo
	v_add_co_u32 v3, vcc_lo, s6, v3
	v_add_co_ci_u32_e32 v4, vcc_lo, s7, v4, vcc_lo
	global_store_b32 v[3:4], v5, off
	v_cmpx_eq_u32_e32 0, v0
	s_cbranch_execz .LBB217_2
; %bb.1:
	s_load_b64 s[0:1], s[0:1], 0x10
	v_lshrrev_b32_e32 v0, 2, v1
	s_delay_alu instid0(VALU_DEP_1)
	v_and_b32_e32 v0, 0x3ffffffc, v0
	s_waitcnt lgkmcnt(0)
	global_store_b32 v0, v2, s[0:1]
.LBB217_2:
	s_nop 0
	s_sendmsg sendmsg(MSG_DEALLOC_VGPRS)
	s_endpgm
	.section	.rodata,"a",@progbits
	.p2align	6, 0x0
	.amdhsa_kernel _Z33warp_exclusive_scan_reduce_kernelIiLj64ELj16EENSt9enable_ifIXsr10test_utilsE35device_test_enabled_for_warp_size_vIXT1_EEEvE4typeEPT_S4_S4_S3_
		.amdhsa_group_segment_fixed_size 0
		.amdhsa_private_segment_fixed_size 0
		.amdhsa_kernarg_size 288
		.amdhsa_user_sgpr_count 15
		.amdhsa_user_sgpr_dispatch_ptr 0
		.amdhsa_user_sgpr_queue_ptr 0
		.amdhsa_user_sgpr_kernarg_segment_ptr 1
		.amdhsa_user_sgpr_dispatch_id 0
		.amdhsa_user_sgpr_private_segment_size 0
		.amdhsa_wavefront_size32 1
		.amdhsa_uses_dynamic_stack 0
		.amdhsa_enable_private_segment 0
		.amdhsa_system_sgpr_workgroup_id_x 1
		.amdhsa_system_sgpr_workgroup_id_y 0
		.amdhsa_system_sgpr_workgroup_id_z 0
		.amdhsa_system_sgpr_workgroup_info 0
		.amdhsa_system_vgpr_workitem_id 0
		.amdhsa_next_free_vgpr 10
		.amdhsa_next_free_sgpr 16
		.amdhsa_reserve_vcc 1
		.amdhsa_float_round_mode_32 0
		.amdhsa_float_round_mode_16_64 0
		.amdhsa_float_denorm_mode_32 3
		.amdhsa_float_denorm_mode_16_64 3
		.amdhsa_dx10_clamp 1
		.amdhsa_ieee_mode 1
		.amdhsa_fp16_overflow 0
		.amdhsa_workgroup_processor_mode 1
		.amdhsa_memory_ordered 1
		.amdhsa_forward_progress 0
		.amdhsa_shared_vgpr_count 0
		.amdhsa_exception_fp_ieee_invalid_op 0
		.amdhsa_exception_fp_denorm_src 0
		.amdhsa_exception_fp_ieee_div_zero 0
		.amdhsa_exception_fp_ieee_overflow 0
		.amdhsa_exception_fp_ieee_underflow 0
		.amdhsa_exception_fp_ieee_inexact 0
		.amdhsa_exception_int_div_zero 0
	.end_amdhsa_kernel
	.section	.text._Z33warp_exclusive_scan_reduce_kernelIiLj64ELj16EENSt9enable_ifIXsr10test_utilsE35device_test_enabled_for_warp_size_vIXT1_EEEvE4typeEPT_S4_S4_S3_,"axG",@progbits,_Z33warp_exclusive_scan_reduce_kernelIiLj64ELj16EENSt9enable_ifIXsr10test_utilsE35device_test_enabled_for_warp_size_vIXT1_EEEvE4typeEPT_S4_S4_S3_,comdat
.Lfunc_end217:
	.size	_Z33warp_exclusive_scan_reduce_kernelIiLj64ELj16EENSt9enable_ifIXsr10test_utilsE35device_test_enabled_for_warp_size_vIXT1_EEEvE4typeEPT_S4_S4_S3_, .Lfunc_end217-_Z33warp_exclusive_scan_reduce_kernelIiLj64ELj16EENSt9enable_ifIXsr10test_utilsE35device_test_enabled_for_warp_size_vIXT1_EEEvE4typeEPT_S4_S4_S3_
                                        ; -- End function
	.section	.AMDGPU.csdata,"",@progbits
; Kernel info:
; codeLenInByte = 396
; NumSgprs: 18
; NumVgprs: 10
; ScratchSize: 0
; MemoryBound: 0
; FloatMode: 240
; IeeeMode: 1
; LDSByteSize: 0 bytes/workgroup (compile time only)
; SGPRBlocks: 2
; VGPRBlocks: 1
; NumSGPRsForWavesPerEU: 18
; NumVGPRsForWavesPerEU: 10
; Occupancy: 16
; WaveLimiterHint : 0
; COMPUTE_PGM_RSRC2:SCRATCH_EN: 0
; COMPUTE_PGM_RSRC2:USER_SGPR: 15
; COMPUTE_PGM_RSRC2:TRAP_HANDLER: 0
; COMPUTE_PGM_RSRC2:TGID_X_EN: 1
; COMPUTE_PGM_RSRC2:TGID_Y_EN: 0
; COMPUTE_PGM_RSRC2:TGID_Z_EN: 0
; COMPUTE_PGM_RSRC2:TIDIG_COMP_CNT: 0
	.section	.text._Z33warp_exclusive_scan_reduce_kernelIiLj32ELj8EENSt9enable_ifIXsr10test_utilsE35device_test_enabled_for_warp_size_vIXT1_EEEvE4typeEPT_S4_S4_S3_,"axG",@progbits,_Z33warp_exclusive_scan_reduce_kernelIiLj32ELj8EENSt9enable_ifIXsr10test_utilsE35device_test_enabled_for_warp_size_vIXT1_EEEvE4typeEPT_S4_S4_S3_,comdat
	.protected	_Z33warp_exclusive_scan_reduce_kernelIiLj32ELj8EENSt9enable_ifIXsr10test_utilsE35device_test_enabled_for_warp_size_vIXT1_EEEvE4typeEPT_S4_S4_S3_ ; -- Begin function _Z33warp_exclusive_scan_reduce_kernelIiLj32ELj8EENSt9enable_ifIXsr10test_utilsE35device_test_enabled_for_warp_size_vIXT1_EEEvE4typeEPT_S4_S4_S3_
	.globl	_Z33warp_exclusive_scan_reduce_kernelIiLj32ELj8EENSt9enable_ifIXsr10test_utilsE35device_test_enabled_for_warp_size_vIXT1_EEEvE4typeEPT_S4_S4_S3_
	.p2align	8
	.type	_Z33warp_exclusive_scan_reduce_kernelIiLj32ELj8EENSt9enable_ifIXsr10test_utilsE35device_test_enabled_for_warp_size_vIXT1_EEEvE4typeEPT_S4_S4_S3_,@function
_Z33warp_exclusive_scan_reduce_kernelIiLj32ELj8EENSt9enable_ifIXsr10test_utilsE35device_test_enabled_for_warp_size_vIXT1_EEEvE4typeEPT_S4_S4_S3_: ; @_Z33warp_exclusive_scan_reduce_kernelIiLj32ELj8EENSt9enable_ifIXsr10test_utilsE35device_test_enabled_for_warp_size_vIXT1_EEEvE4typeEPT_S4_S4_S3_
; %bb.0:
	s_clause 0x2
	s_load_b32 s2, s[0:1], 0x2c
	s_load_b128 s[4:7], s[0:1], 0x0
	s_load_b32 s3, s[0:1], 0x18
	s_waitcnt lgkmcnt(0)
	s_and_b32 s2, s2, 0xffff
	s_delay_alu instid0(SALU_CYCLE_1) | instskip(SKIP_2) | instid1(VALU_DEP_2)
	v_mad_u64_u32 v[1:2], null, s15, s2, v[0:1]
	v_mov_b32_e32 v2, 0
	v_and_b32_e32 v0, 7, v0
	v_lshlrev_b64 v[3:4], 2, v[1:2]
	s_delay_alu instid0(VALU_DEP_1) | instskip(NEXT) | instid1(VALU_DEP_2)
	v_add_co_u32 v5, vcc_lo, s4, v3
	v_add_co_ci_u32_e32 v6, vcc_lo, s5, v4, vcc_lo
	global_load_b32 v2, v[5:6], off
	v_mbcnt_lo_u32_b32 v5, -1, 0
	s_delay_alu instid0(VALU_DEP_1) | instskip(SKIP_2) | instid1(VALU_DEP_2)
	v_add_nc_u32_e32 v9, -1, v5
	v_and_b32_e32 v6, 7, v5
	v_and_b32_e32 v8, 24, v5
	v_cmp_eq_u32_e32 vcc_lo, 0, v6
	v_cmp_lt_u32_e64 s2, 1, v6
	s_waitcnt vmcnt(0)
	v_mov_b32_dpp v7, v2 row_shr:1 row_mask:0xf bank_mask:0xf
	s_delay_alu instid0(VALU_DEP_1) | instskip(NEXT) | instid1(VALU_DEP_1)
	v_cndmask_b32_e64 v7, v7, 0, vcc_lo
	v_add_nc_u32_e32 v2, v7, v2
	s_delay_alu instid0(VALU_DEP_1) | instskip(NEXT) | instid1(VALU_DEP_1)
	v_mov_b32_dpp v7, v2 row_shr:2 row_mask:0xf bank_mask:0xf
	v_cndmask_b32_e64 v7, 0, v7, s2
	v_cmp_lt_u32_e64 s2, 3, v6
	s_delay_alu instid0(VALU_DEP_2) | instskip(NEXT) | instid1(VALU_DEP_1)
	v_add_nc_u32_e32 v2, v2, v7
	v_mov_b32_dpp v7, v2 row_shr:4 row_mask:0xf bank_mask:0xf
	s_delay_alu instid0(VALU_DEP_1) | instskip(SKIP_1) | instid1(VALU_DEP_2)
	v_cndmask_b32_e64 v6, 0, v7, s2
	v_cmp_lt_i32_e64 s2, v9, v8
	v_add_nc_u32_e32 v2, v2, v6
	s_delay_alu instid0(VALU_DEP_2) | instskip(SKIP_2) | instid1(VALU_DEP_2)
	v_cndmask_b32_e64 v7, v9, v5, s2
	v_lshl_or_b32 v5, v5, 2, 28
	s_mov_b32 s2, exec_lo
	v_lshlrev_b32_e32 v6, 2, v7
	v_add_nc_u32_e32 v7, s3, v2
	ds_bpermute_b32 v2, v5, v2
	ds_bpermute_b32 v6, v6, v7
	s_waitcnt lgkmcnt(0)
	v_cndmask_b32_e64 v5, v6, s3, vcc_lo
	v_add_co_u32 v3, vcc_lo, s6, v3
	v_add_co_ci_u32_e32 v4, vcc_lo, s7, v4, vcc_lo
	global_store_b32 v[3:4], v5, off
	v_cmpx_eq_u32_e32 0, v0
	s_cbranch_execz .LBB218_2
; %bb.1:
	s_load_b64 s[0:1], s[0:1], 0x10
	v_lshrrev_b32_e32 v0, 1, v1
	s_delay_alu instid0(VALU_DEP_1)
	v_and_b32_e32 v0, 0x7ffffffc, v0
	s_waitcnt lgkmcnt(0)
	global_store_b32 v0, v2, s[0:1]
.LBB218_2:
	s_nop 0
	s_sendmsg sendmsg(MSG_DEALLOC_VGPRS)
	s_endpgm
	.section	.rodata,"a",@progbits
	.p2align	6, 0x0
	.amdhsa_kernel _Z33warp_exclusive_scan_reduce_kernelIiLj32ELj8EENSt9enable_ifIXsr10test_utilsE35device_test_enabled_for_warp_size_vIXT1_EEEvE4typeEPT_S4_S4_S3_
		.amdhsa_group_segment_fixed_size 0
		.amdhsa_private_segment_fixed_size 0
		.amdhsa_kernarg_size 288
		.amdhsa_user_sgpr_count 15
		.amdhsa_user_sgpr_dispatch_ptr 0
		.amdhsa_user_sgpr_queue_ptr 0
		.amdhsa_user_sgpr_kernarg_segment_ptr 1
		.amdhsa_user_sgpr_dispatch_id 0
		.amdhsa_user_sgpr_private_segment_size 0
		.amdhsa_wavefront_size32 1
		.amdhsa_uses_dynamic_stack 0
		.amdhsa_enable_private_segment 0
		.amdhsa_system_sgpr_workgroup_id_x 1
		.amdhsa_system_sgpr_workgroup_id_y 0
		.amdhsa_system_sgpr_workgroup_id_z 0
		.amdhsa_system_sgpr_workgroup_info 0
		.amdhsa_system_vgpr_workitem_id 0
		.amdhsa_next_free_vgpr 10
		.amdhsa_next_free_sgpr 16
		.amdhsa_reserve_vcc 1
		.amdhsa_float_round_mode_32 0
		.amdhsa_float_round_mode_16_64 0
		.amdhsa_float_denorm_mode_32 3
		.amdhsa_float_denorm_mode_16_64 3
		.amdhsa_dx10_clamp 1
		.amdhsa_ieee_mode 1
		.amdhsa_fp16_overflow 0
		.amdhsa_workgroup_processor_mode 1
		.amdhsa_memory_ordered 1
		.amdhsa_forward_progress 0
		.amdhsa_shared_vgpr_count 0
		.amdhsa_exception_fp_ieee_invalid_op 0
		.amdhsa_exception_fp_denorm_src 0
		.amdhsa_exception_fp_ieee_div_zero 0
		.amdhsa_exception_fp_ieee_overflow 0
		.amdhsa_exception_fp_ieee_underflow 0
		.amdhsa_exception_fp_ieee_inexact 0
		.amdhsa_exception_int_div_zero 0
	.end_amdhsa_kernel
	.section	.text._Z33warp_exclusive_scan_reduce_kernelIiLj32ELj8EENSt9enable_ifIXsr10test_utilsE35device_test_enabled_for_warp_size_vIXT1_EEEvE4typeEPT_S4_S4_S3_,"axG",@progbits,_Z33warp_exclusive_scan_reduce_kernelIiLj32ELj8EENSt9enable_ifIXsr10test_utilsE35device_test_enabled_for_warp_size_vIXT1_EEEvE4typeEPT_S4_S4_S3_,comdat
.Lfunc_end218:
	.size	_Z33warp_exclusive_scan_reduce_kernelIiLj32ELj8EENSt9enable_ifIXsr10test_utilsE35device_test_enabled_for_warp_size_vIXT1_EEEvE4typeEPT_S4_S4_S3_, .Lfunc_end218-_Z33warp_exclusive_scan_reduce_kernelIiLj32ELj8EENSt9enable_ifIXsr10test_utilsE35device_test_enabled_for_warp_size_vIXT1_EEEvE4typeEPT_S4_S4_S3_
                                        ; -- End function
	.section	.AMDGPU.csdata,"",@progbits
; Kernel info:
; codeLenInByte = 360
; NumSgprs: 18
; NumVgprs: 10
; ScratchSize: 0
; MemoryBound: 0
; FloatMode: 240
; IeeeMode: 1
; LDSByteSize: 0 bytes/workgroup (compile time only)
; SGPRBlocks: 2
; VGPRBlocks: 1
; NumSGPRsForWavesPerEU: 18
; NumVGPRsForWavesPerEU: 10
; Occupancy: 16
; WaveLimiterHint : 0
; COMPUTE_PGM_RSRC2:SCRATCH_EN: 0
; COMPUTE_PGM_RSRC2:USER_SGPR: 15
; COMPUTE_PGM_RSRC2:TRAP_HANDLER: 0
; COMPUTE_PGM_RSRC2:TGID_X_EN: 1
; COMPUTE_PGM_RSRC2:TGID_Y_EN: 0
; COMPUTE_PGM_RSRC2:TGID_Z_EN: 0
; COMPUTE_PGM_RSRC2:TIDIG_COMP_CNT: 0
	.section	.text._Z33warp_exclusive_scan_reduce_kernelIiLj64ELj8EENSt9enable_ifIXsr10test_utilsE35device_test_enabled_for_warp_size_vIXT1_EEEvE4typeEPT_S4_S4_S3_,"axG",@progbits,_Z33warp_exclusive_scan_reduce_kernelIiLj64ELj8EENSt9enable_ifIXsr10test_utilsE35device_test_enabled_for_warp_size_vIXT1_EEEvE4typeEPT_S4_S4_S3_,comdat
	.protected	_Z33warp_exclusive_scan_reduce_kernelIiLj64ELj8EENSt9enable_ifIXsr10test_utilsE35device_test_enabled_for_warp_size_vIXT1_EEEvE4typeEPT_S4_S4_S3_ ; -- Begin function _Z33warp_exclusive_scan_reduce_kernelIiLj64ELj8EENSt9enable_ifIXsr10test_utilsE35device_test_enabled_for_warp_size_vIXT1_EEEvE4typeEPT_S4_S4_S3_
	.globl	_Z33warp_exclusive_scan_reduce_kernelIiLj64ELj8EENSt9enable_ifIXsr10test_utilsE35device_test_enabled_for_warp_size_vIXT1_EEEvE4typeEPT_S4_S4_S3_
	.p2align	8
	.type	_Z33warp_exclusive_scan_reduce_kernelIiLj64ELj8EENSt9enable_ifIXsr10test_utilsE35device_test_enabled_for_warp_size_vIXT1_EEEvE4typeEPT_S4_S4_S3_,@function
_Z33warp_exclusive_scan_reduce_kernelIiLj64ELj8EENSt9enable_ifIXsr10test_utilsE35device_test_enabled_for_warp_size_vIXT1_EEEvE4typeEPT_S4_S4_S3_: ; @_Z33warp_exclusive_scan_reduce_kernelIiLj64ELj8EENSt9enable_ifIXsr10test_utilsE35device_test_enabled_for_warp_size_vIXT1_EEEvE4typeEPT_S4_S4_S3_
; %bb.0:
	s_clause 0x2
	s_load_b32 s2, s[0:1], 0x2c
	s_load_b128 s[4:7], s[0:1], 0x0
	s_load_b32 s3, s[0:1], 0x18
	s_waitcnt lgkmcnt(0)
	s_and_b32 s2, s2, 0xffff
	s_delay_alu instid0(SALU_CYCLE_1) | instskip(SKIP_2) | instid1(VALU_DEP_2)
	v_mad_u64_u32 v[1:2], null, s15, s2, v[0:1]
	v_mov_b32_e32 v2, 0
	v_and_b32_e32 v0, 7, v0
	v_lshlrev_b64 v[3:4], 2, v[1:2]
	s_delay_alu instid0(VALU_DEP_1) | instskip(NEXT) | instid1(VALU_DEP_2)
	v_add_co_u32 v5, vcc_lo, s4, v3
	v_add_co_ci_u32_e32 v6, vcc_lo, s5, v4, vcc_lo
	global_load_b32 v2, v[5:6], off
	v_mbcnt_lo_u32_b32 v5, -1, 0
	s_delay_alu instid0(VALU_DEP_1) | instskip(SKIP_2) | instid1(VALU_DEP_2)
	v_add_nc_u32_e32 v9, -1, v5
	v_and_b32_e32 v6, 7, v5
	v_and_b32_e32 v8, 24, v5
	v_cmp_eq_u32_e32 vcc_lo, 0, v6
	v_cmp_lt_u32_e64 s2, 1, v6
	s_waitcnt vmcnt(0)
	v_mov_b32_dpp v7, v2 row_shr:1 row_mask:0xf bank_mask:0xf
	s_delay_alu instid0(VALU_DEP_1) | instskip(NEXT) | instid1(VALU_DEP_1)
	v_cndmask_b32_e64 v7, v7, 0, vcc_lo
	v_add_nc_u32_e32 v2, v7, v2
	s_delay_alu instid0(VALU_DEP_1) | instskip(NEXT) | instid1(VALU_DEP_1)
	v_mov_b32_dpp v7, v2 row_shr:2 row_mask:0xf bank_mask:0xf
	v_cndmask_b32_e64 v7, 0, v7, s2
	v_cmp_lt_u32_e64 s2, 3, v6
	s_delay_alu instid0(VALU_DEP_2) | instskip(NEXT) | instid1(VALU_DEP_1)
	v_add_nc_u32_e32 v2, v2, v7
	v_mov_b32_dpp v7, v2 row_shr:4 row_mask:0xf bank_mask:0xf
	s_delay_alu instid0(VALU_DEP_1) | instskip(SKIP_1) | instid1(VALU_DEP_2)
	v_cndmask_b32_e64 v6, 0, v7, s2
	v_cmp_lt_i32_e64 s2, v9, v8
	v_add_nc_u32_e32 v2, v2, v6
	s_delay_alu instid0(VALU_DEP_2) | instskip(SKIP_2) | instid1(VALU_DEP_2)
	v_cndmask_b32_e64 v7, v9, v5, s2
	v_lshl_or_b32 v5, v5, 2, 28
	s_mov_b32 s2, exec_lo
	v_lshlrev_b32_e32 v6, 2, v7
	v_add_nc_u32_e32 v7, s3, v2
	ds_bpermute_b32 v2, v5, v2
	ds_bpermute_b32 v6, v6, v7
	s_waitcnt lgkmcnt(0)
	v_cndmask_b32_e64 v5, v6, s3, vcc_lo
	v_add_co_u32 v3, vcc_lo, s6, v3
	v_add_co_ci_u32_e32 v4, vcc_lo, s7, v4, vcc_lo
	global_store_b32 v[3:4], v5, off
	v_cmpx_eq_u32_e32 0, v0
	s_cbranch_execz .LBB219_2
; %bb.1:
	s_load_b64 s[0:1], s[0:1], 0x10
	v_lshrrev_b32_e32 v0, 1, v1
	s_delay_alu instid0(VALU_DEP_1)
	v_and_b32_e32 v0, 0x7ffffffc, v0
	s_waitcnt lgkmcnt(0)
	global_store_b32 v0, v2, s[0:1]
.LBB219_2:
	s_nop 0
	s_sendmsg sendmsg(MSG_DEALLOC_VGPRS)
	s_endpgm
	.section	.rodata,"a",@progbits
	.p2align	6, 0x0
	.amdhsa_kernel _Z33warp_exclusive_scan_reduce_kernelIiLj64ELj8EENSt9enable_ifIXsr10test_utilsE35device_test_enabled_for_warp_size_vIXT1_EEEvE4typeEPT_S4_S4_S3_
		.amdhsa_group_segment_fixed_size 0
		.amdhsa_private_segment_fixed_size 0
		.amdhsa_kernarg_size 288
		.amdhsa_user_sgpr_count 15
		.amdhsa_user_sgpr_dispatch_ptr 0
		.amdhsa_user_sgpr_queue_ptr 0
		.amdhsa_user_sgpr_kernarg_segment_ptr 1
		.amdhsa_user_sgpr_dispatch_id 0
		.amdhsa_user_sgpr_private_segment_size 0
		.amdhsa_wavefront_size32 1
		.amdhsa_uses_dynamic_stack 0
		.amdhsa_enable_private_segment 0
		.amdhsa_system_sgpr_workgroup_id_x 1
		.amdhsa_system_sgpr_workgroup_id_y 0
		.amdhsa_system_sgpr_workgroup_id_z 0
		.amdhsa_system_sgpr_workgroup_info 0
		.amdhsa_system_vgpr_workitem_id 0
		.amdhsa_next_free_vgpr 10
		.amdhsa_next_free_sgpr 16
		.amdhsa_reserve_vcc 1
		.amdhsa_float_round_mode_32 0
		.amdhsa_float_round_mode_16_64 0
		.amdhsa_float_denorm_mode_32 3
		.amdhsa_float_denorm_mode_16_64 3
		.amdhsa_dx10_clamp 1
		.amdhsa_ieee_mode 1
		.amdhsa_fp16_overflow 0
		.amdhsa_workgroup_processor_mode 1
		.amdhsa_memory_ordered 1
		.amdhsa_forward_progress 0
		.amdhsa_shared_vgpr_count 0
		.amdhsa_exception_fp_ieee_invalid_op 0
		.amdhsa_exception_fp_denorm_src 0
		.amdhsa_exception_fp_ieee_div_zero 0
		.amdhsa_exception_fp_ieee_overflow 0
		.amdhsa_exception_fp_ieee_underflow 0
		.amdhsa_exception_fp_ieee_inexact 0
		.amdhsa_exception_int_div_zero 0
	.end_amdhsa_kernel
	.section	.text._Z33warp_exclusive_scan_reduce_kernelIiLj64ELj8EENSt9enable_ifIXsr10test_utilsE35device_test_enabled_for_warp_size_vIXT1_EEEvE4typeEPT_S4_S4_S3_,"axG",@progbits,_Z33warp_exclusive_scan_reduce_kernelIiLj64ELj8EENSt9enable_ifIXsr10test_utilsE35device_test_enabled_for_warp_size_vIXT1_EEEvE4typeEPT_S4_S4_S3_,comdat
.Lfunc_end219:
	.size	_Z33warp_exclusive_scan_reduce_kernelIiLj64ELj8EENSt9enable_ifIXsr10test_utilsE35device_test_enabled_for_warp_size_vIXT1_EEEvE4typeEPT_S4_S4_S3_, .Lfunc_end219-_Z33warp_exclusive_scan_reduce_kernelIiLj64ELj8EENSt9enable_ifIXsr10test_utilsE35device_test_enabled_for_warp_size_vIXT1_EEEvE4typeEPT_S4_S4_S3_
                                        ; -- End function
	.section	.AMDGPU.csdata,"",@progbits
; Kernel info:
; codeLenInByte = 360
; NumSgprs: 18
; NumVgprs: 10
; ScratchSize: 0
; MemoryBound: 0
; FloatMode: 240
; IeeeMode: 1
; LDSByteSize: 0 bytes/workgroup (compile time only)
; SGPRBlocks: 2
; VGPRBlocks: 1
; NumSGPRsForWavesPerEU: 18
; NumVGPRsForWavesPerEU: 10
; Occupancy: 16
; WaveLimiterHint : 0
; COMPUTE_PGM_RSRC2:SCRATCH_EN: 0
; COMPUTE_PGM_RSRC2:USER_SGPR: 15
; COMPUTE_PGM_RSRC2:TRAP_HANDLER: 0
; COMPUTE_PGM_RSRC2:TGID_X_EN: 1
; COMPUTE_PGM_RSRC2:TGID_Y_EN: 0
; COMPUTE_PGM_RSRC2:TGID_Z_EN: 0
; COMPUTE_PGM_RSRC2:TIDIG_COMP_CNT: 0
	.section	.text._Z33warp_exclusive_scan_reduce_kernelIiLj32ELj4EENSt9enable_ifIXsr10test_utilsE35device_test_enabled_for_warp_size_vIXT1_EEEvE4typeEPT_S4_S4_S3_,"axG",@progbits,_Z33warp_exclusive_scan_reduce_kernelIiLj32ELj4EENSt9enable_ifIXsr10test_utilsE35device_test_enabled_for_warp_size_vIXT1_EEEvE4typeEPT_S4_S4_S3_,comdat
	.protected	_Z33warp_exclusive_scan_reduce_kernelIiLj32ELj4EENSt9enable_ifIXsr10test_utilsE35device_test_enabled_for_warp_size_vIXT1_EEEvE4typeEPT_S4_S4_S3_ ; -- Begin function _Z33warp_exclusive_scan_reduce_kernelIiLj32ELj4EENSt9enable_ifIXsr10test_utilsE35device_test_enabled_for_warp_size_vIXT1_EEEvE4typeEPT_S4_S4_S3_
	.globl	_Z33warp_exclusive_scan_reduce_kernelIiLj32ELj4EENSt9enable_ifIXsr10test_utilsE35device_test_enabled_for_warp_size_vIXT1_EEEvE4typeEPT_S4_S4_S3_
	.p2align	8
	.type	_Z33warp_exclusive_scan_reduce_kernelIiLj32ELj4EENSt9enable_ifIXsr10test_utilsE35device_test_enabled_for_warp_size_vIXT1_EEEvE4typeEPT_S4_S4_S3_,@function
_Z33warp_exclusive_scan_reduce_kernelIiLj32ELj4EENSt9enable_ifIXsr10test_utilsE35device_test_enabled_for_warp_size_vIXT1_EEEvE4typeEPT_S4_S4_S3_: ; @_Z33warp_exclusive_scan_reduce_kernelIiLj32ELj4EENSt9enable_ifIXsr10test_utilsE35device_test_enabled_for_warp_size_vIXT1_EEEvE4typeEPT_S4_S4_S3_
; %bb.0:
	s_clause 0x2
	s_load_b32 s2, s[0:1], 0x2c
	s_load_b128 s[4:7], s[0:1], 0x0
	s_load_b32 s3, s[0:1], 0x18
	s_waitcnt lgkmcnt(0)
	s_and_b32 s2, s2, 0xffff
	s_delay_alu instid0(SALU_CYCLE_1) | instskip(SKIP_2) | instid1(VALU_DEP_2)
	v_mad_u64_u32 v[1:2], null, s15, s2, v[0:1]
	v_mov_b32_e32 v2, 0
	v_and_b32_e32 v0, 3, v0
	v_lshlrev_b64 v[3:4], 2, v[1:2]
	s_delay_alu instid0(VALU_DEP_1) | instskip(NEXT) | instid1(VALU_DEP_2)
	v_add_co_u32 v5, vcc_lo, s4, v3
	v_add_co_ci_u32_e32 v6, vcc_lo, s5, v4, vcc_lo
	global_load_b32 v2, v[5:6], off
	v_mbcnt_lo_u32_b32 v5, -1, 0
	s_delay_alu instid0(VALU_DEP_1) | instskip(SKIP_2) | instid1(VALU_DEP_2)
	v_add_nc_u32_e32 v9, -1, v5
	v_and_b32_e32 v6, 3, v5
	v_and_b32_e32 v8, 28, v5
	v_cmp_eq_u32_e32 vcc_lo, 0, v6
	v_cmp_lt_u32_e64 s2, 1, v6
	s_waitcnt vmcnt(0)
	v_mov_b32_dpp v7, v2 row_shr:1 row_mask:0xf bank_mask:0xf
	s_delay_alu instid0(VALU_DEP_1) | instskip(NEXT) | instid1(VALU_DEP_1)
	v_cndmask_b32_e64 v7, v7, 0, vcc_lo
	v_add_nc_u32_e32 v2, v7, v2
	s_delay_alu instid0(VALU_DEP_1) | instskip(NEXT) | instid1(VALU_DEP_1)
	v_mov_b32_dpp v7, v2 row_shr:2 row_mask:0xf bank_mask:0xf
	v_cndmask_b32_e64 v6, 0, v7, s2
	v_cmp_lt_i32_e64 s2, v9, v8
	s_delay_alu instid0(VALU_DEP_2) | instskip(NEXT) | instid1(VALU_DEP_2)
	v_add_nc_u32_e32 v2, v2, v6
	v_cndmask_b32_e64 v7, v9, v5, s2
	v_lshl_or_b32 v5, v5, 2, 12
	s_mov_b32 s2, exec_lo
	s_delay_alu instid0(VALU_DEP_2)
	v_lshlrev_b32_e32 v6, 2, v7
	v_add_nc_u32_e32 v7, s3, v2
	ds_bpermute_b32 v2, v5, v2
	ds_bpermute_b32 v6, v6, v7
	s_waitcnt lgkmcnt(0)
	v_cndmask_b32_e64 v5, v6, s3, vcc_lo
	v_add_co_u32 v3, vcc_lo, s6, v3
	v_add_co_ci_u32_e32 v4, vcc_lo, s7, v4, vcc_lo
	global_store_b32 v[3:4], v5, off
	v_cmpx_eq_u32_e32 0, v0
	s_cbranch_execz .LBB220_2
; %bb.1:
	s_load_b64 s[0:1], s[0:1], 0x10
	v_and_b32_e32 v0, -4, v1
	s_waitcnt lgkmcnt(0)
	global_store_b32 v0, v2, s[0:1]
.LBB220_2:
	s_nop 0
	s_sendmsg sendmsg(MSG_DEALLOC_VGPRS)
	s_endpgm
	.section	.rodata,"a",@progbits
	.p2align	6, 0x0
	.amdhsa_kernel _Z33warp_exclusive_scan_reduce_kernelIiLj32ELj4EENSt9enable_ifIXsr10test_utilsE35device_test_enabled_for_warp_size_vIXT1_EEEvE4typeEPT_S4_S4_S3_
		.amdhsa_group_segment_fixed_size 0
		.amdhsa_private_segment_fixed_size 0
		.amdhsa_kernarg_size 288
		.amdhsa_user_sgpr_count 15
		.amdhsa_user_sgpr_dispatch_ptr 0
		.amdhsa_user_sgpr_queue_ptr 0
		.amdhsa_user_sgpr_kernarg_segment_ptr 1
		.amdhsa_user_sgpr_dispatch_id 0
		.amdhsa_user_sgpr_private_segment_size 0
		.amdhsa_wavefront_size32 1
		.amdhsa_uses_dynamic_stack 0
		.amdhsa_enable_private_segment 0
		.amdhsa_system_sgpr_workgroup_id_x 1
		.amdhsa_system_sgpr_workgroup_id_y 0
		.amdhsa_system_sgpr_workgroup_id_z 0
		.amdhsa_system_sgpr_workgroup_info 0
		.amdhsa_system_vgpr_workitem_id 0
		.amdhsa_next_free_vgpr 10
		.amdhsa_next_free_sgpr 16
		.amdhsa_reserve_vcc 1
		.amdhsa_float_round_mode_32 0
		.amdhsa_float_round_mode_16_64 0
		.amdhsa_float_denorm_mode_32 3
		.amdhsa_float_denorm_mode_16_64 3
		.amdhsa_dx10_clamp 1
		.amdhsa_ieee_mode 1
		.amdhsa_fp16_overflow 0
		.amdhsa_workgroup_processor_mode 1
		.amdhsa_memory_ordered 1
		.amdhsa_forward_progress 0
		.amdhsa_shared_vgpr_count 0
		.amdhsa_exception_fp_ieee_invalid_op 0
		.amdhsa_exception_fp_denorm_src 0
		.amdhsa_exception_fp_ieee_div_zero 0
		.amdhsa_exception_fp_ieee_overflow 0
		.amdhsa_exception_fp_ieee_underflow 0
		.amdhsa_exception_fp_ieee_inexact 0
		.amdhsa_exception_int_div_zero 0
	.end_amdhsa_kernel
	.section	.text._Z33warp_exclusive_scan_reduce_kernelIiLj32ELj4EENSt9enable_ifIXsr10test_utilsE35device_test_enabled_for_warp_size_vIXT1_EEEvE4typeEPT_S4_S4_S3_,"axG",@progbits,_Z33warp_exclusive_scan_reduce_kernelIiLj32ELj4EENSt9enable_ifIXsr10test_utilsE35device_test_enabled_for_warp_size_vIXT1_EEEvE4typeEPT_S4_S4_S3_,comdat
.Lfunc_end220:
	.size	_Z33warp_exclusive_scan_reduce_kernelIiLj32ELj4EENSt9enable_ifIXsr10test_utilsE35device_test_enabled_for_warp_size_vIXT1_EEEvE4typeEPT_S4_S4_S3_, .Lfunc_end220-_Z33warp_exclusive_scan_reduce_kernelIiLj32ELj4EENSt9enable_ifIXsr10test_utilsE35device_test_enabled_for_warp_size_vIXT1_EEEvE4typeEPT_S4_S4_S3_
                                        ; -- End function
	.section	.AMDGPU.csdata,"",@progbits
; Kernel info:
; codeLenInByte = 316
; NumSgprs: 18
; NumVgprs: 10
; ScratchSize: 0
; MemoryBound: 0
; FloatMode: 240
; IeeeMode: 1
; LDSByteSize: 0 bytes/workgroup (compile time only)
; SGPRBlocks: 2
; VGPRBlocks: 1
; NumSGPRsForWavesPerEU: 18
; NumVGPRsForWavesPerEU: 10
; Occupancy: 16
; WaveLimiterHint : 0
; COMPUTE_PGM_RSRC2:SCRATCH_EN: 0
; COMPUTE_PGM_RSRC2:USER_SGPR: 15
; COMPUTE_PGM_RSRC2:TRAP_HANDLER: 0
; COMPUTE_PGM_RSRC2:TGID_X_EN: 1
; COMPUTE_PGM_RSRC2:TGID_Y_EN: 0
; COMPUTE_PGM_RSRC2:TGID_Z_EN: 0
; COMPUTE_PGM_RSRC2:TIDIG_COMP_CNT: 0
	.section	.text._Z33warp_exclusive_scan_reduce_kernelIiLj64ELj4EENSt9enable_ifIXsr10test_utilsE35device_test_enabled_for_warp_size_vIXT1_EEEvE4typeEPT_S4_S4_S3_,"axG",@progbits,_Z33warp_exclusive_scan_reduce_kernelIiLj64ELj4EENSt9enable_ifIXsr10test_utilsE35device_test_enabled_for_warp_size_vIXT1_EEEvE4typeEPT_S4_S4_S3_,comdat
	.protected	_Z33warp_exclusive_scan_reduce_kernelIiLj64ELj4EENSt9enable_ifIXsr10test_utilsE35device_test_enabled_for_warp_size_vIXT1_EEEvE4typeEPT_S4_S4_S3_ ; -- Begin function _Z33warp_exclusive_scan_reduce_kernelIiLj64ELj4EENSt9enable_ifIXsr10test_utilsE35device_test_enabled_for_warp_size_vIXT1_EEEvE4typeEPT_S4_S4_S3_
	.globl	_Z33warp_exclusive_scan_reduce_kernelIiLj64ELj4EENSt9enable_ifIXsr10test_utilsE35device_test_enabled_for_warp_size_vIXT1_EEEvE4typeEPT_S4_S4_S3_
	.p2align	8
	.type	_Z33warp_exclusive_scan_reduce_kernelIiLj64ELj4EENSt9enable_ifIXsr10test_utilsE35device_test_enabled_for_warp_size_vIXT1_EEEvE4typeEPT_S4_S4_S3_,@function
_Z33warp_exclusive_scan_reduce_kernelIiLj64ELj4EENSt9enable_ifIXsr10test_utilsE35device_test_enabled_for_warp_size_vIXT1_EEEvE4typeEPT_S4_S4_S3_: ; @_Z33warp_exclusive_scan_reduce_kernelIiLj64ELj4EENSt9enable_ifIXsr10test_utilsE35device_test_enabled_for_warp_size_vIXT1_EEEvE4typeEPT_S4_S4_S3_
; %bb.0:
	s_clause 0x2
	s_load_b32 s2, s[0:1], 0x2c
	s_load_b128 s[4:7], s[0:1], 0x0
	s_load_b32 s3, s[0:1], 0x18
	s_waitcnt lgkmcnt(0)
	s_and_b32 s2, s2, 0xffff
	s_delay_alu instid0(SALU_CYCLE_1) | instskip(SKIP_2) | instid1(VALU_DEP_2)
	v_mad_u64_u32 v[1:2], null, s15, s2, v[0:1]
	v_mov_b32_e32 v2, 0
	v_and_b32_e32 v0, 3, v0
	v_lshlrev_b64 v[3:4], 2, v[1:2]
	s_delay_alu instid0(VALU_DEP_1) | instskip(NEXT) | instid1(VALU_DEP_2)
	v_add_co_u32 v5, vcc_lo, s4, v3
	v_add_co_ci_u32_e32 v6, vcc_lo, s5, v4, vcc_lo
	global_load_b32 v2, v[5:6], off
	v_mbcnt_lo_u32_b32 v5, -1, 0
	s_delay_alu instid0(VALU_DEP_1) | instskip(SKIP_2) | instid1(VALU_DEP_2)
	v_add_nc_u32_e32 v9, -1, v5
	v_and_b32_e32 v6, 3, v5
	v_and_b32_e32 v8, 28, v5
	v_cmp_eq_u32_e32 vcc_lo, 0, v6
	v_cmp_lt_u32_e64 s2, 1, v6
	s_waitcnt vmcnt(0)
	v_mov_b32_dpp v7, v2 row_shr:1 row_mask:0xf bank_mask:0xf
	s_delay_alu instid0(VALU_DEP_1) | instskip(NEXT) | instid1(VALU_DEP_1)
	v_cndmask_b32_e64 v7, v7, 0, vcc_lo
	v_add_nc_u32_e32 v2, v7, v2
	s_delay_alu instid0(VALU_DEP_1) | instskip(NEXT) | instid1(VALU_DEP_1)
	v_mov_b32_dpp v7, v2 row_shr:2 row_mask:0xf bank_mask:0xf
	v_cndmask_b32_e64 v6, 0, v7, s2
	v_cmp_lt_i32_e64 s2, v9, v8
	s_delay_alu instid0(VALU_DEP_2) | instskip(NEXT) | instid1(VALU_DEP_2)
	v_add_nc_u32_e32 v2, v2, v6
	v_cndmask_b32_e64 v7, v9, v5, s2
	v_lshl_or_b32 v5, v5, 2, 12
	s_mov_b32 s2, exec_lo
	s_delay_alu instid0(VALU_DEP_2)
	v_lshlrev_b32_e32 v6, 2, v7
	v_add_nc_u32_e32 v7, s3, v2
	ds_bpermute_b32 v2, v5, v2
	ds_bpermute_b32 v6, v6, v7
	s_waitcnt lgkmcnt(0)
	v_cndmask_b32_e64 v5, v6, s3, vcc_lo
	v_add_co_u32 v3, vcc_lo, s6, v3
	v_add_co_ci_u32_e32 v4, vcc_lo, s7, v4, vcc_lo
	global_store_b32 v[3:4], v5, off
	v_cmpx_eq_u32_e32 0, v0
	s_cbranch_execz .LBB221_2
; %bb.1:
	s_load_b64 s[0:1], s[0:1], 0x10
	v_and_b32_e32 v0, -4, v1
	s_waitcnt lgkmcnt(0)
	global_store_b32 v0, v2, s[0:1]
.LBB221_2:
	s_nop 0
	s_sendmsg sendmsg(MSG_DEALLOC_VGPRS)
	s_endpgm
	.section	.rodata,"a",@progbits
	.p2align	6, 0x0
	.amdhsa_kernel _Z33warp_exclusive_scan_reduce_kernelIiLj64ELj4EENSt9enable_ifIXsr10test_utilsE35device_test_enabled_for_warp_size_vIXT1_EEEvE4typeEPT_S4_S4_S3_
		.amdhsa_group_segment_fixed_size 0
		.amdhsa_private_segment_fixed_size 0
		.amdhsa_kernarg_size 288
		.amdhsa_user_sgpr_count 15
		.amdhsa_user_sgpr_dispatch_ptr 0
		.amdhsa_user_sgpr_queue_ptr 0
		.amdhsa_user_sgpr_kernarg_segment_ptr 1
		.amdhsa_user_sgpr_dispatch_id 0
		.amdhsa_user_sgpr_private_segment_size 0
		.amdhsa_wavefront_size32 1
		.amdhsa_uses_dynamic_stack 0
		.amdhsa_enable_private_segment 0
		.amdhsa_system_sgpr_workgroup_id_x 1
		.amdhsa_system_sgpr_workgroup_id_y 0
		.amdhsa_system_sgpr_workgroup_id_z 0
		.amdhsa_system_sgpr_workgroup_info 0
		.amdhsa_system_vgpr_workitem_id 0
		.amdhsa_next_free_vgpr 10
		.amdhsa_next_free_sgpr 16
		.amdhsa_reserve_vcc 1
		.amdhsa_float_round_mode_32 0
		.amdhsa_float_round_mode_16_64 0
		.amdhsa_float_denorm_mode_32 3
		.amdhsa_float_denorm_mode_16_64 3
		.amdhsa_dx10_clamp 1
		.amdhsa_ieee_mode 1
		.amdhsa_fp16_overflow 0
		.amdhsa_workgroup_processor_mode 1
		.amdhsa_memory_ordered 1
		.amdhsa_forward_progress 0
		.amdhsa_shared_vgpr_count 0
		.amdhsa_exception_fp_ieee_invalid_op 0
		.amdhsa_exception_fp_denorm_src 0
		.amdhsa_exception_fp_ieee_div_zero 0
		.amdhsa_exception_fp_ieee_overflow 0
		.amdhsa_exception_fp_ieee_underflow 0
		.amdhsa_exception_fp_ieee_inexact 0
		.amdhsa_exception_int_div_zero 0
	.end_amdhsa_kernel
	.section	.text._Z33warp_exclusive_scan_reduce_kernelIiLj64ELj4EENSt9enable_ifIXsr10test_utilsE35device_test_enabled_for_warp_size_vIXT1_EEEvE4typeEPT_S4_S4_S3_,"axG",@progbits,_Z33warp_exclusive_scan_reduce_kernelIiLj64ELj4EENSt9enable_ifIXsr10test_utilsE35device_test_enabled_for_warp_size_vIXT1_EEEvE4typeEPT_S4_S4_S3_,comdat
.Lfunc_end221:
	.size	_Z33warp_exclusive_scan_reduce_kernelIiLj64ELj4EENSt9enable_ifIXsr10test_utilsE35device_test_enabled_for_warp_size_vIXT1_EEEvE4typeEPT_S4_S4_S3_, .Lfunc_end221-_Z33warp_exclusive_scan_reduce_kernelIiLj64ELj4EENSt9enable_ifIXsr10test_utilsE35device_test_enabled_for_warp_size_vIXT1_EEEvE4typeEPT_S4_S4_S3_
                                        ; -- End function
	.section	.AMDGPU.csdata,"",@progbits
; Kernel info:
; codeLenInByte = 316
; NumSgprs: 18
; NumVgprs: 10
; ScratchSize: 0
; MemoryBound: 0
; FloatMode: 240
; IeeeMode: 1
; LDSByteSize: 0 bytes/workgroup (compile time only)
; SGPRBlocks: 2
; VGPRBlocks: 1
; NumSGPRsForWavesPerEU: 18
; NumVGPRsForWavesPerEU: 10
; Occupancy: 16
; WaveLimiterHint : 0
; COMPUTE_PGM_RSRC2:SCRATCH_EN: 0
; COMPUTE_PGM_RSRC2:USER_SGPR: 15
; COMPUTE_PGM_RSRC2:TRAP_HANDLER: 0
; COMPUTE_PGM_RSRC2:TGID_X_EN: 1
; COMPUTE_PGM_RSRC2:TGID_Y_EN: 0
; COMPUTE_PGM_RSRC2:TGID_Z_EN: 0
; COMPUTE_PGM_RSRC2:TIDIG_COMP_CNT: 0
	.section	.text._Z33warp_exclusive_scan_reduce_kernelIiLj32ELj2EENSt9enable_ifIXsr10test_utilsE35device_test_enabled_for_warp_size_vIXT1_EEEvE4typeEPT_S4_S4_S3_,"axG",@progbits,_Z33warp_exclusive_scan_reduce_kernelIiLj32ELj2EENSt9enable_ifIXsr10test_utilsE35device_test_enabled_for_warp_size_vIXT1_EEEvE4typeEPT_S4_S4_S3_,comdat
	.protected	_Z33warp_exclusive_scan_reduce_kernelIiLj32ELj2EENSt9enable_ifIXsr10test_utilsE35device_test_enabled_for_warp_size_vIXT1_EEEvE4typeEPT_S4_S4_S3_ ; -- Begin function _Z33warp_exclusive_scan_reduce_kernelIiLj32ELj2EENSt9enable_ifIXsr10test_utilsE35device_test_enabled_for_warp_size_vIXT1_EEEvE4typeEPT_S4_S4_S3_
	.globl	_Z33warp_exclusive_scan_reduce_kernelIiLj32ELj2EENSt9enable_ifIXsr10test_utilsE35device_test_enabled_for_warp_size_vIXT1_EEEvE4typeEPT_S4_S4_S3_
	.p2align	8
	.type	_Z33warp_exclusive_scan_reduce_kernelIiLj32ELj2EENSt9enable_ifIXsr10test_utilsE35device_test_enabled_for_warp_size_vIXT1_EEEvE4typeEPT_S4_S4_S3_,@function
_Z33warp_exclusive_scan_reduce_kernelIiLj32ELj2EENSt9enable_ifIXsr10test_utilsE35device_test_enabled_for_warp_size_vIXT1_EEEvE4typeEPT_S4_S4_S3_: ; @_Z33warp_exclusive_scan_reduce_kernelIiLj32ELj2EENSt9enable_ifIXsr10test_utilsE35device_test_enabled_for_warp_size_vIXT1_EEEvE4typeEPT_S4_S4_S3_
; %bb.0:
	s_clause 0x1
	s_load_b32 s2, s[0:1], 0x2c
	s_load_b128 s[4:7], s[0:1], 0x0
	s_waitcnt lgkmcnt(0)
	s_and_b32 s2, s2, 0xffff
	s_delay_alu instid0(SALU_CYCLE_1) | instskip(SKIP_3) | instid1(VALU_DEP_2)
	v_mad_u64_u32 v[1:2], null, s15, s2, v[0:1]
	v_mov_b32_e32 v2, 0
	s_load_b32 s2, s[0:1], 0x18
	v_and_b32_e32 v0, 1, v0
	v_lshlrev_b64 v[4:5], 2, v[1:2]
	s_delay_alu instid0(VALU_DEP_1) | instskip(NEXT) | instid1(VALU_DEP_2)
	v_add_co_u32 v6, vcc_lo, s4, v4
	v_add_co_ci_u32_e32 v7, vcc_lo, s5, v5, vcc_lo
	global_load_b32 v3, v[6:7], off
	v_mbcnt_lo_u32_b32 v6, -1, 0
	s_delay_alu instid0(VALU_DEP_1) | instskip(SKIP_2) | instid1(VALU_DEP_1)
	v_and_b32_e32 v9, 30, v6
	v_bfe_i32 v7, v6, 0, 1
	v_add_nc_u32_e32 v10, -1, v6
	v_cmp_lt_i32_e32 vcc_lo, v10, v9
	s_waitcnt vmcnt(0)
	v_mov_b32_dpp v8, v3 row_shr:1 row_mask:0xf bank_mask:0xf
	s_delay_alu instid0(VALU_DEP_1) | instskip(NEXT) | instid1(VALU_DEP_1)
	v_dual_cndmask_b32 v8, v10, v6 :: v_dual_and_b32 v7, v7, v8
	v_add_nc_u32_e32 v3, v7, v3
	s_delay_alu instid0(VALU_DEP_2) | instskip(SKIP_1) | instid1(VALU_DEP_2)
	v_lshlrev_b32_e32 v7, 2, v8
	s_waitcnt lgkmcnt(0)
	v_add_nc_u32_e32 v8, s2, v3
	ds_bpermute_b32 v7, v7, v8
	v_lshl_or_b32 v8, v6, 2, 4
	v_and_b32_e32 v6, 1, v6
	ds_bpermute_b32 v3, v8, v3
	v_cmp_eq_u32_e32 vcc_lo, 0, v6
	s_waitcnt lgkmcnt(1)
	v_cndmask_b32_e64 v6, v7, s2, vcc_lo
	v_add_co_u32 v4, vcc_lo, s6, v4
	v_add_co_ci_u32_e32 v5, vcc_lo, s7, v5, vcc_lo
	s_mov_b32 s2, exec_lo
	global_store_b32 v[4:5], v6, off
	v_cmpx_eq_u32_e32 0, v0
	s_cbranch_execz .LBB222_2
; %bb.1:
	s_load_b64 s[0:1], s[0:1], 0x10
	v_lshrrev_b32_e32 v1, 1, v1
	s_delay_alu instid0(VALU_DEP_1) | instskip(SKIP_1) | instid1(VALU_DEP_1)
	v_lshlrev_b64 v[0:1], 2, v[1:2]
	s_waitcnt lgkmcnt(0)
	v_add_co_u32 v0, vcc_lo, s0, v0
	s_delay_alu instid0(VALU_DEP_2)
	v_add_co_ci_u32_e32 v1, vcc_lo, s1, v1, vcc_lo
	global_store_b32 v[0:1], v3, off
.LBB222_2:
	s_nop 0
	s_sendmsg sendmsg(MSG_DEALLOC_VGPRS)
	s_endpgm
	.section	.rodata,"a",@progbits
	.p2align	6, 0x0
	.amdhsa_kernel _Z33warp_exclusive_scan_reduce_kernelIiLj32ELj2EENSt9enable_ifIXsr10test_utilsE35device_test_enabled_for_warp_size_vIXT1_EEEvE4typeEPT_S4_S4_S3_
		.amdhsa_group_segment_fixed_size 0
		.amdhsa_private_segment_fixed_size 0
		.amdhsa_kernarg_size 288
		.amdhsa_user_sgpr_count 15
		.amdhsa_user_sgpr_dispatch_ptr 0
		.amdhsa_user_sgpr_queue_ptr 0
		.amdhsa_user_sgpr_kernarg_segment_ptr 1
		.amdhsa_user_sgpr_dispatch_id 0
		.amdhsa_user_sgpr_private_segment_size 0
		.amdhsa_wavefront_size32 1
		.amdhsa_uses_dynamic_stack 0
		.amdhsa_enable_private_segment 0
		.amdhsa_system_sgpr_workgroup_id_x 1
		.amdhsa_system_sgpr_workgroup_id_y 0
		.amdhsa_system_sgpr_workgroup_id_z 0
		.amdhsa_system_sgpr_workgroup_info 0
		.amdhsa_system_vgpr_workitem_id 0
		.amdhsa_next_free_vgpr 11
		.amdhsa_next_free_sgpr 16
		.amdhsa_reserve_vcc 1
		.amdhsa_float_round_mode_32 0
		.amdhsa_float_round_mode_16_64 0
		.amdhsa_float_denorm_mode_32 3
		.amdhsa_float_denorm_mode_16_64 3
		.amdhsa_dx10_clamp 1
		.amdhsa_ieee_mode 1
		.amdhsa_fp16_overflow 0
		.amdhsa_workgroup_processor_mode 1
		.amdhsa_memory_ordered 1
		.amdhsa_forward_progress 0
		.amdhsa_shared_vgpr_count 0
		.amdhsa_exception_fp_ieee_invalid_op 0
		.amdhsa_exception_fp_denorm_src 0
		.amdhsa_exception_fp_ieee_div_zero 0
		.amdhsa_exception_fp_ieee_overflow 0
		.amdhsa_exception_fp_ieee_underflow 0
		.amdhsa_exception_fp_ieee_inexact 0
		.amdhsa_exception_int_div_zero 0
	.end_amdhsa_kernel
	.section	.text._Z33warp_exclusive_scan_reduce_kernelIiLj32ELj2EENSt9enable_ifIXsr10test_utilsE35device_test_enabled_for_warp_size_vIXT1_EEEvE4typeEPT_S4_S4_S3_,"axG",@progbits,_Z33warp_exclusive_scan_reduce_kernelIiLj32ELj2EENSt9enable_ifIXsr10test_utilsE35device_test_enabled_for_warp_size_vIXT1_EEEvE4typeEPT_S4_S4_S3_,comdat
.Lfunc_end222:
	.size	_Z33warp_exclusive_scan_reduce_kernelIiLj32ELj2EENSt9enable_ifIXsr10test_utilsE35device_test_enabled_for_warp_size_vIXT1_EEEvE4typeEPT_S4_S4_S3_, .Lfunc_end222-_Z33warp_exclusive_scan_reduce_kernelIiLj32ELj2EENSt9enable_ifIXsr10test_utilsE35device_test_enabled_for_warp_size_vIXT1_EEEvE4typeEPT_S4_S4_S3_
                                        ; -- End function
	.section	.AMDGPU.csdata,"",@progbits
; Kernel info:
; codeLenInByte = 308
; NumSgprs: 18
; NumVgprs: 11
; ScratchSize: 0
; MemoryBound: 0
; FloatMode: 240
; IeeeMode: 1
; LDSByteSize: 0 bytes/workgroup (compile time only)
; SGPRBlocks: 2
; VGPRBlocks: 1
; NumSGPRsForWavesPerEU: 18
; NumVGPRsForWavesPerEU: 11
; Occupancy: 16
; WaveLimiterHint : 0
; COMPUTE_PGM_RSRC2:SCRATCH_EN: 0
; COMPUTE_PGM_RSRC2:USER_SGPR: 15
; COMPUTE_PGM_RSRC2:TRAP_HANDLER: 0
; COMPUTE_PGM_RSRC2:TGID_X_EN: 1
; COMPUTE_PGM_RSRC2:TGID_Y_EN: 0
; COMPUTE_PGM_RSRC2:TGID_Z_EN: 0
; COMPUTE_PGM_RSRC2:TIDIG_COMP_CNT: 0
	.section	.text._Z33warp_exclusive_scan_reduce_kernelIiLj64ELj2EENSt9enable_ifIXsr10test_utilsE35device_test_enabled_for_warp_size_vIXT1_EEEvE4typeEPT_S4_S4_S3_,"axG",@progbits,_Z33warp_exclusive_scan_reduce_kernelIiLj64ELj2EENSt9enable_ifIXsr10test_utilsE35device_test_enabled_for_warp_size_vIXT1_EEEvE4typeEPT_S4_S4_S3_,comdat
	.protected	_Z33warp_exclusive_scan_reduce_kernelIiLj64ELj2EENSt9enable_ifIXsr10test_utilsE35device_test_enabled_for_warp_size_vIXT1_EEEvE4typeEPT_S4_S4_S3_ ; -- Begin function _Z33warp_exclusive_scan_reduce_kernelIiLj64ELj2EENSt9enable_ifIXsr10test_utilsE35device_test_enabled_for_warp_size_vIXT1_EEEvE4typeEPT_S4_S4_S3_
	.globl	_Z33warp_exclusive_scan_reduce_kernelIiLj64ELj2EENSt9enable_ifIXsr10test_utilsE35device_test_enabled_for_warp_size_vIXT1_EEEvE4typeEPT_S4_S4_S3_
	.p2align	8
	.type	_Z33warp_exclusive_scan_reduce_kernelIiLj64ELj2EENSt9enable_ifIXsr10test_utilsE35device_test_enabled_for_warp_size_vIXT1_EEEvE4typeEPT_S4_S4_S3_,@function
_Z33warp_exclusive_scan_reduce_kernelIiLj64ELj2EENSt9enable_ifIXsr10test_utilsE35device_test_enabled_for_warp_size_vIXT1_EEEvE4typeEPT_S4_S4_S3_: ; @_Z33warp_exclusive_scan_reduce_kernelIiLj64ELj2EENSt9enable_ifIXsr10test_utilsE35device_test_enabled_for_warp_size_vIXT1_EEEvE4typeEPT_S4_S4_S3_
; %bb.0:
	s_clause 0x1
	s_load_b32 s2, s[0:1], 0x2c
	s_load_b128 s[4:7], s[0:1], 0x0
	s_waitcnt lgkmcnt(0)
	s_and_b32 s2, s2, 0xffff
	s_delay_alu instid0(SALU_CYCLE_1) | instskip(SKIP_3) | instid1(VALU_DEP_2)
	v_mad_u64_u32 v[1:2], null, s15, s2, v[0:1]
	v_mov_b32_e32 v2, 0
	s_load_b32 s2, s[0:1], 0x18
	v_and_b32_e32 v0, 1, v0
	v_lshlrev_b64 v[4:5], 2, v[1:2]
	s_delay_alu instid0(VALU_DEP_1) | instskip(NEXT) | instid1(VALU_DEP_2)
	v_add_co_u32 v6, vcc_lo, s4, v4
	v_add_co_ci_u32_e32 v7, vcc_lo, s5, v5, vcc_lo
	global_load_b32 v3, v[6:7], off
	v_mbcnt_lo_u32_b32 v6, -1, 0
	s_delay_alu instid0(VALU_DEP_1) | instskip(SKIP_2) | instid1(VALU_DEP_1)
	v_and_b32_e32 v9, 30, v6
	v_bfe_i32 v7, v6, 0, 1
	v_add_nc_u32_e32 v10, -1, v6
	v_cmp_lt_i32_e32 vcc_lo, v10, v9
	s_waitcnt vmcnt(0)
	v_mov_b32_dpp v8, v3 row_shr:1 row_mask:0xf bank_mask:0xf
	s_delay_alu instid0(VALU_DEP_1) | instskip(NEXT) | instid1(VALU_DEP_1)
	v_dual_cndmask_b32 v8, v10, v6 :: v_dual_and_b32 v7, v7, v8
	v_add_nc_u32_e32 v3, v7, v3
	s_delay_alu instid0(VALU_DEP_2) | instskip(SKIP_1) | instid1(VALU_DEP_2)
	v_lshlrev_b32_e32 v7, 2, v8
	s_waitcnt lgkmcnt(0)
	v_add_nc_u32_e32 v8, s2, v3
	ds_bpermute_b32 v7, v7, v8
	v_lshl_or_b32 v8, v6, 2, 4
	v_and_b32_e32 v6, 1, v6
	ds_bpermute_b32 v3, v8, v3
	v_cmp_eq_u32_e32 vcc_lo, 0, v6
	s_waitcnt lgkmcnt(1)
	v_cndmask_b32_e64 v6, v7, s2, vcc_lo
	v_add_co_u32 v4, vcc_lo, s6, v4
	v_add_co_ci_u32_e32 v5, vcc_lo, s7, v5, vcc_lo
	s_mov_b32 s2, exec_lo
	global_store_b32 v[4:5], v6, off
	v_cmpx_eq_u32_e32 0, v0
	s_cbranch_execz .LBB223_2
; %bb.1:
	s_load_b64 s[0:1], s[0:1], 0x10
	v_lshrrev_b32_e32 v1, 1, v1
	s_delay_alu instid0(VALU_DEP_1) | instskip(SKIP_1) | instid1(VALU_DEP_1)
	v_lshlrev_b64 v[0:1], 2, v[1:2]
	s_waitcnt lgkmcnt(0)
	v_add_co_u32 v0, vcc_lo, s0, v0
	s_delay_alu instid0(VALU_DEP_2)
	v_add_co_ci_u32_e32 v1, vcc_lo, s1, v1, vcc_lo
	global_store_b32 v[0:1], v3, off
.LBB223_2:
	s_nop 0
	s_sendmsg sendmsg(MSG_DEALLOC_VGPRS)
	s_endpgm
	.section	.rodata,"a",@progbits
	.p2align	6, 0x0
	.amdhsa_kernel _Z33warp_exclusive_scan_reduce_kernelIiLj64ELj2EENSt9enable_ifIXsr10test_utilsE35device_test_enabled_for_warp_size_vIXT1_EEEvE4typeEPT_S4_S4_S3_
		.amdhsa_group_segment_fixed_size 0
		.amdhsa_private_segment_fixed_size 0
		.amdhsa_kernarg_size 288
		.amdhsa_user_sgpr_count 15
		.amdhsa_user_sgpr_dispatch_ptr 0
		.amdhsa_user_sgpr_queue_ptr 0
		.amdhsa_user_sgpr_kernarg_segment_ptr 1
		.amdhsa_user_sgpr_dispatch_id 0
		.amdhsa_user_sgpr_private_segment_size 0
		.amdhsa_wavefront_size32 1
		.amdhsa_uses_dynamic_stack 0
		.amdhsa_enable_private_segment 0
		.amdhsa_system_sgpr_workgroup_id_x 1
		.amdhsa_system_sgpr_workgroup_id_y 0
		.amdhsa_system_sgpr_workgroup_id_z 0
		.amdhsa_system_sgpr_workgroup_info 0
		.amdhsa_system_vgpr_workitem_id 0
		.amdhsa_next_free_vgpr 11
		.amdhsa_next_free_sgpr 16
		.amdhsa_reserve_vcc 1
		.amdhsa_float_round_mode_32 0
		.amdhsa_float_round_mode_16_64 0
		.amdhsa_float_denorm_mode_32 3
		.amdhsa_float_denorm_mode_16_64 3
		.amdhsa_dx10_clamp 1
		.amdhsa_ieee_mode 1
		.amdhsa_fp16_overflow 0
		.amdhsa_workgroup_processor_mode 1
		.amdhsa_memory_ordered 1
		.amdhsa_forward_progress 0
		.amdhsa_shared_vgpr_count 0
		.amdhsa_exception_fp_ieee_invalid_op 0
		.amdhsa_exception_fp_denorm_src 0
		.amdhsa_exception_fp_ieee_div_zero 0
		.amdhsa_exception_fp_ieee_overflow 0
		.amdhsa_exception_fp_ieee_underflow 0
		.amdhsa_exception_fp_ieee_inexact 0
		.amdhsa_exception_int_div_zero 0
	.end_amdhsa_kernel
	.section	.text._Z33warp_exclusive_scan_reduce_kernelIiLj64ELj2EENSt9enable_ifIXsr10test_utilsE35device_test_enabled_for_warp_size_vIXT1_EEEvE4typeEPT_S4_S4_S3_,"axG",@progbits,_Z33warp_exclusive_scan_reduce_kernelIiLj64ELj2EENSt9enable_ifIXsr10test_utilsE35device_test_enabled_for_warp_size_vIXT1_EEEvE4typeEPT_S4_S4_S3_,comdat
.Lfunc_end223:
	.size	_Z33warp_exclusive_scan_reduce_kernelIiLj64ELj2EENSt9enable_ifIXsr10test_utilsE35device_test_enabled_for_warp_size_vIXT1_EEEvE4typeEPT_S4_S4_S3_, .Lfunc_end223-_Z33warp_exclusive_scan_reduce_kernelIiLj64ELj2EENSt9enable_ifIXsr10test_utilsE35device_test_enabled_for_warp_size_vIXT1_EEEvE4typeEPT_S4_S4_S3_
                                        ; -- End function
	.section	.AMDGPU.csdata,"",@progbits
; Kernel info:
; codeLenInByte = 308
; NumSgprs: 18
; NumVgprs: 11
; ScratchSize: 0
; MemoryBound: 0
; FloatMode: 240
; IeeeMode: 1
; LDSByteSize: 0 bytes/workgroup (compile time only)
; SGPRBlocks: 2
; VGPRBlocks: 1
; NumSGPRsForWavesPerEU: 18
; NumVGPRsForWavesPerEU: 11
; Occupancy: 16
; WaveLimiterHint : 0
; COMPUTE_PGM_RSRC2:SCRATCH_EN: 0
; COMPUTE_PGM_RSRC2:USER_SGPR: 15
; COMPUTE_PGM_RSRC2:TRAP_HANDLER: 0
; COMPUTE_PGM_RSRC2:TGID_X_EN: 1
; COMPUTE_PGM_RSRC2:TGID_Y_EN: 0
; COMPUTE_PGM_RSRC2:TGID_Z_EN: 0
; COMPUTE_PGM_RSRC2:TIDIG_COMP_CNT: 0
	.section	.text._Z16warp_scan_kernelIfLj1ELj61EENSt9enable_ifIXntsr10test_utilsE35device_test_enabled_for_warp_size_vIXT1_EEEvE4typeEPT_S4_S4_S3_,"axG",@progbits,_Z16warp_scan_kernelIfLj1ELj61EENSt9enable_ifIXntsr10test_utilsE35device_test_enabled_for_warp_size_vIXT1_EEEvE4typeEPT_S4_S4_S3_,comdat
	.protected	_Z16warp_scan_kernelIfLj1ELj61EENSt9enable_ifIXntsr10test_utilsE35device_test_enabled_for_warp_size_vIXT1_EEEvE4typeEPT_S4_S4_S3_ ; -- Begin function _Z16warp_scan_kernelIfLj1ELj61EENSt9enable_ifIXntsr10test_utilsE35device_test_enabled_for_warp_size_vIXT1_EEEvE4typeEPT_S4_S4_S3_
	.globl	_Z16warp_scan_kernelIfLj1ELj61EENSt9enable_ifIXntsr10test_utilsE35device_test_enabled_for_warp_size_vIXT1_EEEvE4typeEPT_S4_S4_S3_
	.p2align	8
	.type	_Z16warp_scan_kernelIfLj1ELj61EENSt9enable_ifIXntsr10test_utilsE35device_test_enabled_for_warp_size_vIXT1_EEEvE4typeEPT_S4_S4_S3_,@function
_Z16warp_scan_kernelIfLj1ELj61EENSt9enable_ifIXntsr10test_utilsE35device_test_enabled_for_warp_size_vIXT1_EEEvE4typeEPT_S4_S4_S3_: ; @_Z16warp_scan_kernelIfLj1ELj61EENSt9enable_ifIXntsr10test_utilsE35device_test_enabled_for_warp_size_vIXT1_EEEvE4typeEPT_S4_S4_S3_
; %bb.0:
	s_endpgm
	.section	.rodata,"a",@progbits
	.p2align	6, 0x0
	.amdhsa_kernel _Z16warp_scan_kernelIfLj1ELj61EENSt9enable_ifIXntsr10test_utilsE35device_test_enabled_for_warp_size_vIXT1_EEEvE4typeEPT_S4_S4_S3_
		.amdhsa_group_segment_fixed_size 0
		.amdhsa_private_segment_fixed_size 0
		.amdhsa_kernarg_size 28
		.amdhsa_user_sgpr_count 15
		.amdhsa_user_sgpr_dispatch_ptr 0
		.amdhsa_user_sgpr_queue_ptr 0
		.amdhsa_user_sgpr_kernarg_segment_ptr 1
		.amdhsa_user_sgpr_dispatch_id 0
		.amdhsa_user_sgpr_private_segment_size 0
		.amdhsa_wavefront_size32 1
		.amdhsa_uses_dynamic_stack 0
		.amdhsa_enable_private_segment 0
		.amdhsa_system_sgpr_workgroup_id_x 1
		.amdhsa_system_sgpr_workgroup_id_y 0
		.amdhsa_system_sgpr_workgroup_id_z 0
		.amdhsa_system_sgpr_workgroup_info 0
		.amdhsa_system_vgpr_workitem_id 0
		.amdhsa_next_free_vgpr 1
		.amdhsa_next_free_sgpr 1
		.amdhsa_reserve_vcc 0
		.amdhsa_float_round_mode_32 0
		.amdhsa_float_round_mode_16_64 0
		.amdhsa_float_denorm_mode_32 3
		.amdhsa_float_denorm_mode_16_64 3
		.amdhsa_dx10_clamp 1
		.amdhsa_ieee_mode 1
		.amdhsa_fp16_overflow 0
		.amdhsa_workgroup_processor_mode 1
		.amdhsa_memory_ordered 1
		.amdhsa_forward_progress 0
		.amdhsa_shared_vgpr_count 0
		.amdhsa_exception_fp_ieee_invalid_op 0
		.amdhsa_exception_fp_denorm_src 0
		.amdhsa_exception_fp_ieee_div_zero 0
		.amdhsa_exception_fp_ieee_overflow 0
		.amdhsa_exception_fp_ieee_underflow 0
		.amdhsa_exception_fp_ieee_inexact 0
		.amdhsa_exception_int_div_zero 0
	.end_amdhsa_kernel
	.section	.text._Z16warp_scan_kernelIfLj1ELj61EENSt9enable_ifIXntsr10test_utilsE35device_test_enabled_for_warp_size_vIXT1_EEEvE4typeEPT_S4_S4_S3_,"axG",@progbits,_Z16warp_scan_kernelIfLj1ELj61EENSt9enable_ifIXntsr10test_utilsE35device_test_enabled_for_warp_size_vIXT1_EEEvE4typeEPT_S4_S4_S3_,comdat
.Lfunc_end224:
	.size	_Z16warp_scan_kernelIfLj1ELj61EENSt9enable_ifIXntsr10test_utilsE35device_test_enabled_for_warp_size_vIXT1_EEEvE4typeEPT_S4_S4_S3_, .Lfunc_end224-_Z16warp_scan_kernelIfLj1ELj61EENSt9enable_ifIXntsr10test_utilsE35device_test_enabled_for_warp_size_vIXT1_EEEvE4typeEPT_S4_S4_S3_
                                        ; -- End function
	.section	.AMDGPU.csdata,"",@progbits
; Kernel info:
; codeLenInByte = 4
; NumSgprs: 0
; NumVgprs: 0
; ScratchSize: 0
; MemoryBound: 0
; FloatMode: 240
; IeeeMode: 1
; LDSByteSize: 0 bytes/workgroup (compile time only)
; SGPRBlocks: 0
; VGPRBlocks: 0
; NumSGPRsForWavesPerEU: 1
; NumVGPRsForWavesPerEU: 1
; Occupancy: 16
; WaveLimiterHint : 0
; COMPUTE_PGM_RSRC2:SCRATCH_EN: 0
; COMPUTE_PGM_RSRC2:USER_SGPR: 15
; COMPUTE_PGM_RSRC2:TRAP_HANDLER: 0
; COMPUTE_PGM_RSRC2:TGID_X_EN: 1
; COMPUTE_PGM_RSRC2:TGID_Y_EN: 0
; COMPUTE_PGM_RSRC2:TGID_Z_EN: 0
; COMPUTE_PGM_RSRC2:TIDIG_COMP_CNT: 0
	.section	.text._Z16warp_scan_kernelIfLj61ELj61EENSt9enable_ifIXntsr10test_utilsE35device_test_enabled_for_warp_size_vIXT1_EEEvE4typeEPT_S4_S4_S3_,"axG",@progbits,_Z16warp_scan_kernelIfLj61ELj61EENSt9enable_ifIXntsr10test_utilsE35device_test_enabled_for_warp_size_vIXT1_EEEvE4typeEPT_S4_S4_S3_,comdat
	.protected	_Z16warp_scan_kernelIfLj61ELj61EENSt9enable_ifIXntsr10test_utilsE35device_test_enabled_for_warp_size_vIXT1_EEEvE4typeEPT_S4_S4_S3_ ; -- Begin function _Z16warp_scan_kernelIfLj61ELj61EENSt9enable_ifIXntsr10test_utilsE35device_test_enabled_for_warp_size_vIXT1_EEEvE4typeEPT_S4_S4_S3_
	.globl	_Z16warp_scan_kernelIfLj61ELj61EENSt9enable_ifIXntsr10test_utilsE35device_test_enabled_for_warp_size_vIXT1_EEEvE4typeEPT_S4_S4_S3_
	.p2align	8
	.type	_Z16warp_scan_kernelIfLj61ELj61EENSt9enable_ifIXntsr10test_utilsE35device_test_enabled_for_warp_size_vIXT1_EEEvE4typeEPT_S4_S4_S3_,@function
_Z16warp_scan_kernelIfLj61ELj61EENSt9enable_ifIXntsr10test_utilsE35device_test_enabled_for_warp_size_vIXT1_EEEvE4typeEPT_S4_S4_S3_: ; @_Z16warp_scan_kernelIfLj61ELj61EENSt9enable_ifIXntsr10test_utilsE35device_test_enabled_for_warp_size_vIXT1_EEEvE4typeEPT_S4_S4_S3_
; %bb.0:
	s_endpgm
	.section	.rodata,"a",@progbits
	.p2align	6, 0x0
	.amdhsa_kernel _Z16warp_scan_kernelIfLj61ELj61EENSt9enable_ifIXntsr10test_utilsE35device_test_enabled_for_warp_size_vIXT1_EEEvE4typeEPT_S4_S4_S3_
		.amdhsa_group_segment_fixed_size 0
		.amdhsa_private_segment_fixed_size 0
		.amdhsa_kernarg_size 28
		.amdhsa_user_sgpr_count 15
		.amdhsa_user_sgpr_dispatch_ptr 0
		.amdhsa_user_sgpr_queue_ptr 0
		.amdhsa_user_sgpr_kernarg_segment_ptr 1
		.amdhsa_user_sgpr_dispatch_id 0
		.amdhsa_user_sgpr_private_segment_size 0
		.amdhsa_wavefront_size32 1
		.amdhsa_uses_dynamic_stack 0
		.amdhsa_enable_private_segment 0
		.amdhsa_system_sgpr_workgroup_id_x 1
		.amdhsa_system_sgpr_workgroup_id_y 0
		.amdhsa_system_sgpr_workgroup_id_z 0
		.amdhsa_system_sgpr_workgroup_info 0
		.amdhsa_system_vgpr_workitem_id 0
		.amdhsa_next_free_vgpr 1
		.amdhsa_next_free_sgpr 1
		.amdhsa_reserve_vcc 0
		.amdhsa_float_round_mode_32 0
		.amdhsa_float_round_mode_16_64 0
		.amdhsa_float_denorm_mode_32 3
		.amdhsa_float_denorm_mode_16_64 3
		.amdhsa_dx10_clamp 1
		.amdhsa_ieee_mode 1
		.amdhsa_fp16_overflow 0
		.amdhsa_workgroup_processor_mode 1
		.amdhsa_memory_ordered 1
		.amdhsa_forward_progress 0
		.amdhsa_shared_vgpr_count 0
		.amdhsa_exception_fp_ieee_invalid_op 0
		.amdhsa_exception_fp_denorm_src 0
		.amdhsa_exception_fp_ieee_div_zero 0
		.amdhsa_exception_fp_ieee_overflow 0
		.amdhsa_exception_fp_ieee_underflow 0
		.amdhsa_exception_fp_ieee_inexact 0
		.amdhsa_exception_int_div_zero 0
	.end_amdhsa_kernel
	.section	.text._Z16warp_scan_kernelIfLj61ELj61EENSt9enable_ifIXntsr10test_utilsE35device_test_enabled_for_warp_size_vIXT1_EEEvE4typeEPT_S4_S4_S3_,"axG",@progbits,_Z16warp_scan_kernelIfLj61ELj61EENSt9enable_ifIXntsr10test_utilsE35device_test_enabled_for_warp_size_vIXT1_EEEvE4typeEPT_S4_S4_S3_,comdat
.Lfunc_end225:
	.size	_Z16warp_scan_kernelIfLj61ELj61EENSt9enable_ifIXntsr10test_utilsE35device_test_enabled_for_warp_size_vIXT1_EEEvE4typeEPT_S4_S4_S3_, .Lfunc_end225-_Z16warp_scan_kernelIfLj61ELj61EENSt9enable_ifIXntsr10test_utilsE35device_test_enabled_for_warp_size_vIXT1_EEEvE4typeEPT_S4_S4_S3_
                                        ; -- End function
	.section	.AMDGPU.csdata,"",@progbits
; Kernel info:
; codeLenInByte = 4
; NumSgprs: 0
; NumVgprs: 0
; ScratchSize: 0
; MemoryBound: 0
; FloatMode: 240
; IeeeMode: 1
; LDSByteSize: 0 bytes/workgroup (compile time only)
; SGPRBlocks: 0
; VGPRBlocks: 0
; NumSGPRsForWavesPerEU: 1
; NumVGPRsForWavesPerEU: 1
; Occupancy: 16
; WaveLimiterHint : 0
; COMPUTE_PGM_RSRC2:SCRATCH_EN: 0
; COMPUTE_PGM_RSRC2:USER_SGPR: 15
; COMPUTE_PGM_RSRC2:TRAP_HANDLER: 0
; COMPUTE_PGM_RSRC2:TGID_X_EN: 1
; COMPUTE_PGM_RSRC2:TGID_Y_EN: 0
; COMPUTE_PGM_RSRC2:TGID_Z_EN: 0
; COMPUTE_PGM_RSRC2:TIDIG_COMP_CNT: 0
	.section	.text._Z16warp_scan_kernelIfLj1ELj37EENSt9enable_ifIXntsr10test_utilsE35device_test_enabled_for_warp_size_vIXT1_EEEvE4typeEPT_S4_S4_S3_,"axG",@progbits,_Z16warp_scan_kernelIfLj1ELj37EENSt9enable_ifIXntsr10test_utilsE35device_test_enabled_for_warp_size_vIXT1_EEEvE4typeEPT_S4_S4_S3_,comdat
	.protected	_Z16warp_scan_kernelIfLj1ELj37EENSt9enable_ifIXntsr10test_utilsE35device_test_enabled_for_warp_size_vIXT1_EEEvE4typeEPT_S4_S4_S3_ ; -- Begin function _Z16warp_scan_kernelIfLj1ELj37EENSt9enable_ifIXntsr10test_utilsE35device_test_enabled_for_warp_size_vIXT1_EEEvE4typeEPT_S4_S4_S3_
	.globl	_Z16warp_scan_kernelIfLj1ELj37EENSt9enable_ifIXntsr10test_utilsE35device_test_enabled_for_warp_size_vIXT1_EEEvE4typeEPT_S4_S4_S3_
	.p2align	8
	.type	_Z16warp_scan_kernelIfLj1ELj37EENSt9enable_ifIXntsr10test_utilsE35device_test_enabled_for_warp_size_vIXT1_EEEvE4typeEPT_S4_S4_S3_,@function
_Z16warp_scan_kernelIfLj1ELj37EENSt9enable_ifIXntsr10test_utilsE35device_test_enabled_for_warp_size_vIXT1_EEEvE4typeEPT_S4_S4_S3_: ; @_Z16warp_scan_kernelIfLj1ELj37EENSt9enable_ifIXntsr10test_utilsE35device_test_enabled_for_warp_size_vIXT1_EEEvE4typeEPT_S4_S4_S3_
; %bb.0:
	s_endpgm
	.section	.rodata,"a",@progbits
	.p2align	6, 0x0
	.amdhsa_kernel _Z16warp_scan_kernelIfLj1ELj37EENSt9enable_ifIXntsr10test_utilsE35device_test_enabled_for_warp_size_vIXT1_EEEvE4typeEPT_S4_S4_S3_
		.amdhsa_group_segment_fixed_size 0
		.amdhsa_private_segment_fixed_size 0
		.amdhsa_kernarg_size 28
		.amdhsa_user_sgpr_count 15
		.amdhsa_user_sgpr_dispatch_ptr 0
		.amdhsa_user_sgpr_queue_ptr 0
		.amdhsa_user_sgpr_kernarg_segment_ptr 1
		.amdhsa_user_sgpr_dispatch_id 0
		.amdhsa_user_sgpr_private_segment_size 0
		.amdhsa_wavefront_size32 1
		.amdhsa_uses_dynamic_stack 0
		.amdhsa_enable_private_segment 0
		.amdhsa_system_sgpr_workgroup_id_x 1
		.amdhsa_system_sgpr_workgroup_id_y 0
		.amdhsa_system_sgpr_workgroup_id_z 0
		.amdhsa_system_sgpr_workgroup_info 0
		.amdhsa_system_vgpr_workitem_id 0
		.amdhsa_next_free_vgpr 1
		.amdhsa_next_free_sgpr 1
		.amdhsa_reserve_vcc 0
		.amdhsa_float_round_mode_32 0
		.amdhsa_float_round_mode_16_64 0
		.amdhsa_float_denorm_mode_32 3
		.amdhsa_float_denorm_mode_16_64 3
		.amdhsa_dx10_clamp 1
		.amdhsa_ieee_mode 1
		.amdhsa_fp16_overflow 0
		.amdhsa_workgroup_processor_mode 1
		.amdhsa_memory_ordered 1
		.amdhsa_forward_progress 0
		.amdhsa_shared_vgpr_count 0
		.amdhsa_exception_fp_ieee_invalid_op 0
		.amdhsa_exception_fp_denorm_src 0
		.amdhsa_exception_fp_ieee_div_zero 0
		.amdhsa_exception_fp_ieee_overflow 0
		.amdhsa_exception_fp_ieee_underflow 0
		.amdhsa_exception_fp_ieee_inexact 0
		.amdhsa_exception_int_div_zero 0
	.end_amdhsa_kernel
	.section	.text._Z16warp_scan_kernelIfLj1ELj37EENSt9enable_ifIXntsr10test_utilsE35device_test_enabled_for_warp_size_vIXT1_EEEvE4typeEPT_S4_S4_S3_,"axG",@progbits,_Z16warp_scan_kernelIfLj1ELj37EENSt9enable_ifIXntsr10test_utilsE35device_test_enabled_for_warp_size_vIXT1_EEEvE4typeEPT_S4_S4_S3_,comdat
.Lfunc_end226:
	.size	_Z16warp_scan_kernelIfLj1ELj37EENSt9enable_ifIXntsr10test_utilsE35device_test_enabled_for_warp_size_vIXT1_EEEvE4typeEPT_S4_S4_S3_, .Lfunc_end226-_Z16warp_scan_kernelIfLj1ELj37EENSt9enable_ifIXntsr10test_utilsE35device_test_enabled_for_warp_size_vIXT1_EEEvE4typeEPT_S4_S4_S3_
                                        ; -- End function
	.section	.AMDGPU.csdata,"",@progbits
; Kernel info:
; codeLenInByte = 4
; NumSgprs: 0
; NumVgprs: 0
; ScratchSize: 0
; MemoryBound: 0
; FloatMode: 240
; IeeeMode: 1
; LDSByteSize: 0 bytes/workgroup (compile time only)
; SGPRBlocks: 0
; VGPRBlocks: 0
; NumSGPRsForWavesPerEU: 1
; NumVGPRsForWavesPerEU: 1
; Occupancy: 16
; WaveLimiterHint : 0
; COMPUTE_PGM_RSRC2:SCRATCH_EN: 0
; COMPUTE_PGM_RSRC2:USER_SGPR: 15
; COMPUTE_PGM_RSRC2:TRAP_HANDLER: 0
; COMPUTE_PGM_RSRC2:TGID_X_EN: 1
; COMPUTE_PGM_RSRC2:TGID_Y_EN: 0
; COMPUTE_PGM_RSRC2:TGID_Z_EN: 0
; COMPUTE_PGM_RSRC2:TIDIG_COMP_CNT: 0
	.section	.text._Z16warp_scan_kernelIfLj37ELj37EENSt9enable_ifIXntsr10test_utilsE35device_test_enabled_for_warp_size_vIXT1_EEEvE4typeEPT_S4_S4_S3_,"axG",@progbits,_Z16warp_scan_kernelIfLj37ELj37EENSt9enable_ifIXntsr10test_utilsE35device_test_enabled_for_warp_size_vIXT1_EEEvE4typeEPT_S4_S4_S3_,comdat
	.protected	_Z16warp_scan_kernelIfLj37ELj37EENSt9enable_ifIXntsr10test_utilsE35device_test_enabled_for_warp_size_vIXT1_EEEvE4typeEPT_S4_S4_S3_ ; -- Begin function _Z16warp_scan_kernelIfLj37ELj37EENSt9enable_ifIXntsr10test_utilsE35device_test_enabled_for_warp_size_vIXT1_EEEvE4typeEPT_S4_S4_S3_
	.globl	_Z16warp_scan_kernelIfLj37ELj37EENSt9enable_ifIXntsr10test_utilsE35device_test_enabled_for_warp_size_vIXT1_EEEvE4typeEPT_S4_S4_S3_
	.p2align	8
	.type	_Z16warp_scan_kernelIfLj37ELj37EENSt9enable_ifIXntsr10test_utilsE35device_test_enabled_for_warp_size_vIXT1_EEEvE4typeEPT_S4_S4_S3_,@function
_Z16warp_scan_kernelIfLj37ELj37EENSt9enable_ifIXntsr10test_utilsE35device_test_enabled_for_warp_size_vIXT1_EEEvE4typeEPT_S4_S4_S3_: ; @_Z16warp_scan_kernelIfLj37ELj37EENSt9enable_ifIXntsr10test_utilsE35device_test_enabled_for_warp_size_vIXT1_EEEvE4typeEPT_S4_S4_S3_
; %bb.0:
	s_endpgm
	.section	.rodata,"a",@progbits
	.p2align	6, 0x0
	.amdhsa_kernel _Z16warp_scan_kernelIfLj37ELj37EENSt9enable_ifIXntsr10test_utilsE35device_test_enabled_for_warp_size_vIXT1_EEEvE4typeEPT_S4_S4_S3_
		.amdhsa_group_segment_fixed_size 0
		.amdhsa_private_segment_fixed_size 0
		.amdhsa_kernarg_size 28
		.amdhsa_user_sgpr_count 15
		.amdhsa_user_sgpr_dispatch_ptr 0
		.amdhsa_user_sgpr_queue_ptr 0
		.amdhsa_user_sgpr_kernarg_segment_ptr 1
		.amdhsa_user_sgpr_dispatch_id 0
		.amdhsa_user_sgpr_private_segment_size 0
		.amdhsa_wavefront_size32 1
		.amdhsa_uses_dynamic_stack 0
		.amdhsa_enable_private_segment 0
		.amdhsa_system_sgpr_workgroup_id_x 1
		.amdhsa_system_sgpr_workgroup_id_y 0
		.amdhsa_system_sgpr_workgroup_id_z 0
		.amdhsa_system_sgpr_workgroup_info 0
		.amdhsa_system_vgpr_workitem_id 0
		.amdhsa_next_free_vgpr 1
		.amdhsa_next_free_sgpr 1
		.amdhsa_reserve_vcc 0
		.amdhsa_float_round_mode_32 0
		.amdhsa_float_round_mode_16_64 0
		.amdhsa_float_denorm_mode_32 3
		.amdhsa_float_denorm_mode_16_64 3
		.amdhsa_dx10_clamp 1
		.amdhsa_ieee_mode 1
		.amdhsa_fp16_overflow 0
		.amdhsa_workgroup_processor_mode 1
		.amdhsa_memory_ordered 1
		.amdhsa_forward_progress 0
		.amdhsa_shared_vgpr_count 0
		.amdhsa_exception_fp_ieee_invalid_op 0
		.amdhsa_exception_fp_denorm_src 0
		.amdhsa_exception_fp_ieee_div_zero 0
		.amdhsa_exception_fp_ieee_overflow 0
		.amdhsa_exception_fp_ieee_underflow 0
		.amdhsa_exception_fp_ieee_inexact 0
		.amdhsa_exception_int_div_zero 0
	.end_amdhsa_kernel
	.section	.text._Z16warp_scan_kernelIfLj37ELj37EENSt9enable_ifIXntsr10test_utilsE35device_test_enabled_for_warp_size_vIXT1_EEEvE4typeEPT_S4_S4_S3_,"axG",@progbits,_Z16warp_scan_kernelIfLj37ELj37EENSt9enable_ifIXntsr10test_utilsE35device_test_enabled_for_warp_size_vIXT1_EEEvE4typeEPT_S4_S4_S3_,comdat
.Lfunc_end227:
	.size	_Z16warp_scan_kernelIfLj37ELj37EENSt9enable_ifIXntsr10test_utilsE35device_test_enabled_for_warp_size_vIXT1_EEEvE4typeEPT_S4_S4_S3_, .Lfunc_end227-_Z16warp_scan_kernelIfLj37ELj37EENSt9enable_ifIXntsr10test_utilsE35device_test_enabled_for_warp_size_vIXT1_EEEvE4typeEPT_S4_S4_S3_
                                        ; -- End function
	.section	.AMDGPU.csdata,"",@progbits
; Kernel info:
; codeLenInByte = 4
; NumSgprs: 0
; NumVgprs: 0
; ScratchSize: 0
; MemoryBound: 0
; FloatMode: 240
; IeeeMode: 1
; LDSByteSize: 0 bytes/workgroup (compile time only)
; SGPRBlocks: 0
; VGPRBlocks: 0
; NumSGPRsForWavesPerEU: 1
; NumVGPRsForWavesPerEU: 1
; Occupancy: 16
; WaveLimiterHint : 0
; COMPUTE_PGM_RSRC2:SCRATCH_EN: 0
; COMPUTE_PGM_RSRC2:USER_SGPR: 15
; COMPUTE_PGM_RSRC2:TRAP_HANDLER: 0
; COMPUTE_PGM_RSRC2:TGID_X_EN: 1
; COMPUTE_PGM_RSRC2:TGID_Y_EN: 0
; COMPUTE_PGM_RSRC2:TGID_Z_EN: 0
; COMPUTE_PGM_RSRC2:TIDIG_COMP_CNT: 0
	.section	.text._Z16warp_scan_kernelIfLj30ELj15EENSt9enable_ifIXsr10test_utilsE35device_test_enabled_for_warp_size_vIXT1_EEEvE4typeEPT_S4_S4_S3_,"axG",@progbits,_Z16warp_scan_kernelIfLj30ELj15EENSt9enable_ifIXsr10test_utilsE35device_test_enabled_for_warp_size_vIXT1_EEEvE4typeEPT_S4_S4_S3_,comdat
	.protected	_Z16warp_scan_kernelIfLj30ELj15EENSt9enable_ifIXsr10test_utilsE35device_test_enabled_for_warp_size_vIXT1_EEEvE4typeEPT_S4_S4_S3_ ; -- Begin function _Z16warp_scan_kernelIfLj30ELj15EENSt9enable_ifIXsr10test_utilsE35device_test_enabled_for_warp_size_vIXT1_EEEvE4typeEPT_S4_S4_S3_
	.globl	_Z16warp_scan_kernelIfLj30ELj15EENSt9enable_ifIXsr10test_utilsE35device_test_enabled_for_warp_size_vIXT1_EEEvE4typeEPT_S4_S4_S3_
	.p2align	8
	.type	_Z16warp_scan_kernelIfLj30ELj15EENSt9enable_ifIXsr10test_utilsE35device_test_enabled_for_warp_size_vIXT1_EEEvE4typeEPT_S4_S4_S3_,@function
_Z16warp_scan_kernelIfLj30ELj15EENSt9enable_ifIXsr10test_utilsE35device_test_enabled_for_warp_size_vIXT1_EEEvE4typeEPT_S4_S4_S3_: ; @_Z16warp_scan_kernelIfLj30ELj15EENSt9enable_ifIXsr10test_utilsE35device_test_enabled_for_warp_size_vIXT1_EEEvE4typeEPT_S4_S4_S3_
; %bb.0:
	s_clause 0x1
	s_load_b32 s2, s[0:1], 0x2c
	s_load_b128 s[4:7], s[0:1], 0x0
	s_waitcnt lgkmcnt(0)
	s_and_b32 s2, s2, 0xffff
	s_delay_alu instid0(SALU_CYCLE_1) | instskip(SKIP_2) | instid1(VALU_DEP_1)
	v_mad_u64_u32 v[1:2], null, s15, s2, v[0:1]
	v_mov_b32_e32 v2, 0
	v_mul_u32_u24_e32 v0, 0x1112, v0
	v_lshrrev_b32_e32 v0, 16, v0
	s_delay_alu instid0(VALU_DEP_3) | instskip(NEXT) | instid1(VALU_DEP_1)
	v_lshlrev_b64 v[1:2], 2, v[1:2]
	v_add_co_u32 v3, vcc_lo, s4, v1
	s_delay_alu instid0(VALU_DEP_2) | instskip(SKIP_2) | instid1(VALU_DEP_1)
	v_add_co_ci_u32_e32 v4, vcc_lo, s5, v2, vcc_lo
	global_load_b32 v3, v[3:4], off
	v_mbcnt_lo_u32_b32 v4, -1, 0
	v_mul_hi_u32 v5, 0x11111112, v4
	s_delay_alu instid0(VALU_DEP_1) | instskip(NEXT) | instid1(VALU_DEP_1)
	v_mul_u32_u24_e32 v5, 15, v5
	v_sub_nc_u32_e32 v5, v4, v5
	s_delay_alu instid0(VALU_DEP_1) | instskip(SKIP_1) | instid1(VALU_DEP_2)
	v_lshlrev_b32_e32 v4, 2, v5
	v_cmp_ne_u32_e32 vcc_lo, 0, v5
	v_mad_u32_u24 v4, v0, 60, v4
	s_delay_alu instid0(VALU_DEP_1)
	v_add_nc_u32_e32 v0, -4, v4
	s_waitcnt vmcnt(0)
	ds_store_b32 v4, v3
	; wave barrier
	s_and_saveexec_b32 s2, vcc_lo
	s_cbranch_execz .LBB228_2
; %bb.1:
	ds_load_b32 v6, v0
	s_waitcnt lgkmcnt(0)
	v_add_f32_e32 v3, v3, v6
.LBB228_2:
	s_or_b32 exec_lo, exec_lo, s2
	; wave barrier
	s_and_saveexec_b32 s2, vcc_lo
	s_cbranch_execz .LBB228_4
; %bb.3:
	ds_store_b32 v4, v3
.LBB228_4:
	s_or_b32 exec_lo, exec_lo, s2
	v_cmp_lt_u32_e64 s2, 1, v5
	; wave barrier
	s_delay_alu instid0(VALU_DEP_1)
	s_and_saveexec_b32 s3, s2
	s_cbranch_execz .LBB228_6
; %bb.5:
	v_add_nc_u32_e32 v6, -8, v4
	ds_load_b32 v6, v6
	s_waitcnt lgkmcnt(0)
	v_add_f32_e32 v3, v3, v6
.LBB228_6:
	s_or_b32 exec_lo, exec_lo, s3
	; wave barrier
	s_and_saveexec_b32 s3, s2
	s_cbranch_execz .LBB228_8
; %bb.7:
	ds_store_b32 v4, v3
.LBB228_8:
	s_or_b32 exec_lo, exec_lo, s3
	v_cmp_lt_u32_e64 s2, 3, v5
	; wave barrier
	s_delay_alu instid0(VALU_DEP_1)
	s_and_saveexec_b32 s3, s2
	s_cbranch_execz .LBB228_10
; %bb.9:
	v_add_nc_u32_e32 v6, -16, v4
	ds_load_b32 v6, v6
	s_waitcnt lgkmcnt(0)
	v_add_f32_e32 v3, v3, v6
.LBB228_10:
	s_or_b32 exec_lo, exec_lo, s3
	; wave barrier
	s_and_saveexec_b32 s3, s2
	s_cbranch_execz .LBB228_12
; %bb.11:
	ds_store_b32 v4, v3
.LBB228_12:
	s_or_b32 exec_lo, exec_lo, s3
	s_load_b64 s[4:5], s[0:1], 0x10
	v_cmp_lt_u32_e64 s2, 7, v5
	; wave barrier
	s_delay_alu instid0(VALU_DEP_1)
	s_and_saveexec_b32 s3, s2
	s_cbranch_execz .LBB228_14
; %bb.13:
	v_subrev_nc_u32_e32 v5, 32, v4
	ds_load_b32 v5, v5
	s_waitcnt lgkmcnt(0)
	v_add_f32_e32 v3, v3, v5
.LBB228_14:
	s_or_b32 exec_lo, exec_lo, s3
	; wave barrier
	s_and_saveexec_b32 s3, s2
	s_cbranch_execz .LBB228_16
; %bb.15:
	ds_store_b32 v4, v3
.LBB228_16:
	s_or_b32 exec_lo, exec_lo, s3
	s_load_b32 s0, s[0:1], 0x18
	; wave barrier
	s_waitcnt lgkmcnt(0)
	v_mov_b32_e32 v4, s0
	s_and_saveexec_b32 s1, vcc_lo
	s_cbranch_execz .LBB228_18
; %bb.17:
	ds_load_b32 v0, v0
	s_waitcnt lgkmcnt(0)
	v_add_f32_e32 v4, s0, v0
.LBB228_18:
	s_or_b32 exec_lo, exec_lo, s1
	v_add_co_u32 v5, vcc_lo, s6, v1
	v_add_co_ci_u32_e32 v6, vcc_lo, s7, v2, vcc_lo
	v_add_co_u32 v0, vcc_lo, s4, v1
	v_add_f32_e32 v3, s0, v3
	v_add_co_ci_u32_e32 v1, vcc_lo, s5, v2, vcc_lo
	global_store_b32 v[5:6], v3, off
	global_store_b32 v[0:1], v4, off
	s_nop 0
	s_sendmsg sendmsg(MSG_DEALLOC_VGPRS)
	s_endpgm
	.section	.rodata,"a",@progbits
	.p2align	6, 0x0
	.amdhsa_kernel _Z16warp_scan_kernelIfLj30ELj15EENSt9enable_ifIXsr10test_utilsE35device_test_enabled_for_warp_size_vIXT1_EEEvE4typeEPT_S4_S4_S3_
		.amdhsa_group_segment_fixed_size 120
		.amdhsa_private_segment_fixed_size 0
		.amdhsa_kernarg_size 288
		.amdhsa_user_sgpr_count 15
		.amdhsa_user_sgpr_dispatch_ptr 0
		.amdhsa_user_sgpr_queue_ptr 0
		.amdhsa_user_sgpr_kernarg_segment_ptr 1
		.amdhsa_user_sgpr_dispatch_id 0
		.amdhsa_user_sgpr_private_segment_size 0
		.amdhsa_wavefront_size32 1
		.amdhsa_uses_dynamic_stack 0
		.amdhsa_enable_private_segment 0
		.amdhsa_system_sgpr_workgroup_id_x 1
		.amdhsa_system_sgpr_workgroup_id_y 0
		.amdhsa_system_sgpr_workgroup_id_z 0
		.amdhsa_system_sgpr_workgroup_info 0
		.amdhsa_system_vgpr_workitem_id 0
		.amdhsa_next_free_vgpr 7
		.amdhsa_next_free_sgpr 16
		.amdhsa_reserve_vcc 1
		.amdhsa_float_round_mode_32 0
		.amdhsa_float_round_mode_16_64 0
		.amdhsa_float_denorm_mode_32 3
		.amdhsa_float_denorm_mode_16_64 3
		.amdhsa_dx10_clamp 1
		.amdhsa_ieee_mode 1
		.amdhsa_fp16_overflow 0
		.amdhsa_workgroup_processor_mode 1
		.amdhsa_memory_ordered 1
		.amdhsa_forward_progress 0
		.amdhsa_shared_vgpr_count 0
		.amdhsa_exception_fp_ieee_invalid_op 0
		.amdhsa_exception_fp_denorm_src 0
		.amdhsa_exception_fp_ieee_div_zero 0
		.amdhsa_exception_fp_ieee_overflow 0
		.amdhsa_exception_fp_ieee_underflow 0
		.amdhsa_exception_fp_ieee_inexact 0
		.amdhsa_exception_int_div_zero 0
	.end_amdhsa_kernel
	.section	.text._Z16warp_scan_kernelIfLj30ELj15EENSt9enable_ifIXsr10test_utilsE35device_test_enabled_for_warp_size_vIXT1_EEEvE4typeEPT_S4_S4_S3_,"axG",@progbits,_Z16warp_scan_kernelIfLj30ELj15EENSt9enable_ifIXsr10test_utilsE35device_test_enabled_for_warp_size_vIXT1_EEEvE4typeEPT_S4_S4_S3_,comdat
.Lfunc_end228:
	.size	_Z16warp_scan_kernelIfLj30ELj15EENSt9enable_ifIXsr10test_utilsE35device_test_enabled_for_warp_size_vIXT1_EEEvE4typeEPT_S4_S4_S3_, .Lfunc_end228-_Z16warp_scan_kernelIfLj30ELj15EENSt9enable_ifIXsr10test_utilsE35device_test_enabled_for_warp_size_vIXT1_EEEvE4typeEPT_S4_S4_S3_
                                        ; -- End function
	.section	.AMDGPU.csdata,"",@progbits
; Kernel info:
; codeLenInByte = 516
; NumSgprs: 18
; NumVgprs: 7
; ScratchSize: 0
; MemoryBound: 0
; FloatMode: 240
; IeeeMode: 1
; LDSByteSize: 120 bytes/workgroup (compile time only)
; SGPRBlocks: 2
; VGPRBlocks: 0
; NumSGPRsForWavesPerEU: 18
; NumVGPRsForWavesPerEU: 7
; Occupancy: 16
; WaveLimiterHint : 0
; COMPUTE_PGM_RSRC2:SCRATCH_EN: 0
; COMPUTE_PGM_RSRC2:USER_SGPR: 15
; COMPUTE_PGM_RSRC2:TRAP_HANDLER: 0
; COMPUTE_PGM_RSRC2:TGID_X_EN: 1
; COMPUTE_PGM_RSRC2:TGID_Y_EN: 0
; COMPUTE_PGM_RSRC2:TGID_Z_EN: 0
; COMPUTE_PGM_RSRC2:TIDIG_COMP_CNT: 0
	.section	.text._Z16warp_scan_kernelIfLj60ELj15EENSt9enable_ifIXsr10test_utilsE35device_test_enabled_for_warp_size_vIXT1_EEEvE4typeEPT_S4_S4_S3_,"axG",@progbits,_Z16warp_scan_kernelIfLj60ELj15EENSt9enable_ifIXsr10test_utilsE35device_test_enabled_for_warp_size_vIXT1_EEEvE4typeEPT_S4_S4_S3_,comdat
	.protected	_Z16warp_scan_kernelIfLj60ELj15EENSt9enable_ifIXsr10test_utilsE35device_test_enabled_for_warp_size_vIXT1_EEEvE4typeEPT_S4_S4_S3_ ; -- Begin function _Z16warp_scan_kernelIfLj60ELj15EENSt9enable_ifIXsr10test_utilsE35device_test_enabled_for_warp_size_vIXT1_EEEvE4typeEPT_S4_S4_S3_
	.globl	_Z16warp_scan_kernelIfLj60ELj15EENSt9enable_ifIXsr10test_utilsE35device_test_enabled_for_warp_size_vIXT1_EEEvE4typeEPT_S4_S4_S3_
	.p2align	8
	.type	_Z16warp_scan_kernelIfLj60ELj15EENSt9enable_ifIXsr10test_utilsE35device_test_enabled_for_warp_size_vIXT1_EEEvE4typeEPT_S4_S4_S3_,@function
_Z16warp_scan_kernelIfLj60ELj15EENSt9enable_ifIXsr10test_utilsE35device_test_enabled_for_warp_size_vIXT1_EEEvE4typeEPT_S4_S4_S3_: ; @_Z16warp_scan_kernelIfLj60ELj15EENSt9enable_ifIXsr10test_utilsE35device_test_enabled_for_warp_size_vIXT1_EEEvE4typeEPT_S4_S4_S3_
; %bb.0:
	s_clause 0x1
	s_load_b32 s2, s[0:1], 0x2c
	s_load_b128 s[4:7], s[0:1], 0x0
	s_waitcnt lgkmcnt(0)
	s_and_b32 s2, s2, 0xffff
	s_delay_alu instid0(SALU_CYCLE_1) | instskip(SKIP_2) | instid1(VALU_DEP_1)
	v_mad_u64_u32 v[1:2], null, s15, s2, v[0:1]
	v_mov_b32_e32 v2, 0
	v_mul_u32_u24_e32 v0, 0x1112, v0
	v_lshrrev_b32_e32 v0, 16, v0
	s_delay_alu instid0(VALU_DEP_3) | instskip(NEXT) | instid1(VALU_DEP_1)
	v_lshlrev_b64 v[1:2], 2, v[1:2]
	v_add_co_u32 v3, vcc_lo, s4, v1
	s_delay_alu instid0(VALU_DEP_2) | instskip(SKIP_2) | instid1(VALU_DEP_1)
	v_add_co_ci_u32_e32 v4, vcc_lo, s5, v2, vcc_lo
	global_load_b32 v3, v[3:4], off
	v_mbcnt_lo_u32_b32 v4, -1, 0
	v_mul_hi_u32 v5, 0x11111112, v4
	s_delay_alu instid0(VALU_DEP_1) | instskip(NEXT) | instid1(VALU_DEP_1)
	v_mul_u32_u24_e32 v5, 15, v5
	v_sub_nc_u32_e32 v5, v4, v5
	s_delay_alu instid0(VALU_DEP_1) | instskip(SKIP_1) | instid1(VALU_DEP_2)
	v_lshlrev_b32_e32 v4, 2, v5
	v_cmp_ne_u32_e32 vcc_lo, 0, v5
	v_mad_u32_u24 v4, v0, 60, v4
	s_delay_alu instid0(VALU_DEP_1)
	v_add_nc_u32_e32 v0, -4, v4
	s_waitcnt vmcnt(0)
	ds_store_b32 v4, v3
	; wave barrier
	s_and_saveexec_b32 s2, vcc_lo
	s_cbranch_execz .LBB229_2
; %bb.1:
	ds_load_b32 v6, v0
	s_waitcnt lgkmcnt(0)
	v_add_f32_e32 v3, v3, v6
.LBB229_2:
	s_or_b32 exec_lo, exec_lo, s2
	; wave barrier
	s_and_saveexec_b32 s2, vcc_lo
	s_cbranch_execz .LBB229_4
; %bb.3:
	ds_store_b32 v4, v3
.LBB229_4:
	s_or_b32 exec_lo, exec_lo, s2
	v_cmp_lt_u32_e64 s2, 1, v5
	; wave barrier
	s_delay_alu instid0(VALU_DEP_1)
	s_and_saveexec_b32 s3, s2
	s_cbranch_execz .LBB229_6
; %bb.5:
	v_add_nc_u32_e32 v6, -8, v4
	ds_load_b32 v6, v6
	s_waitcnt lgkmcnt(0)
	v_add_f32_e32 v3, v3, v6
.LBB229_6:
	s_or_b32 exec_lo, exec_lo, s3
	; wave barrier
	s_and_saveexec_b32 s3, s2
	s_cbranch_execz .LBB229_8
; %bb.7:
	ds_store_b32 v4, v3
.LBB229_8:
	s_or_b32 exec_lo, exec_lo, s3
	v_cmp_lt_u32_e64 s2, 3, v5
	; wave barrier
	s_delay_alu instid0(VALU_DEP_1)
	s_and_saveexec_b32 s3, s2
	s_cbranch_execz .LBB229_10
; %bb.9:
	v_add_nc_u32_e32 v6, -16, v4
	ds_load_b32 v6, v6
	s_waitcnt lgkmcnt(0)
	v_add_f32_e32 v3, v3, v6
.LBB229_10:
	s_or_b32 exec_lo, exec_lo, s3
	; wave barrier
	s_and_saveexec_b32 s3, s2
	s_cbranch_execz .LBB229_12
; %bb.11:
	ds_store_b32 v4, v3
.LBB229_12:
	s_or_b32 exec_lo, exec_lo, s3
	s_load_b64 s[4:5], s[0:1], 0x10
	v_cmp_lt_u32_e64 s2, 7, v5
	; wave barrier
	s_delay_alu instid0(VALU_DEP_1)
	s_and_saveexec_b32 s3, s2
	s_cbranch_execz .LBB229_14
; %bb.13:
	v_subrev_nc_u32_e32 v5, 32, v4
	ds_load_b32 v5, v5
	s_waitcnt lgkmcnt(0)
	v_add_f32_e32 v3, v3, v5
.LBB229_14:
	s_or_b32 exec_lo, exec_lo, s3
	; wave barrier
	s_and_saveexec_b32 s3, s2
	s_cbranch_execz .LBB229_16
; %bb.15:
	ds_store_b32 v4, v3
.LBB229_16:
	s_or_b32 exec_lo, exec_lo, s3
	s_load_b32 s0, s[0:1], 0x18
	; wave barrier
	s_waitcnt lgkmcnt(0)
	v_mov_b32_e32 v4, s0
	s_and_saveexec_b32 s1, vcc_lo
	s_cbranch_execz .LBB229_18
; %bb.17:
	ds_load_b32 v0, v0
	s_waitcnt lgkmcnt(0)
	v_add_f32_e32 v4, s0, v0
.LBB229_18:
	s_or_b32 exec_lo, exec_lo, s1
	v_add_co_u32 v5, vcc_lo, s6, v1
	v_add_co_ci_u32_e32 v6, vcc_lo, s7, v2, vcc_lo
	v_add_co_u32 v0, vcc_lo, s4, v1
	v_add_f32_e32 v3, s0, v3
	v_add_co_ci_u32_e32 v1, vcc_lo, s5, v2, vcc_lo
	global_store_b32 v[5:6], v3, off
	global_store_b32 v[0:1], v4, off
	s_nop 0
	s_sendmsg sendmsg(MSG_DEALLOC_VGPRS)
	s_endpgm
	.section	.rodata,"a",@progbits
	.p2align	6, 0x0
	.amdhsa_kernel _Z16warp_scan_kernelIfLj60ELj15EENSt9enable_ifIXsr10test_utilsE35device_test_enabled_for_warp_size_vIXT1_EEEvE4typeEPT_S4_S4_S3_
		.amdhsa_group_segment_fixed_size 240
		.amdhsa_private_segment_fixed_size 0
		.amdhsa_kernarg_size 288
		.amdhsa_user_sgpr_count 15
		.amdhsa_user_sgpr_dispatch_ptr 0
		.amdhsa_user_sgpr_queue_ptr 0
		.amdhsa_user_sgpr_kernarg_segment_ptr 1
		.amdhsa_user_sgpr_dispatch_id 0
		.amdhsa_user_sgpr_private_segment_size 0
		.amdhsa_wavefront_size32 1
		.amdhsa_uses_dynamic_stack 0
		.amdhsa_enable_private_segment 0
		.amdhsa_system_sgpr_workgroup_id_x 1
		.amdhsa_system_sgpr_workgroup_id_y 0
		.amdhsa_system_sgpr_workgroup_id_z 0
		.amdhsa_system_sgpr_workgroup_info 0
		.amdhsa_system_vgpr_workitem_id 0
		.amdhsa_next_free_vgpr 7
		.amdhsa_next_free_sgpr 16
		.amdhsa_reserve_vcc 1
		.amdhsa_float_round_mode_32 0
		.amdhsa_float_round_mode_16_64 0
		.amdhsa_float_denorm_mode_32 3
		.amdhsa_float_denorm_mode_16_64 3
		.amdhsa_dx10_clamp 1
		.amdhsa_ieee_mode 1
		.amdhsa_fp16_overflow 0
		.amdhsa_workgroup_processor_mode 1
		.amdhsa_memory_ordered 1
		.amdhsa_forward_progress 0
		.amdhsa_shared_vgpr_count 0
		.amdhsa_exception_fp_ieee_invalid_op 0
		.amdhsa_exception_fp_denorm_src 0
		.amdhsa_exception_fp_ieee_div_zero 0
		.amdhsa_exception_fp_ieee_overflow 0
		.amdhsa_exception_fp_ieee_underflow 0
		.amdhsa_exception_fp_ieee_inexact 0
		.amdhsa_exception_int_div_zero 0
	.end_amdhsa_kernel
	.section	.text._Z16warp_scan_kernelIfLj60ELj15EENSt9enable_ifIXsr10test_utilsE35device_test_enabled_for_warp_size_vIXT1_EEEvE4typeEPT_S4_S4_S3_,"axG",@progbits,_Z16warp_scan_kernelIfLj60ELj15EENSt9enable_ifIXsr10test_utilsE35device_test_enabled_for_warp_size_vIXT1_EEEvE4typeEPT_S4_S4_S3_,comdat
.Lfunc_end229:
	.size	_Z16warp_scan_kernelIfLj60ELj15EENSt9enable_ifIXsr10test_utilsE35device_test_enabled_for_warp_size_vIXT1_EEEvE4typeEPT_S4_S4_S3_, .Lfunc_end229-_Z16warp_scan_kernelIfLj60ELj15EENSt9enable_ifIXsr10test_utilsE35device_test_enabled_for_warp_size_vIXT1_EEEvE4typeEPT_S4_S4_S3_
                                        ; -- End function
	.section	.AMDGPU.csdata,"",@progbits
; Kernel info:
; codeLenInByte = 516
; NumSgprs: 18
; NumVgprs: 7
; ScratchSize: 0
; MemoryBound: 0
; FloatMode: 240
; IeeeMode: 1
; LDSByteSize: 240 bytes/workgroup (compile time only)
; SGPRBlocks: 2
; VGPRBlocks: 0
; NumSGPRsForWavesPerEU: 18
; NumVGPRsForWavesPerEU: 7
; Occupancy: 16
; WaveLimiterHint : 0
; COMPUTE_PGM_RSRC2:SCRATCH_EN: 0
; COMPUTE_PGM_RSRC2:USER_SGPR: 15
; COMPUTE_PGM_RSRC2:TRAP_HANDLER: 0
; COMPUTE_PGM_RSRC2:TGID_X_EN: 1
; COMPUTE_PGM_RSRC2:TGID_Y_EN: 0
; COMPUTE_PGM_RSRC2:TGID_Z_EN: 0
; COMPUTE_PGM_RSRC2:TIDIG_COMP_CNT: 0
	.section	.text._Z16warp_scan_kernelIfLj28ELj7EENSt9enable_ifIXsr10test_utilsE35device_test_enabled_for_warp_size_vIXT1_EEEvE4typeEPT_S4_S4_S3_,"axG",@progbits,_Z16warp_scan_kernelIfLj28ELj7EENSt9enable_ifIXsr10test_utilsE35device_test_enabled_for_warp_size_vIXT1_EEEvE4typeEPT_S4_S4_S3_,comdat
	.protected	_Z16warp_scan_kernelIfLj28ELj7EENSt9enable_ifIXsr10test_utilsE35device_test_enabled_for_warp_size_vIXT1_EEEvE4typeEPT_S4_S4_S3_ ; -- Begin function _Z16warp_scan_kernelIfLj28ELj7EENSt9enable_ifIXsr10test_utilsE35device_test_enabled_for_warp_size_vIXT1_EEEvE4typeEPT_S4_S4_S3_
	.globl	_Z16warp_scan_kernelIfLj28ELj7EENSt9enable_ifIXsr10test_utilsE35device_test_enabled_for_warp_size_vIXT1_EEEvE4typeEPT_S4_S4_S3_
	.p2align	8
	.type	_Z16warp_scan_kernelIfLj28ELj7EENSt9enable_ifIXsr10test_utilsE35device_test_enabled_for_warp_size_vIXT1_EEEvE4typeEPT_S4_S4_S3_,@function
_Z16warp_scan_kernelIfLj28ELj7EENSt9enable_ifIXsr10test_utilsE35device_test_enabled_for_warp_size_vIXT1_EEEvE4typeEPT_S4_S4_S3_: ; @_Z16warp_scan_kernelIfLj28ELj7EENSt9enable_ifIXsr10test_utilsE35device_test_enabled_for_warp_size_vIXT1_EEEvE4typeEPT_S4_S4_S3_
; %bb.0:
	s_clause 0x1
	s_load_b32 s2, s[0:1], 0x2c
	s_load_b128 s[4:7], s[0:1], 0x0
	s_waitcnt lgkmcnt(0)
	s_and_b32 s2, s2, 0xffff
	s_delay_alu instid0(SALU_CYCLE_1) | instskip(SKIP_2) | instid1(VALU_DEP_1)
	v_mad_u64_u32 v[1:2], null, s15, s2, v[0:1]
	v_mov_b32_e32 v2, 0
	v_mul_u32_u24_e32 v0, 0x2493, v0
	v_lshrrev_b32_e32 v0, 16, v0
	s_delay_alu instid0(VALU_DEP_3) | instskip(NEXT) | instid1(VALU_DEP_1)
	v_lshlrev_b64 v[1:2], 2, v[1:2]
	v_add_co_u32 v3, vcc_lo, s4, v1
	s_delay_alu instid0(VALU_DEP_2) | instskip(SKIP_2) | instid1(VALU_DEP_1)
	v_add_co_ci_u32_e32 v4, vcc_lo, s5, v2, vcc_lo
	global_load_b32 v3, v[3:4], off
	v_mbcnt_lo_u32_b32 v4, -1, 0
	v_mul_hi_u32 v5, 0x24924925, v4
	s_delay_alu instid0(VALU_DEP_1) | instskip(NEXT) | instid1(VALU_DEP_1)
	v_mul_u32_u24_e32 v5, 7, v5
	v_sub_nc_u32_e32 v5, v4, v5
	s_delay_alu instid0(VALU_DEP_1) | instskip(SKIP_1) | instid1(VALU_DEP_2)
	v_lshlrev_b32_e32 v4, 2, v5
	v_cmp_ne_u32_e32 vcc_lo, 0, v5
	v_mad_u32_u24 v4, v0, 28, v4
	s_delay_alu instid0(VALU_DEP_1)
	v_add_nc_u32_e32 v0, -4, v4
	s_waitcnt vmcnt(0)
	ds_store_b32 v4, v3
	; wave barrier
	s_and_saveexec_b32 s2, vcc_lo
	s_cbranch_execz .LBB230_2
; %bb.1:
	ds_load_b32 v6, v0
	s_waitcnt lgkmcnt(0)
	v_add_f32_e32 v3, v3, v6
.LBB230_2:
	s_or_b32 exec_lo, exec_lo, s2
	; wave barrier
	s_and_saveexec_b32 s2, vcc_lo
	s_cbranch_execz .LBB230_4
; %bb.3:
	ds_store_b32 v4, v3
.LBB230_4:
	s_or_b32 exec_lo, exec_lo, s2
	v_cmp_lt_u32_e64 s2, 1, v5
	; wave barrier
	s_delay_alu instid0(VALU_DEP_1)
	s_and_saveexec_b32 s3, s2
	s_cbranch_execz .LBB230_6
; %bb.5:
	v_add_nc_u32_e32 v6, -8, v4
	ds_load_b32 v6, v6
	s_waitcnt lgkmcnt(0)
	v_add_f32_e32 v3, v3, v6
.LBB230_6:
	s_or_b32 exec_lo, exec_lo, s3
	; wave barrier
	s_and_saveexec_b32 s3, s2
	s_cbranch_execz .LBB230_8
; %bb.7:
	ds_store_b32 v4, v3
.LBB230_8:
	s_or_b32 exec_lo, exec_lo, s3
	s_load_b64 s[4:5], s[0:1], 0x10
	v_cmp_lt_u32_e64 s2, 3, v5
	; wave barrier
	s_delay_alu instid0(VALU_DEP_1)
	s_and_saveexec_b32 s3, s2
	s_cbranch_execz .LBB230_10
; %bb.9:
	v_add_nc_u32_e32 v5, -16, v4
	ds_load_b32 v5, v5
	s_waitcnt lgkmcnt(0)
	v_add_f32_e32 v3, v3, v5
.LBB230_10:
	s_or_b32 exec_lo, exec_lo, s3
	; wave barrier
	s_and_saveexec_b32 s3, s2
	s_cbranch_execz .LBB230_12
; %bb.11:
	ds_store_b32 v4, v3
.LBB230_12:
	s_or_b32 exec_lo, exec_lo, s3
	s_load_b32 s0, s[0:1], 0x18
	; wave barrier
	s_waitcnt lgkmcnt(0)
	v_mov_b32_e32 v4, s0
	s_and_saveexec_b32 s1, vcc_lo
	s_cbranch_execz .LBB230_14
; %bb.13:
	ds_load_b32 v0, v0
	s_waitcnt lgkmcnt(0)
	v_add_f32_e32 v4, s0, v0
.LBB230_14:
	s_or_b32 exec_lo, exec_lo, s1
	v_add_co_u32 v5, vcc_lo, s6, v1
	v_add_co_ci_u32_e32 v6, vcc_lo, s7, v2, vcc_lo
	v_add_co_u32 v0, vcc_lo, s4, v1
	v_add_f32_e32 v3, s0, v3
	v_add_co_ci_u32_e32 v1, vcc_lo, s5, v2, vcc_lo
	global_store_b32 v[5:6], v3, off
	global_store_b32 v[0:1], v4, off
	s_nop 0
	s_sendmsg sendmsg(MSG_DEALLOC_VGPRS)
	s_endpgm
	.section	.rodata,"a",@progbits
	.p2align	6, 0x0
	.amdhsa_kernel _Z16warp_scan_kernelIfLj28ELj7EENSt9enable_ifIXsr10test_utilsE35device_test_enabled_for_warp_size_vIXT1_EEEvE4typeEPT_S4_S4_S3_
		.amdhsa_group_segment_fixed_size 112
		.amdhsa_private_segment_fixed_size 0
		.amdhsa_kernarg_size 288
		.amdhsa_user_sgpr_count 15
		.amdhsa_user_sgpr_dispatch_ptr 0
		.amdhsa_user_sgpr_queue_ptr 0
		.amdhsa_user_sgpr_kernarg_segment_ptr 1
		.amdhsa_user_sgpr_dispatch_id 0
		.amdhsa_user_sgpr_private_segment_size 0
		.amdhsa_wavefront_size32 1
		.amdhsa_uses_dynamic_stack 0
		.amdhsa_enable_private_segment 0
		.amdhsa_system_sgpr_workgroup_id_x 1
		.amdhsa_system_sgpr_workgroup_id_y 0
		.amdhsa_system_sgpr_workgroup_id_z 0
		.amdhsa_system_sgpr_workgroup_info 0
		.amdhsa_system_vgpr_workitem_id 0
		.amdhsa_next_free_vgpr 7
		.amdhsa_next_free_sgpr 16
		.amdhsa_reserve_vcc 1
		.amdhsa_float_round_mode_32 0
		.amdhsa_float_round_mode_16_64 0
		.amdhsa_float_denorm_mode_32 3
		.amdhsa_float_denorm_mode_16_64 3
		.amdhsa_dx10_clamp 1
		.amdhsa_ieee_mode 1
		.amdhsa_fp16_overflow 0
		.amdhsa_workgroup_processor_mode 1
		.amdhsa_memory_ordered 1
		.amdhsa_forward_progress 0
		.amdhsa_shared_vgpr_count 0
		.amdhsa_exception_fp_ieee_invalid_op 0
		.amdhsa_exception_fp_denorm_src 0
		.amdhsa_exception_fp_ieee_div_zero 0
		.amdhsa_exception_fp_ieee_overflow 0
		.amdhsa_exception_fp_ieee_underflow 0
		.amdhsa_exception_fp_ieee_inexact 0
		.amdhsa_exception_int_div_zero 0
	.end_amdhsa_kernel
	.section	.text._Z16warp_scan_kernelIfLj28ELj7EENSt9enable_ifIXsr10test_utilsE35device_test_enabled_for_warp_size_vIXT1_EEEvE4typeEPT_S4_S4_S3_,"axG",@progbits,_Z16warp_scan_kernelIfLj28ELj7EENSt9enable_ifIXsr10test_utilsE35device_test_enabled_for_warp_size_vIXT1_EEEvE4typeEPT_S4_S4_S3_,comdat
.Lfunc_end230:
	.size	_Z16warp_scan_kernelIfLj28ELj7EENSt9enable_ifIXsr10test_utilsE35device_test_enabled_for_warp_size_vIXT1_EEEvE4typeEPT_S4_S4_S3_, .Lfunc_end230-_Z16warp_scan_kernelIfLj28ELj7EENSt9enable_ifIXsr10test_utilsE35device_test_enabled_for_warp_size_vIXT1_EEEvE4typeEPT_S4_S4_S3_
                                        ; -- End function
	.section	.AMDGPU.csdata,"",@progbits
; Kernel info:
; codeLenInByte = 452
; NumSgprs: 18
; NumVgprs: 7
; ScratchSize: 0
; MemoryBound: 0
; FloatMode: 240
; IeeeMode: 1
; LDSByteSize: 112 bytes/workgroup (compile time only)
; SGPRBlocks: 2
; VGPRBlocks: 0
; NumSGPRsForWavesPerEU: 18
; NumVGPRsForWavesPerEU: 7
; Occupancy: 16
; WaveLimiterHint : 0
; COMPUTE_PGM_RSRC2:SCRATCH_EN: 0
; COMPUTE_PGM_RSRC2:USER_SGPR: 15
; COMPUTE_PGM_RSRC2:TRAP_HANDLER: 0
; COMPUTE_PGM_RSRC2:TGID_X_EN: 1
; COMPUTE_PGM_RSRC2:TGID_Y_EN: 0
; COMPUTE_PGM_RSRC2:TGID_Z_EN: 0
; COMPUTE_PGM_RSRC2:TIDIG_COMP_CNT: 0
	.section	.text._Z16warp_scan_kernelIfLj63ELj7EENSt9enable_ifIXsr10test_utilsE35device_test_enabled_for_warp_size_vIXT1_EEEvE4typeEPT_S4_S4_S3_,"axG",@progbits,_Z16warp_scan_kernelIfLj63ELj7EENSt9enable_ifIXsr10test_utilsE35device_test_enabled_for_warp_size_vIXT1_EEEvE4typeEPT_S4_S4_S3_,comdat
	.protected	_Z16warp_scan_kernelIfLj63ELj7EENSt9enable_ifIXsr10test_utilsE35device_test_enabled_for_warp_size_vIXT1_EEEvE4typeEPT_S4_S4_S3_ ; -- Begin function _Z16warp_scan_kernelIfLj63ELj7EENSt9enable_ifIXsr10test_utilsE35device_test_enabled_for_warp_size_vIXT1_EEEvE4typeEPT_S4_S4_S3_
	.globl	_Z16warp_scan_kernelIfLj63ELj7EENSt9enable_ifIXsr10test_utilsE35device_test_enabled_for_warp_size_vIXT1_EEEvE4typeEPT_S4_S4_S3_
	.p2align	8
	.type	_Z16warp_scan_kernelIfLj63ELj7EENSt9enable_ifIXsr10test_utilsE35device_test_enabled_for_warp_size_vIXT1_EEEvE4typeEPT_S4_S4_S3_,@function
_Z16warp_scan_kernelIfLj63ELj7EENSt9enable_ifIXsr10test_utilsE35device_test_enabled_for_warp_size_vIXT1_EEEvE4typeEPT_S4_S4_S3_: ; @_Z16warp_scan_kernelIfLj63ELj7EENSt9enable_ifIXsr10test_utilsE35device_test_enabled_for_warp_size_vIXT1_EEEvE4typeEPT_S4_S4_S3_
; %bb.0:
	s_clause 0x1
	s_load_b32 s2, s[0:1], 0x2c
	s_load_b128 s[4:7], s[0:1], 0x0
	s_waitcnt lgkmcnt(0)
	s_and_b32 s2, s2, 0xffff
	s_delay_alu instid0(SALU_CYCLE_1) | instskip(SKIP_2) | instid1(VALU_DEP_1)
	v_mad_u64_u32 v[1:2], null, s15, s2, v[0:1]
	v_mov_b32_e32 v2, 0
	v_mul_u32_u24_e32 v0, 0x2493, v0
	v_lshrrev_b32_e32 v0, 16, v0
	s_delay_alu instid0(VALU_DEP_3) | instskip(NEXT) | instid1(VALU_DEP_1)
	v_lshlrev_b64 v[1:2], 2, v[1:2]
	v_add_co_u32 v3, vcc_lo, s4, v1
	s_delay_alu instid0(VALU_DEP_2) | instskip(SKIP_2) | instid1(VALU_DEP_1)
	v_add_co_ci_u32_e32 v4, vcc_lo, s5, v2, vcc_lo
	global_load_b32 v3, v[3:4], off
	v_mbcnt_lo_u32_b32 v4, -1, 0
	v_mul_hi_u32 v5, 0x24924925, v4
	s_delay_alu instid0(VALU_DEP_1) | instskip(NEXT) | instid1(VALU_DEP_1)
	v_mul_u32_u24_e32 v5, 7, v5
	v_sub_nc_u32_e32 v5, v4, v5
	s_delay_alu instid0(VALU_DEP_1) | instskip(SKIP_1) | instid1(VALU_DEP_2)
	v_lshlrev_b32_e32 v4, 2, v5
	v_cmp_ne_u32_e32 vcc_lo, 0, v5
	v_mad_u32_u24 v4, v0, 28, v4
	s_delay_alu instid0(VALU_DEP_1)
	v_add_nc_u32_e32 v0, -4, v4
	s_waitcnt vmcnt(0)
	ds_store_b32 v4, v3
	; wave barrier
	s_and_saveexec_b32 s2, vcc_lo
	s_cbranch_execz .LBB231_2
; %bb.1:
	ds_load_b32 v6, v0
	s_waitcnt lgkmcnt(0)
	v_add_f32_e32 v3, v3, v6
.LBB231_2:
	s_or_b32 exec_lo, exec_lo, s2
	; wave barrier
	s_and_saveexec_b32 s2, vcc_lo
	s_cbranch_execz .LBB231_4
; %bb.3:
	ds_store_b32 v4, v3
.LBB231_4:
	s_or_b32 exec_lo, exec_lo, s2
	v_cmp_lt_u32_e64 s2, 1, v5
	; wave barrier
	s_delay_alu instid0(VALU_DEP_1)
	s_and_saveexec_b32 s3, s2
	s_cbranch_execz .LBB231_6
; %bb.5:
	v_add_nc_u32_e32 v6, -8, v4
	ds_load_b32 v6, v6
	s_waitcnt lgkmcnt(0)
	v_add_f32_e32 v3, v3, v6
.LBB231_6:
	s_or_b32 exec_lo, exec_lo, s3
	; wave barrier
	s_and_saveexec_b32 s3, s2
	s_cbranch_execz .LBB231_8
; %bb.7:
	ds_store_b32 v4, v3
.LBB231_8:
	s_or_b32 exec_lo, exec_lo, s3
	s_load_b64 s[4:5], s[0:1], 0x10
	v_cmp_lt_u32_e64 s2, 3, v5
	; wave barrier
	s_delay_alu instid0(VALU_DEP_1)
	s_and_saveexec_b32 s3, s2
	s_cbranch_execz .LBB231_10
; %bb.9:
	v_add_nc_u32_e32 v5, -16, v4
	ds_load_b32 v5, v5
	s_waitcnt lgkmcnt(0)
	v_add_f32_e32 v3, v3, v5
.LBB231_10:
	s_or_b32 exec_lo, exec_lo, s3
	; wave barrier
	s_and_saveexec_b32 s3, s2
	s_cbranch_execz .LBB231_12
; %bb.11:
	ds_store_b32 v4, v3
.LBB231_12:
	s_or_b32 exec_lo, exec_lo, s3
	s_load_b32 s0, s[0:1], 0x18
	; wave barrier
	s_waitcnt lgkmcnt(0)
	v_mov_b32_e32 v4, s0
	s_and_saveexec_b32 s1, vcc_lo
	s_cbranch_execz .LBB231_14
; %bb.13:
	ds_load_b32 v0, v0
	s_waitcnt lgkmcnt(0)
	v_add_f32_e32 v4, s0, v0
.LBB231_14:
	s_or_b32 exec_lo, exec_lo, s1
	v_add_co_u32 v5, vcc_lo, s6, v1
	v_add_co_ci_u32_e32 v6, vcc_lo, s7, v2, vcc_lo
	v_add_co_u32 v0, vcc_lo, s4, v1
	v_add_f32_e32 v3, s0, v3
	v_add_co_ci_u32_e32 v1, vcc_lo, s5, v2, vcc_lo
	global_store_b32 v[5:6], v3, off
	global_store_b32 v[0:1], v4, off
	s_nop 0
	s_sendmsg sendmsg(MSG_DEALLOC_VGPRS)
	s_endpgm
	.section	.rodata,"a",@progbits
	.p2align	6, 0x0
	.amdhsa_kernel _Z16warp_scan_kernelIfLj63ELj7EENSt9enable_ifIXsr10test_utilsE35device_test_enabled_for_warp_size_vIXT1_EEEvE4typeEPT_S4_S4_S3_
		.amdhsa_group_segment_fixed_size 252
		.amdhsa_private_segment_fixed_size 0
		.amdhsa_kernarg_size 288
		.amdhsa_user_sgpr_count 15
		.amdhsa_user_sgpr_dispatch_ptr 0
		.amdhsa_user_sgpr_queue_ptr 0
		.amdhsa_user_sgpr_kernarg_segment_ptr 1
		.amdhsa_user_sgpr_dispatch_id 0
		.amdhsa_user_sgpr_private_segment_size 0
		.amdhsa_wavefront_size32 1
		.amdhsa_uses_dynamic_stack 0
		.amdhsa_enable_private_segment 0
		.amdhsa_system_sgpr_workgroup_id_x 1
		.amdhsa_system_sgpr_workgroup_id_y 0
		.amdhsa_system_sgpr_workgroup_id_z 0
		.amdhsa_system_sgpr_workgroup_info 0
		.amdhsa_system_vgpr_workitem_id 0
		.amdhsa_next_free_vgpr 7
		.amdhsa_next_free_sgpr 16
		.amdhsa_reserve_vcc 1
		.amdhsa_float_round_mode_32 0
		.amdhsa_float_round_mode_16_64 0
		.amdhsa_float_denorm_mode_32 3
		.amdhsa_float_denorm_mode_16_64 3
		.amdhsa_dx10_clamp 1
		.amdhsa_ieee_mode 1
		.amdhsa_fp16_overflow 0
		.amdhsa_workgroup_processor_mode 1
		.amdhsa_memory_ordered 1
		.amdhsa_forward_progress 0
		.amdhsa_shared_vgpr_count 0
		.amdhsa_exception_fp_ieee_invalid_op 0
		.amdhsa_exception_fp_denorm_src 0
		.amdhsa_exception_fp_ieee_div_zero 0
		.amdhsa_exception_fp_ieee_overflow 0
		.amdhsa_exception_fp_ieee_underflow 0
		.amdhsa_exception_fp_ieee_inexact 0
		.amdhsa_exception_int_div_zero 0
	.end_amdhsa_kernel
	.section	.text._Z16warp_scan_kernelIfLj63ELj7EENSt9enable_ifIXsr10test_utilsE35device_test_enabled_for_warp_size_vIXT1_EEEvE4typeEPT_S4_S4_S3_,"axG",@progbits,_Z16warp_scan_kernelIfLj63ELj7EENSt9enable_ifIXsr10test_utilsE35device_test_enabled_for_warp_size_vIXT1_EEEvE4typeEPT_S4_S4_S3_,comdat
.Lfunc_end231:
	.size	_Z16warp_scan_kernelIfLj63ELj7EENSt9enable_ifIXsr10test_utilsE35device_test_enabled_for_warp_size_vIXT1_EEEvE4typeEPT_S4_S4_S3_, .Lfunc_end231-_Z16warp_scan_kernelIfLj63ELj7EENSt9enable_ifIXsr10test_utilsE35device_test_enabled_for_warp_size_vIXT1_EEEvE4typeEPT_S4_S4_S3_
                                        ; -- End function
	.section	.AMDGPU.csdata,"",@progbits
; Kernel info:
; codeLenInByte = 452
; NumSgprs: 18
; NumVgprs: 7
; ScratchSize: 0
; MemoryBound: 0
; FloatMode: 240
; IeeeMode: 1
; LDSByteSize: 252 bytes/workgroup (compile time only)
; SGPRBlocks: 2
; VGPRBlocks: 0
; NumSGPRsForWavesPerEU: 18
; NumVGPRsForWavesPerEU: 7
; Occupancy: 16
; WaveLimiterHint : 0
; COMPUTE_PGM_RSRC2:SCRATCH_EN: 0
; COMPUTE_PGM_RSRC2:USER_SGPR: 15
; COMPUTE_PGM_RSRC2:TRAP_HANDLER: 0
; COMPUTE_PGM_RSRC2:TGID_X_EN: 1
; COMPUTE_PGM_RSRC2:TGID_Y_EN: 0
; COMPUTE_PGM_RSRC2:TGID_Z_EN: 0
; COMPUTE_PGM_RSRC2:TIDIG_COMP_CNT: 0
	.section	.text._Z16warp_scan_kernelIfLj30ELj3EENSt9enable_ifIXsr10test_utilsE35device_test_enabled_for_warp_size_vIXT1_EEEvE4typeEPT_S4_S4_S3_,"axG",@progbits,_Z16warp_scan_kernelIfLj30ELj3EENSt9enable_ifIXsr10test_utilsE35device_test_enabled_for_warp_size_vIXT1_EEEvE4typeEPT_S4_S4_S3_,comdat
	.protected	_Z16warp_scan_kernelIfLj30ELj3EENSt9enable_ifIXsr10test_utilsE35device_test_enabled_for_warp_size_vIXT1_EEEvE4typeEPT_S4_S4_S3_ ; -- Begin function _Z16warp_scan_kernelIfLj30ELj3EENSt9enable_ifIXsr10test_utilsE35device_test_enabled_for_warp_size_vIXT1_EEEvE4typeEPT_S4_S4_S3_
	.globl	_Z16warp_scan_kernelIfLj30ELj3EENSt9enable_ifIXsr10test_utilsE35device_test_enabled_for_warp_size_vIXT1_EEEvE4typeEPT_S4_S4_S3_
	.p2align	8
	.type	_Z16warp_scan_kernelIfLj30ELj3EENSt9enable_ifIXsr10test_utilsE35device_test_enabled_for_warp_size_vIXT1_EEEvE4typeEPT_S4_S4_S3_,@function
_Z16warp_scan_kernelIfLj30ELj3EENSt9enable_ifIXsr10test_utilsE35device_test_enabled_for_warp_size_vIXT1_EEEvE4typeEPT_S4_S4_S3_: ; @_Z16warp_scan_kernelIfLj30ELj3EENSt9enable_ifIXsr10test_utilsE35device_test_enabled_for_warp_size_vIXT1_EEEvE4typeEPT_S4_S4_S3_
; %bb.0:
	s_clause 0x1
	s_load_b32 s2, s[0:1], 0x2c
	s_load_b128 s[4:7], s[0:1], 0x0
	s_waitcnt lgkmcnt(0)
	s_and_b32 s2, s2, 0xffff
	s_delay_alu instid0(SALU_CYCLE_1) | instskip(SKIP_2) | instid1(VALU_DEP_1)
	v_mad_u64_u32 v[1:2], null, s15, s2, v[0:1]
	v_mov_b32_e32 v2, 0
	v_mul_u32_u24_e32 v0, 0x5556, v0
	v_lshrrev_b32_e32 v0, 16, v0
	s_delay_alu instid0(VALU_DEP_3) | instskip(NEXT) | instid1(VALU_DEP_1)
	v_lshlrev_b64 v[1:2], 2, v[1:2]
	v_add_co_u32 v3, vcc_lo, s4, v1
	s_delay_alu instid0(VALU_DEP_2) | instskip(SKIP_2) | instid1(VALU_DEP_1)
	v_add_co_ci_u32_e32 v4, vcc_lo, s5, v2, vcc_lo
	global_load_b32 v3, v[3:4], off
	v_mbcnt_lo_u32_b32 v4, -1, 0
	v_mul_hi_u32 v5, 0x55555556, v4
	s_delay_alu instid0(VALU_DEP_1) | instskip(NEXT) | instid1(VALU_DEP_1)
	v_mul_u32_u24_e32 v5, 3, v5
	v_sub_nc_u32_e32 v5, v4, v5
	s_delay_alu instid0(VALU_DEP_1) | instskip(SKIP_1) | instid1(VALU_DEP_2)
	v_lshlrev_b32_e32 v4, 2, v5
	v_cmp_ne_u32_e32 vcc_lo, 0, v5
	v_mad_u32_u24 v4, v0, 12, v4
	s_delay_alu instid0(VALU_DEP_1)
	v_add_nc_u32_e32 v0, -4, v4
	s_waitcnt vmcnt(0)
	ds_store_b32 v4, v3
	; wave barrier
	s_and_saveexec_b32 s2, vcc_lo
	s_cbranch_execz .LBB232_2
; %bb.1:
	ds_load_b32 v6, v0
	s_waitcnt lgkmcnt(0)
	v_add_f32_e32 v3, v3, v6
.LBB232_2:
	s_or_b32 exec_lo, exec_lo, s2
	; wave barrier
	s_and_saveexec_b32 s2, vcc_lo
	s_cbranch_execz .LBB232_4
; %bb.3:
	ds_store_b32 v4, v3
.LBB232_4:
	s_or_b32 exec_lo, exec_lo, s2
	s_load_b64 s[4:5], s[0:1], 0x10
	v_cmp_lt_u32_e64 s2, 1, v5
	; wave barrier
	s_delay_alu instid0(VALU_DEP_1)
	s_and_saveexec_b32 s3, s2
	s_cbranch_execz .LBB232_6
; %bb.5:
	v_add_nc_u32_e32 v5, -8, v4
	ds_load_b32 v5, v5
	s_waitcnt lgkmcnt(0)
	v_add_f32_e32 v3, v3, v5
.LBB232_6:
	s_or_b32 exec_lo, exec_lo, s3
	; wave barrier
	s_and_saveexec_b32 s3, s2
	s_cbranch_execz .LBB232_8
; %bb.7:
	ds_store_b32 v4, v3
.LBB232_8:
	s_or_b32 exec_lo, exec_lo, s3
	s_load_b32 s0, s[0:1], 0x18
	; wave barrier
	s_waitcnt lgkmcnt(0)
	v_mov_b32_e32 v4, s0
	s_and_saveexec_b32 s1, vcc_lo
	s_cbranch_execz .LBB232_10
; %bb.9:
	ds_load_b32 v0, v0
	s_waitcnt lgkmcnt(0)
	v_add_f32_e32 v4, s0, v0
.LBB232_10:
	s_or_b32 exec_lo, exec_lo, s1
	v_add_co_u32 v5, vcc_lo, s6, v1
	v_add_co_ci_u32_e32 v6, vcc_lo, s7, v2, vcc_lo
	v_add_co_u32 v0, vcc_lo, s4, v1
	v_add_f32_e32 v3, s0, v3
	v_add_co_ci_u32_e32 v1, vcc_lo, s5, v2, vcc_lo
	global_store_b32 v[5:6], v3, off
	global_store_b32 v[0:1], v4, off
	s_nop 0
	s_sendmsg sendmsg(MSG_DEALLOC_VGPRS)
	s_endpgm
	.section	.rodata,"a",@progbits
	.p2align	6, 0x0
	.amdhsa_kernel _Z16warp_scan_kernelIfLj30ELj3EENSt9enable_ifIXsr10test_utilsE35device_test_enabled_for_warp_size_vIXT1_EEEvE4typeEPT_S4_S4_S3_
		.amdhsa_group_segment_fixed_size 120
		.amdhsa_private_segment_fixed_size 0
		.amdhsa_kernarg_size 288
		.amdhsa_user_sgpr_count 15
		.amdhsa_user_sgpr_dispatch_ptr 0
		.amdhsa_user_sgpr_queue_ptr 0
		.amdhsa_user_sgpr_kernarg_segment_ptr 1
		.amdhsa_user_sgpr_dispatch_id 0
		.amdhsa_user_sgpr_private_segment_size 0
		.amdhsa_wavefront_size32 1
		.amdhsa_uses_dynamic_stack 0
		.amdhsa_enable_private_segment 0
		.amdhsa_system_sgpr_workgroup_id_x 1
		.amdhsa_system_sgpr_workgroup_id_y 0
		.amdhsa_system_sgpr_workgroup_id_z 0
		.amdhsa_system_sgpr_workgroup_info 0
		.amdhsa_system_vgpr_workitem_id 0
		.amdhsa_next_free_vgpr 7
		.amdhsa_next_free_sgpr 16
		.amdhsa_reserve_vcc 1
		.amdhsa_float_round_mode_32 0
		.amdhsa_float_round_mode_16_64 0
		.amdhsa_float_denorm_mode_32 3
		.amdhsa_float_denorm_mode_16_64 3
		.amdhsa_dx10_clamp 1
		.amdhsa_ieee_mode 1
		.amdhsa_fp16_overflow 0
		.amdhsa_workgroup_processor_mode 1
		.amdhsa_memory_ordered 1
		.amdhsa_forward_progress 0
		.amdhsa_shared_vgpr_count 0
		.amdhsa_exception_fp_ieee_invalid_op 0
		.amdhsa_exception_fp_denorm_src 0
		.amdhsa_exception_fp_ieee_div_zero 0
		.amdhsa_exception_fp_ieee_overflow 0
		.amdhsa_exception_fp_ieee_underflow 0
		.amdhsa_exception_fp_ieee_inexact 0
		.amdhsa_exception_int_div_zero 0
	.end_amdhsa_kernel
	.section	.text._Z16warp_scan_kernelIfLj30ELj3EENSt9enable_ifIXsr10test_utilsE35device_test_enabled_for_warp_size_vIXT1_EEEvE4typeEPT_S4_S4_S3_,"axG",@progbits,_Z16warp_scan_kernelIfLj30ELj3EENSt9enable_ifIXsr10test_utilsE35device_test_enabled_for_warp_size_vIXT1_EEEvE4typeEPT_S4_S4_S3_,comdat
.Lfunc_end232:
	.size	_Z16warp_scan_kernelIfLj30ELj3EENSt9enable_ifIXsr10test_utilsE35device_test_enabled_for_warp_size_vIXT1_EEEvE4typeEPT_S4_S4_S3_, .Lfunc_end232-_Z16warp_scan_kernelIfLj30ELj3EENSt9enable_ifIXsr10test_utilsE35device_test_enabled_for_warp_size_vIXT1_EEEvE4typeEPT_S4_S4_S3_
                                        ; -- End function
	.section	.AMDGPU.csdata,"",@progbits
; Kernel info:
; codeLenInByte = 388
; NumSgprs: 18
; NumVgprs: 7
; ScratchSize: 0
; MemoryBound: 0
; FloatMode: 240
; IeeeMode: 1
; LDSByteSize: 120 bytes/workgroup (compile time only)
; SGPRBlocks: 2
; VGPRBlocks: 0
; NumSGPRsForWavesPerEU: 18
; NumVGPRsForWavesPerEU: 7
; Occupancy: 16
; WaveLimiterHint : 0
; COMPUTE_PGM_RSRC2:SCRATCH_EN: 0
; COMPUTE_PGM_RSRC2:USER_SGPR: 15
; COMPUTE_PGM_RSRC2:TRAP_HANDLER: 0
; COMPUTE_PGM_RSRC2:TGID_X_EN: 1
; COMPUTE_PGM_RSRC2:TGID_Y_EN: 0
; COMPUTE_PGM_RSRC2:TGID_Z_EN: 0
; COMPUTE_PGM_RSRC2:TIDIG_COMP_CNT: 0
	.section	.text._Z16warp_scan_kernelIfLj63ELj3EENSt9enable_ifIXsr10test_utilsE35device_test_enabled_for_warp_size_vIXT1_EEEvE4typeEPT_S4_S4_S3_,"axG",@progbits,_Z16warp_scan_kernelIfLj63ELj3EENSt9enable_ifIXsr10test_utilsE35device_test_enabled_for_warp_size_vIXT1_EEEvE4typeEPT_S4_S4_S3_,comdat
	.protected	_Z16warp_scan_kernelIfLj63ELj3EENSt9enable_ifIXsr10test_utilsE35device_test_enabled_for_warp_size_vIXT1_EEEvE4typeEPT_S4_S4_S3_ ; -- Begin function _Z16warp_scan_kernelIfLj63ELj3EENSt9enable_ifIXsr10test_utilsE35device_test_enabled_for_warp_size_vIXT1_EEEvE4typeEPT_S4_S4_S3_
	.globl	_Z16warp_scan_kernelIfLj63ELj3EENSt9enable_ifIXsr10test_utilsE35device_test_enabled_for_warp_size_vIXT1_EEEvE4typeEPT_S4_S4_S3_
	.p2align	8
	.type	_Z16warp_scan_kernelIfLj63ELj3EENSt9enable_ifIXsr10test_utilsE35device_test_enabled_for_warp_size_vIXT1_EEEvE4typeEPT_S4_S4_S3_,@function
_Z16warp_scan_kernelIfLj63ELj3EENSt9enable_ifIXsr10test_utilsE35device_test_enabled_for_warp_size_vIXT1_EEEvE4typeEPT_S4_S4_S3_: ; @_Z16warp_scan_kernelIfLj63ELj3EENSt9enable_ifIXsr10test_utilsE35device_test_enabled_for_warp_size_vIXT1_EEEvE4typeEPT_S4_S4_S3_
; %bb.0:
	s_clause 0x1
	s_load_b32 s2, s[0:1], 0x2c
	s_load_b128 s[4:7], s[0:1], 0x0
	s_waitcnt lgkmcnt(0)
	s_and_b32 s2, s2, 0xffff
	s_delay_alu instid0(SALU_CYCLE_1) | instskip(SKIP_2) | instid1(VALU_DEP_1)
	v_mad_u64_u32 v[1:2], null, s15, s2, v[0:1]
	v_mov_b32_e32 v2, 0
	v_mul_u32_u24_e32 v0, 0x5556, v0
	v_lshrrev_b32_e32 v0, 16, v0
	s_delay_alu instid0(VALU_DEP_3) | instskip(NEXT) | instid1(VALU_DEP_1)
	v_lshlrev_b64 v[1:2], 2, v[1:2]
	v_add_co_u32 v3, vcc_lo, s4, v1
	s_delay_alu instid0(VALU_DEP_2) | instskip(SKIP_2) | instid1(VALU_DEP_1)
	v_add_co_ci_u32_e32 v4, vcc_lo, s5, v2, vcc_lo
	global_load_b32 v3, v[3:4], off
	v_mbcnt_lo_u32_b32 v4, -1, 0
	v_mul_hi_u32 v5, 0x55555556, v4
	s_delay_alu instid0(VALU_DEP_1) | instskip(NEXT) | instid1(VALU_DEP_1)
	v_mul_u32_u24_e32 v5, 3, v5
	v_sub_nc_u32_e32 v5, v4, v5
	s_delay_alu instid0(VALU_DEP_1) | instskip(SKIP_1) | instid1(VALU_DEP_2)
	v_lshlrev_b32_e32 v4, 2, v5
	v_cmp_ne_u32_e32 vcc_lo, 0, v5
	v_mad_u32_u24 v4, v0, 12, v4
	s_delay_alu instid0(VALU_DEP_1)
	v_add_nc_u32_e32 v0, -4, v4
	s_waitcnt vmcnt(0)
	ds_store_b32 v4, v3
	; wave barrier
	s_and_saveexec_b32 s2, vcc_lo
	s_cbranch_execz .LBB233_2
; %bb.1:
	ds_load_b32 v6, v0
	s_waitcnt lgkmcnt(0)
	v_add_f32_e32 v3, v3, v6
.LBB233_2:
	s_or_b32 exec_lo, exec_lo, s2
	; wave barrier
	s_and_saveexec_b32 s2, vcc_lo
	s_cbranch_execz .LBB233_4
; %bb.3:
	ds_store_b32 v4, v3
.LBB233_4:
	s_or_b32 exec_lo, exec_lo, s2
	s_load_b64 s[4:5], s[0:1], 0x10
	v_cmp_lt_u32_e64 s2, 1, v5
	; wave barrier
	s_delay_alu instid0(VALU_DEP_1)
	s_and_saveexec_b32 s3, s2
	s_cbranch_execz .LBB233_6
; %bb.5:
	v_add_nc_u32_e32 v5, -8, v4
	ds_load_b32 v5, v5
	s_waitcnt lgkmcnt(0)
	v_add_f32_e32 v3, v3, v5
.LBB233_6:
	s_or_b32 exec_lo, exec_lo, s3
	; wave barrier
	s_and_saveexec_b32 s3, s2
	s_cbranch_execz .LBB233_8
; %bb.7:
	ds_store_b32 v4, v3
.LBB233_8:
	s_or_b32 exec_lo, exec_lo, s3
	s_load_b32 s0, s[0:1], 0x18
	; wave barrier
	s_waitcnt lgkmcnt(0)
	v_mov_b32_e32 v4, s0
	s_and_saveexec_b32 s1, vcc_lo
	s_cbranch_execz .LBB233_10
; %bb.9:
	ds_load_b32 v0, v0
	s_waitcnt lgkmcnt(0)
	v_add_f32_e32 v4, s0, v0
.LBB233_10:
	s_or_b32 exec_lo, exec_lo, s1
	v_add_co_u32 v5, vcc_lo, s6, v1
	v_add_co_ci_u32_e32 v6, vcc_lo, s7, v2, vcc_lo
	v_add_co_u32 v0, vcc_lo, s4, v1
	v_add_f32_e32 v3, s0, v3
	v_add_co_ci_u32_e32 v1, vcc_lo, s5, v2, vcc_lo
	global_store_b32 v[5:6], v3, off
	global_store_b32 v[0:1], v4, off
	s_nop 0
	s_sendmsg sendmsg(MSG_DEALLOC_VGPRS)
	s_endpgm
	.section	.rodata,"a",@progbits
	.p2align	6, 0x0
	.amdhsa_kernel _Z16warp_scan_kernelIfLj63ELj3EENSt9enable_ifIXsr10test_utilsE35device_test_enabled_for_warp_size_vIXT1_EEEvE4typeEPT_S4_S4_S3_
		.amdhsa_group_segment_fixed_size 252
		.amdhsa_private_segment_fixed_size 0
		.amdhsa_kernarg_size 288
		.amdhsa_user_sgpr_count 15
		.amdhsa_user_sgpr_dispatch_ptr 0
		.amdhsa_user_sgpr_queue_ptr 0
		.amdhsa_user_sgpr_kernarg_segment_ptr 1
		.amdhsa_user_sgpr_dispatch_id 0
		.amdhsa_user_sgpr_private_segment_size 0
		.amdhsa_wavefront_size32 1
		.amdhsa_uses_dynamic_stack 0
		.amdhsa_enable_private_segment 0
		.amdhsa_system_sgpr_workgroup_id_x 1
		.amdhsa_system_sgpr_workgroup_id_y 0
		.amdhsa_system_sgpr_workgroup_id_z 0
		.amdhsa_system_sgpr_workgroup_info 0
		.amdhsa_system_vgpr_workitem_id 0
		.amdhsa_next_free_vgpr 7
		.amdhsa_next_free_sgpr 16
		.amdhsa_reserve_vcc 1
		.amdhsa_float_round_mode_32 0
		.amdhsa_float_round_mode_16_64 0
		.amdhsa_float_denorm_mode_32 3
		.amdhsa_float_denorm_mode_16_64 3
		.amdhsa_dx10_clamp 1
		.amdhsa_ieee_mode 1
		.amdhsa_fp16_overflow 0
		.amdhsa_workgroup_processor_mode 1
		.amdhsa_memory_ordered 1
		.amdhsa_forward_progress 0
		.amdhsa_shared_vgpr_count 0
		.amdhsa_exception_fp_ieee_invalid_op 0
		.amdhsa_exception_fp_denorm_src 0
		.amdhsa_exception_fp_ieee_div_zero 0
		.amdhsa_exception_fp_ieee_overflow 0
		.amdhsa_exception_fp_ieee_underflow 0
		.amdhsa_exception_fp_ieee_inexact 0
		.amdhsa_exception_int_div_zero 0
	.end_amdhsa_kernel
	.section	.text._Z16warp_scan_kernelIfLj63ELj3EENSt9enable_ifIXsr10test_utilsE35device_test_enabled_for_warp_size_vIXT1_EEEvE4typeEPT_S4_S4_S3_,"axG",@progbits,_Z16warp_scan_kernelIfLj63ELj3EENSt9enable_ifIXsr10test_utilsE35device_test_enabled_for_warp_size_vIXT1_EEEvE4typeEPT_S4_S4_S3_,comdat
.Lfunc_end233:
	.size	_Z16warp_scan_kernelIfLj63ELj3EENSt9enable_ifIXsr10test_utilsE35device_test_enabled_for_warp_size_vIXT1_EEEvE4typeEPT_S4_S4_S3_, .Lfunc_end233-_Z16warp_scan_kernelIfLj63ELj3EENSt9enable_ifIXsr10test_utilsE35device_test_enabled_for_warp_size_vIXT1_EEEvE4typeEPT_S4_S4_S3_
                                        ; -- End function
	.section	.AMDGPU.csdata,"",@progbits
; Kernel info:
; codeLenInByte = 388
; NumSgprs: 18
; NumVgprs: 7
; ScratchSize: 0
; MemoryBound: 0
; FloatMode: 240
; IeeeMode: 1
; LDSByteSize: 252 bytes/workgroup (compile time only)
; SGPRBlocks: 2
; VGPRBlocks: 0
; NumSGPRsForWavesPerEU: 18
; NumVGPRsForWavesPerEU: 7
; Occupancy: 16
; WaveLimiterHint : 0
; COMPUTE_PGM_RSRC2:SCRATCH_EN: 0
; COMPUTE_PGM_RSRC2:USER_SGPR: 15
; COMPUTE_PGM_RSRC2:TRAP_HANDLER: 0
; COMPUTE_PGM_RSRC2:TGID_X_EN: 1
; COMPUTE_PGM_RSRC2:TGID_Y_EN: 0
; COMPUTE_PGM_RSRC2:TGID_Z_EN: 0
; COMPUTE_PGM_RSRC2:TIDIG_COMP_CNT: 0
	.section	.text._Z16warp_scan_kernelIiLj1ELj61EENSt9enable_ifIXntsr10test_utilsE35device_test_enabled_for_warp_size_vIXT1_EEEvE4typeEPT_S4_S4_S3_,"axG",@progbits,_Z16warp_scan_kernelIiLj1ELj61EENSt9enable_ifIXntsr10test_utilsE35device_test_enabled_for_warp_size_vIXT1_EEEvE4typeEPT_S4_S4_S3_,comdat
	.protected	_Z16warp_scan_kernelIiLj1ELj61EENSt9enable_ifIXntsr10test_utilsE35device_test_enabled_for_warp_size_vIXT1_EEEvE4typeEPT_S4_S4_S3_ ; -- Begin function _Z16warp_scan_kernelIiLj1ELj61EENSt9enable_ifIXntsr10test_utilsE35device_test_enabled_for_warp_size_vIXT1_EEEvE4typeEPT_S4_S4_S3_
	.globl	_Z16warp_scan_kernelIiLj1ELj61EENSt9enable_ifIXntsr10test_utilsE35device_test_enabled_for_warp_size_vIXT1_EEEvE4typeEPT_S4_S4_S3_
	.p2align	8
	.type	_Z16warp_scan_kernelIiLj1ELj61EENSt9enable_ifIXntsr10test_utilsE35device_test_enabled_for_warp_size_vIXT1_EEEvE4typeEPT_S4_S4_S3_,@function
_Z16warp_scan_kernelIiLj1ELj61EENSt9enable_ifIXntsr10test_utilsE35device_test_enabled_for_warp_size_vIXT1_EEEvE4typeEPT_S4_S4_S3_: ; @_Z16warp_scan_kernelIiLj1ELj61EENSt9enable_ifIXntsr10test_utilsE35device_test_enabled_for_warp_size_vIXT1_EEEvE4typeEPT_S4_S4_S3_
; %bb.0:
	s_endpgm
	.section	.rodata,"a",@progbits
	.p2align	6, 0x0
	.amdhsa_kernel _Z16warp_scan_kernelIiLj1ELj61EENSt9enable_ifIXntsr10test_utilsE35device_test_enabled_for_warp_size_vIXT1_EEEvE4typeEPT_S4_S4_S3_
		.amdhsa_group_segment_fixed_size 0
		.amdhsa_private_segment_fixed_size 0
		.amdhsa_kernarg_size 28
		.amdhsa_user_sgpr_count 15
		.amdhsa_user_sgpr_dispatch_ptr 0
		.amdhsa_user_sgpr_queue_ptr 0
		.amdhsa_user_sgpr_kernarg_segment_ptr 1
		.amdhsa_user_sgpr_dispatch_id 0
		.amdhsa_user_sgpr_private_segment_size 0
		.amdhsa_wavefront_size32 1
		.amdhsa_uses_dynamic_stack 0
		.amdhsa_enable_private_segment 0
		.amdhsa_system_sgpr_workgroup_id_x 1
		.amdhsa_system_sgpr_workgroup_id_y 0
		.amdhsa_system_sgpr_workgroup_id_z 0
		.amdhsa_system_sgpr_workgroup_info 0
		.amdhsa_system_vgpr_workitem_id 0
		.amdhsa_next_free_vgpr 1
		.amdhsa_next_free_sgpr 1
		.amdhsa_reserve_vcc 0
		.amdhsa_float_round_mode_32 0
		.amdhsa_float_round_mode_16_64 0
		.amdhsa_float_denorm_mode_32 3
		.amdhsa_float_denorm_mode_16_64 3
		.amdhsa_dx10_clamp 1
		.amdhsa_ieee_mode 1
		.amdhsa_fp16_overflow 0
		.amdhsa_workgroup_processor_mode 1
		.amdhsa_memory_ordered 1
		.amdhsa_forward_progress 0
		.amdhsa_shared_vgpr_count 0
		.amdhsa_exception_fp_ieee_invalid_op 0
		.amdhsa_exception_fp_denorm_src 0
		.amdhsa_exception_fp_ieee_div_zero 0
		.amdhsa_exception_fp_ieee_overflow 0
		.amdhsa_exception_fp_ieee_underflow 0
		.amdhsa_exception_fp_ieee_inexact 0
		.amdhsa_exception_int_div_zero 0
	.end_amdhsa_kernel
	.section	.text._Z16warp_scan_kernelIiLj1ELj61EENSt9enable_ifIXntsr10test_utilsE35device_test_enabled_for_warp_size_vIXT1_EEEvE4typeEPT_S4_S4_S3_,"axG",@progbits,_Z16warp_scan_kernelIiLj1ELj61EENSt9enable_ifIXntsr10test_utilsE35device_test_enabled_for_warp_size_vIXT1_EEEvE4typeEPT_S4_S4_S3_,comdat
.Lfunc_end234:
	.size	_Z16warp_scan_kernelIiLj1ELj61EENSt9enable_ifIXntsr10test_utilsE35device_test_enabled_for_warp_size_vIXT1_EEEvE4typeEPT_S4_S4_S3_, .Lfunc_end234-_Z16warp_scan_kernelIiLj1ELj61EENSt9enable_ifIXntsr10test_utilsE35device_test_enabled_for_warp_size_vIXT1_EEEvE4typeEPT_S4_S4_S3_
                                        ; -- End function
	.section	.AMDGPU.csdata,"",@progbits
; Kernel info:
; codeLenInByte = 4
; NumSgprs: 0
; NumVgprs: 0
; ScratchSize: 0
; MemoryBound: 0
; FloatMode: 240
; IeeeMode: 1
; LDSByteSize: 0 bytes/workgroup (compile time only)
; SGPRBlocks: 0
; VGPRBlocks: 0
; NumSGPRsForWavesPerEU: 1
; NumVGPRsForWavesPerEU: 1
; Occupancy: 16
; WaveLimiterHint : 0
; COMPUTE_PGM_RSRC2:SCRATCH_EN: 0
; COMPUTE_PGM_RSRC2:USER_SGPR: 15
; COMPUTE_PGM_RSRC2:TRAP_HANDLER: 0
; COMPUTE_PGM_RSRC2:TGID_X_EN: 1
; COMPUTE_PGM_RSRC2:TGID_Y_EN: 0
; COMPUTE_PGM_RSRC2:TGID_Z_EN: 0
; COMPUTE_PGM_RSRC2:TIDIG_COMP_CNT: 0
	.section	.text._Z16warp_scan_kernelIiLj61ELj61EENSt9enable_ifIXntsr10test_utilsE35device_test_enabled_for_warp_size_vIXT1_EEEvE4typeEPT_S4_S4_S3_,"axG",@progbits,_Z16warp_scan_kernelIiLj61ELj61EENSt9enable_ifIXntsr10test_utilsE35device_test_enabled_for_warp_size_vIXT1_EEEvE4typeEPT_S4_S4_S3_,comdat
	.protected	_Z16warp_scan_kernelIiLj61ELj61EENSt9enable_ifIXntsr10test_utilsE35device_test_enabled_for_warp_size_vIXT1_EEEvE4typeEPT_S4_S4_S3_ ; -- Begin function _Z16warp_scan_kernelIiLj61ELj61EENSt9enable_ifIXntsr10test_utilsE35device_test_enabled_for_warp_size_vIXT1_EEEvE4typeEPT_S4_S4_S3_
	.globl	_Z16warp_scan_kernelIiLj61ELj61EENSt9enable_ifIXntsr10test_utilsE35device_test_enabled_for_warp_size_vIXT1_EEEvE4typeEPT_S4_S4_S3_
	.p2align	8
	.type	_Z16warp_scan_kernelIiLj61ELj61EENSt9enable_ifIXntsr10test_utilsE35device_test_enabled_for_warp_size_vIXT1_EEEvE4typeEPT_S4_S4_S3_,@function
_Z16warp_scan_kernelIiLj61ELj61EENSt9enable_ifIXntsr10test_utilsE35device_test_enabled_for_warp_size_vIXT1_EEEvE4typeEPT_S4_S4_S3_: ; @_Z16warp_scan_kernelIiLj61ELj61EENSt9enable_ifIXntsr10test_utilsE35device_test_enabled_for_warp_size_vIXT1_EEEvE4typeEPT_S4_S4_S3_
; %bb.0:
	s_endpgm
	.section	.rodata,"a",@progbits
	.p2align	6, 0x0
	.amdhsa_kernel _Z16warp_scan_kernelIiLj61ELj61EENSt9enable_ifIXntsr10test_utilsE35device_test_enabled_for_warp_size_vIXT1_EEEvE4typeEPT_S4_S4_S3_
		.amdhsa_group_segment_fixed_size 0
		.amdhsa_private_segment_fixed_size 0
		.amdhsa_kernarg_size 28
		.amdhsa_user_sgpr_count 15
		.amdhsa_user_sgpr_dispatch_ptr 0
		.amdhsa_user_sgpr_queue_ptr 0
		.amdhsa_user_sgpr_kernarg_segment_ptr 1
		.amdhsa_user_sgpr_dispatch_id 0
		.amdhsa_user_sgpr_private_segment_size 0
		.amdhsa_wavefront_size32 1
		.amdhsa_uses_dynamic_stack 0
		.amdhsa_enable_private_segment 0
		.amdhsa_system_sgpr_workgroup_id_x 1
		.amdhsa_system_sgpr_workgroup_id_y 0
		.amdhsa_system_sgpr_workgroup_id_z 0
		.amdhsa_system_sgpr_workgroup_info 0
		.amdhsa_system_vgpr_workitem_id 0
		.amdhsa_next_free_vgpr 1
		.amdhsa_next_free_sgpr 1
		.amdhsa_reserve_vcc 0
		.amdhsa_float_round_mode_32 0
		.amdhsa_float_round_mode_16_64 0
		.amdhsa_float_denorm_mode_32 3
		.amdhsa_float_denorm_mode_16_64 3
		.amdhsa_dx10_clamp 1
		.amdhsa_ieee_mode 1
		.amdhsa_fp16_overflow 0
		.amdhsa_workgroup_processor_mode 1
		.amdhsa_memory_ordered 1
		.amdhsa_forward_progress 0
		.amdhsa_shared_vgpr_count 0
		.amdhsa_exception_fp_ieee_invalid_op 0
		.amdhsa_exception_fp_denorm_src 0
		.amdhsa_exception_fp_ieee_div_zero 0
		.amdhsa_exception_fp_ieee_overflow 0
		.amdhsa_exception_fp_ieee_underflow 0
		.amdhsa_exception_fp_ieee_inexact 0
		.amdhsa_exception_int_div_zero 0
	.end_amdhsa_kernel
	.section	.text._Z16warp_scan_kernelIiLj61ELj61EENSt9enable_ifIXntsr10test_utilsE35device_test_enabled_for_warp_size_vIXT1_EEEvE4typeEPT_S4_S4_S3_,"axG",@progbits,_Z16warp_scan_kernelIiLj61ELj61EENSt9enable_ifIXntsr10test_utilsE35device_test_enabled_for_warp_size_vIXT1_EEEvE4typeEPT_S4_S4_S3_,comdat
.Lfunc_end235:
	.size	_Z16warp_scan_kernelIiLj61ELj61EENSt9enable_ifIXntsr10test_utilsE35device_test_enabled_for_warp_size_vIXT1_EEEvE4typeEPT_S4_S4_S3_, .Lfunc_end235-_Z16warp_scan_kernelIiLj61ELj61EENSt9enable_ifIXntsr10test_utilsE35device_test_enabled_for_warp_size_vIXT1_EEEvE4typeEPT_S4_S4_S3_
                                        ; -- End function
	.section	.AMDGPU.csdata,"",@progbits
; Kernel info:
; codeLenInByte = 4
; NumSgprs: 0
; NumVgprs: 0
; ScratchSize: 0
; MemoryBound: 0
; FloatMode: 240
; IeeeMode: 1
; LDSByteSize: 0 bytes/workgroup (compile time only)
; SGPRBlocks: 0
; VGPRBlocks: 0
; NumSGPRsForWavesPerEU: 1
; NumVGPRsForWavesPerEU: 1
; Occupancy: 16
; WaveLimiterHint : 0
; COMPUTE_PGM_RSRC2:SCRATCH_EN: 0
; COMPUTE_PGM_RSRC2:USER_SGPR: 15
; COMPUTE_PGM_RSRC2:TRAP_HANDLER: 0
; COMPUTE_PGM_RSRC2:TGID_X_EN: 1
; COMPUTE_PGM_RSRC2:TGID_Y_EN: 0
; COMPUTE_PGM_RSRC2:TGID_Z_EN: 0
; COMPUTE_PGM_RSRC2:TIDIG_COMP_CNT: 0
	.section	.text._Z16warp_scan_kernelIiLj1ELj37EENSt9enable_ifIXntsr10test_utilsE35device_test_enabled_for_warp_size_vIXT1_EEEvE4typeEPT_S4_S4_S3_,"axG",@progbits,_Z16warp_scan_kernelIiLj1ELj37EENSt9enable_ifIXntsr10test_utilsE35device_test_enabled_for_warp_size_vIXT1_EEEvE4typeEPT_S4_S4_S3_,comdat
	.protected	_Z16warp_scan_kernelIiLj1ELj37EENSt9enable_ifIXntsr10test_utilsE35device_test_enabled_for_warp_size_vIXT1_EEEvE4typeEPT_S4_S4_S3_ ; -- Begin function _Z16warp_scan_kernelIiLj1ELj37EENSt9enable_ifIXntsr10test_utilsE35device_test_enabled_for_warp_size_vIXT1_EEEvE4typeEPT_S4_S4_S3_
	.globl	_Z16warp_scan_kernelIiLj1ELj37EENSt9enable_ifIXntsr10test_utilsE35device_test_enabled_for_warp_size_vIXT1_EEEvE4typeEPT_S4_S4_S3_
	.p2align	8
	.type	_Z16warp_scan_kernelIiLj1ELj37EENSt9enable_ifIXntsr10test_utilsE35device_test_enabled_for_warp_size_vIXT1_EEEvE4typeEPT_S4_S4_S3_,@function
_Z16warp_scan_kernelIiLj1ELj37EENSt9enable_ifIXntsr10test_utilsE35device_test_enabled_for_warp_size_vIXT1_EEEvE4typeEPT_S4_S4_S3_: ; @_Z16warp_scan_kernelIiLj1ELj37EENSt9enable_ifIXntsr10test_utilsE35device_test_enabled_for_warp_size_vIXT1_EEEvE4typeEPT_S4_S4_S3_
; %bb.0:
	s_endpgm
	.section	.rodata,"a",@progbits
	.p2align	6, 0x0
	.amdhsa_kernel _Z16warp_scan_kernelIiLj1ELj37EENSt9enable_ifIXntsr10test_utilsE35device_test_enabled_for_warp_size_vIXT1_EEEvE4typeEPT_S4_S4_S3_
		.amdhsa_group_segment_fixed_size 0
		.amdhsa_private_segment_fixed_size 0
		.amdhsa_kernarg_size 28
		.amdhsa_user_sgpr_count 15
		.amdhsa_user_sgpr_dispatch_ptr 0
		.amdhsa_user_sgpr_queue_ptr 0
		.amdhsa_user_sgpr_kernarg_segment_ptr 1
		.amdhsa_user_sgpr_dispatch_id 0
		.amdhsa_user_sgpr_private_segment_size 0
		.amdhsa_wavefront_size32 1
		.amdhsa_uses_dynamic_stack 0
		.amdhsa_enable_private_segment 0
		.amdhsa_system_sgpr_workgroup_id_x 1
		.amdhsa_system_sgpr_workgroup_id_y 0
		.amdhsa_system_sgpr_workgroup_id_z 0
		.amdhsa_system_sgpr_workgroup_info 0
		.amdhsa_system_vgpr_workitem_id 0
		.amdhsa_next_free_vgpr 1
		.amdhsa_next_free_sgpr 1
		.amdhsa_reserve_vcc 0
		.amdhsa_float_round_mode_32 0
		.amdhsa_float_round_mode_16_64 0
		.amdhsa_float_denorm_mode_32 3
		.amdhsa_float_denorm_mode_16_64 3
		.amdhsa_dx10_clamp 1
		.amdhsa_ieee_mode 1
		.amdhsa_fp16_overflow 0
		.amdhsa_workgroup_processor_mode 1
		.amdhsa_memory_ordered 1
		.amdhsa_forward_progress 0
		.amdhsa_shared_vgpr_count 0
		.amdhsa_exception_fp_ieee_invalid_op 0
		.amdhsa_exception_fp_denorm_src 0
		.amdhsa_exception_fp_ieee_div_zero 0
		.amdhsa_exception_fp_ieee_overflow 0
		.amdhsa_exception_fp_ieee_underflow 0
		.amdhsa_exception_fp_ieee_inexact 0
		.amdhsa_exception_int_div_zero 0
	.end_amdhsa_kernel
	.section	.text._Z16warp_scan_kernelIiLj1ELj37EENSt9enable_ifIXntsr10test_utilsE35device_test_enabled_for_warp_size_vIXT1_EEEvE4typeEPT_S4_S4_S3_,"axG",@progbits,_Z16warp_scan_kernelIiLj1ELj37EENSt9enable_ifIXntsr10test_utilsE35device_test_enabled_for_warp_size_vIXT1_EEEvE4typeEPT_S4_S4_S3_,comdat
.Lfunc_end236:
	.size	_Z16warp_scan_kernelIiLj1ELj37EENSt9enable_ifIXntsr10test_utilsE35device_test_enabled_for_warp_size_vIXT1_EEEvE4typeEPT_S4_S4_S3_, .Lfunc_end236-_Z16warp_scan_kernelIiLj1ELj37EENSt9enable_ifIXntsr10test_utilsE35device_test_enabled_for_warp_size_vIXT1_EEEvE4typeEPT_S4_S4_S3_
                                        ; -- End function
	.section	.AMDGPU.csdata,"",@progbits
; Kernel info:
; codeLenInByte = 4
; NumSgprs: 0
; NumVgprs: 0
; ScratchSize: 0
; MemoryBound: 0
; FloatMode: 240
; IeeeMode: 1
; LDSByteSize: 0 bytes/workgroup (compile time only)
; SGPRBlocks: 0
; VGPRBlocks: 0
; NumSGPRsForWavesPerEU: 1
; NumVGPRsForWavesPerEU: 1
; Occupancy: 16
; WaveLimiterHint : 0
; COMPUTE_PGM_RSRC2:SCRATCH_EN: 0
; COMPUTE_PGM_RSRC2:USER_SGPR: 15
; COMPUTE_PGM_RSRC2:TRAP_HANDLER: 0
; COMPUTE_PGM_RSRC2:TGID_X_EN: 1
; COMPUTE_PGM_RSRC2:TGID_Y_EN: 0
; COMPUTE_PGM_RSRC2:TGID_Z_EN: 0
; COMPUTE_PGM_RSRC2:TIDIG_COMP_CNT: 0
	.section	.text._Z16warp_scan_kernelIiLj37ELj37EENSt9enable_ifIXntsr10test_utilsE35device_test_enabled_for_warp_size_vIXT1_EEEvE4typeEPT_S4_S4_S3_,"axG",@progbits,_Z16warp_scan_kernelIiLj37ELj37EENSt9enable_ifIXntsr10test_utilsE35device_test_enabled_for_warp_size_vIXT1_EEEvE4typeEPT_S4_S4_S3_,comdat
	.protected	_Z16warp_scan_kernelIiLj37ELj37EENSt9enable_ifIXntsr10test_utilsE35device_test_enabled_for_warp_size_vIXT1_EEEvE4typeEPT_S4_S4_S3_ ; -- Begin function _Z16warp_scan_kernelIiLj37ELj37EENSt9enable_ifIXntsr10test_utilsE35device_test_enabled_for_warp_size_vIXT1_EEEvE4typeEPT_S4_S4_S3_
	.globl	_Z16warp_scan_kernelIiLj37ELj37EENSt9enable_ifIXntsr10test_utilsE35device_test_enabled_for_warp_size_vIXT1_EEEvE4typeEPT_S4_S4_S3_
	.p2align	8
	.type	_Z16warp_scan_kernelIiLj37ELj37EENSt9enable_ifIXntsr10test_utilsE35device_test_enabled_for_warp_size_vIXT1_EEEvE4typeEPT_S4_S4_S3_,@function
_Z16warp_scan_kernelIiLj37ELj37EENSt9enable_ifIXntsr10test_utilsE35device_test_enabled_for_warp_size_vIXT1_EEEvE4typeEPT_S4_S4_S3_: ; @_Z16warp_scan_kernelIiLj37ELj37EENSt9enable_ifIXntsr10test_utilsE35device_test_enabled_for_warp_size_vIXT1_EEEvE4typeEPT_S4_S4_S3_
; %bb.0:
	s_endpgm
	.section	.rodata,"a",@progbits
	.p2align	6, 0x0
	.amdhsa_kernel _Z16warp_scan_kernelIiLj37ELj37EENSt9enable_ifIXntsr10test_utilsE35device_test_enabled_for_warp_size_vIXT1_EEEvE4typeEPT_S4_S4_S3_
		.amdhsa_group_segment_fixed_size 0
		.amdhsa_private_segment_fixed_size 0
		.amdhsa_kernarg_size 28
		.amdhsa_user_sgpr_count 15
		.amdhsa_user_sgpr_dispatch_ptr 0
		.amdhsa_user_sgpr_queue_ptr 0
		.amdhsa_user_sgpr_kernarg_segment_ptr 1
		.amdhsa_user_sgpr_dispatch_id 0
		.amdhsa_user_sgpr_private_segment_size 0
		.amdhsa_wavefront_size32 1
		.amdhsa_uses_dynamic_stack 0
		.amdhsa_enable_private_segment 0
		.amdhsa_system_sgpr_workgroup_id_x 1
		.amdhsa_system_sgpr_workgroup_id_y 0
		.amdhsa_system_sgpr_workgroup_id_z 0
		.amdhsa_system_sgpr_workgroup_info 0
		.amdhsa_system_vgpr_workitem_id 0
		.amdhsa_next_free_vgpr 1
		.amdhsa_next_free_sgpr 1
		.amdhsa_reserve_vcc 0
		.amdhsa_float_round_mode_32 0
		.amdhsa_float_round_mode_16_64 0
		.amdhsa_float_denorm_mode_32 3
		.amdhsa_float_denorm_mode_16_64 3
		.amdhsa_dx10_clamp 1
		.amdhsa_ieee_mode 1
		.amdhsa_fp16_overflow 0
		.amdhsa_workgroup_processor_mode 1
		.amdhsa_memory_ordered 1
		.amdhsa_forward_progress 0
		.amdhsa_shared_vgpr_count 0
		.amdhsa_exception_fp_ieee_invalid_op 0
		.amdhsa_exception_fp_denorm_src 0
		.amdhsa_exception_fp_ieee_div_zero 0
		.amdhsa_exception_fp_ieee_overflow 0
		.amdhsa_exception_fp_ieee_underflow 0
		.amdhsa_exception_fp_ieee_inexact 0
		.amdhsa_exception_int_div_zero 0
	.end_amdhsa_kernel
	.section	.text._Z16warp_scan_kernelIiLj37ELj37EENSt9enable_ifIXntsr10test_utilsE35device_test_enabled_for_warp_size_vIXT1_EEEvE4typeEPT_S4_S4_S3_,"axG",@progbits,_Z16warp_scan_kernelIiLj37ELj37EENSt9enable_ifIXntsr10test_utilsE35device_test_enabled_for_warp_size_vIXT1_EEEvE4typeEPT_S4_S4_S3_,comdat
.Lfunc_end237:
	.size	_Z16warp_scan_kernelIiLj37ELj37EENSt9enable_ifIXntsr10test_utilsE35device_test_enabled_for_warp_size_vIXT1_EEEvE4typeEPT_S4_S4_S3_, .Lfunc_end237-_Z16warp_scan_kernelIiLj37ELj37EENSt9enable_ifIXntsr10test_utilsE35device_test_enabled_for_warp_size_vIXT1_EEEvE4typeEPT_S4_S4_S3_
                                        ; -- End function
	.section	.AMDGPU.csdata,"",@progbits
; Kernel info:
; codeLenInByte = 4
; NumSgprs: 0
; NumVgprs: 0
; ScratchSize: 0
; MemoryBound: 0
; FloatMode: 240
; IeeeMode: 1
; LDSByteSize: 0 bytes/workgroup (compile time only)
; SGPRBlocks: 0
; VGPRBlocks: 0
; NumSGPRsForWavesPerEU: 1
; NumVGPRsForWavesPerEU: 1
; Occupancy: 16
; WaveLimiterHint : 0
; COMPUTE_PGM_RSRC2:SCRATCH_EN: 0
; COMPUTE_PGM_RSRC2:USER_SGPR: 15
; COMPUTE_PGM_RSRC2:TRAP_HANDLER: 0
; COMPUTE_PGM_RSRC2:TGID_X_EN: 1
; COMPUTE_PGM_RSRC2:TGID_Y_EN: 0
; COMPUTE_PGM_RSRC2:TGID_Z_EN: 0
; COMPUTE_PGM_RSRC2:TIDIG_COMP_CNT: 0
	.section	.text._Z16warp_scan_kernelIiLj30ELj15EENSt9enable_ifIXsr10test_utilsE35device_test_enabled_for_warp_size_vIXT1_EEEvE4typeEPT_S4_S4_S3_,"axG",@progbits,_Z16warp_scan_kernelIiLj30ELj15EENSt9enable_ifIXsr10test_utilsE35device_test_enabled_for_warp_size_vIXT1_EEEvE4typeEPT_S4_S4_S3_,comdat
	.protected	_Z16warp_scan_kernelIiLj30ELj15EENSt9enable_ifIXsr10test_utilsE35device_test_enabled_for_warp_size_vIXT1_EEEvE4typeEPT_S4_S4_S3_ ; -- Begin function _Z16warp_scan_kernelIiLj30ELj15EENSt9enable_ifIXsr10test_utilsE35device_test_enabled_for_warp_size_vIXT1_EEEvE4typeEPT_S4_S4_S3_
	.globl	_Z16warp_scan_kernelIiLj30ELj15EENSt9enable_ifIXsr10test_utilsE35device_test_enabled_for_warp_size_vIXT1_EEEvE4typeEPT_S4_S4_S3_
	.p2align	8
	.type	_Z16warp_scan_kernelIiLj30ELj15EENSt9enable_ifIXsr10test_utilsE35device_test_enabled_for_warp_size_vIXT1_EEEvE4typeEPT_S4_S4_S3_,@function
_Z16warp_scan_kernelIiLj30ELj15EENSt9enable_ifIXsr10test_utilsE35device_test_enabled_for_warp_size_vIXT1_EEEvE4typeEPT_S4_S4_S3_: ; @_Z16warp_scan_kernelIiLj30ELj15EENSt9enable_ifIXsr10test_utilsE35device_test_enabled_for_warp_size_vIXT1_EEEvE4typeEPT_S4_S4_S3_
; %bb.0:
	s_clause 0x1
	s_load_b32 s2, s[0:1], 0x2c
	s_load_b128 s[4:7], s[0:1], 0x0
	s_waitcnt lgkmcnt(0)
	s_and_b32 s2, s2, 0xffff
	s_delay_alu instid0(SALU_CYCLE_1) | instskip(SKIP_2) | instid1(VALU_DEP_1)
	v_mad_u64_u32 v[1:2], null, s15, s2, v[0:1]
	v_mov_b32_e32 v2, 0
	v_mul_u32_u24_e32 v0, 0x1112, v0
	v_lshrrev_b32_e32 v0, 16, v0
	s_delay_alu instid0(VALU_DEP_3) | instskip(NEXT) | instid1(VALU_DEP_1)
	v_lshlrev_b64 v[1:2], 2, v[1:2]
	v_add_co_u32 v3, vcc_lo, s4, v1
	s_delay_alu instid0(VALU_DEP_2) | instskip(SKIP_2) | instid1(VALU_DEP_1)
	v_add_co_ci_u32_e32 v4, vcc_lo, s5, v2, vcc_lo
	global_load_b32 v3, v[3:4], off
	v_mbcnt_lo_u32_b32 v4, -1, 0
	v_mul_hi_u32 v5, 0x11111112, v4
	s_delay_alu instid0(VALU_DEP_1) | instskip(NEXT) | instid1(VALU_DEP_1)
	v_mul_u32_u24_e32 v5, 15, v5
	v_sub_nc_u32_e32 v5, v4, v5
	s_delay_alu instid0(VALU_DEP_1) | instskip(SKIP_1) | instid1(VALU_DEP_2)
	v_lshlrev_b32_e32 v4, 2, v5
	v_cmp_ne_u32_e32 vcc_lo, 0, v5
	v_mad_u32_u24 v4, v0, 60, v4
	s_delay_alu instid0(VALU_DEP_1)
	v_add_nc_u32_e32 v0, -4, v4
	s_waitcnt vmcnt(0)
	ds_store_b32 v4, v3
	; wave barrier
	s_and_saveexec_b32 s2, vcc_lo
	s_cbranch_execz .LBB238_2
; %bb.1:
	ds_load_b32 v6, v0
	s_waitcnt lgkmcnt(0)
	v_add_nc_u32_e32 v3, v6, v3
.LBB238_2:
	s_or_b32 exec_lo, exec_lo, s2
	; wave barrier
	s_and_saveexec_b32 s2, vcc_lo
	s_cbranch_execz .LBB238_4
; %bb.3:
	ds_store_b32 v4, v3
.LBB238_4:
	s_or_b32 exec_lo, exec_lo, s2
	v_cmp_lt_u32_e64 s2, 1, v5
	; wave barrier
	s_delay_alu instid0(VALU_DEP_1)
	s_and_saveexec_b32 s3, s2
	s_cbranch_execz .LBB238_6
; %bb.5:
	v_add_nc_u32_e32 v6, -8, v4
	ds_load_b32 v6, v6
	s_waitcnt lgkmcnt(0)
	v_add_nc_u32_e32 v3, v6, v3
.LBB238_6:
	s_or_b32 exec_lo, exec_lo, s3
	; wave barrier
	s_and_saveexec_b32 s3, s2
	s_cbranch_execz .LBB238_8
; %bb.7:
	ds_store_b32 v4, v3
.LBB238_8:
	s_or_b32 exec_lo, exec_lo, s3
	v_cmp_lt_u32_e64 s2, 3, v5
	; wave barrier
	s_delay_alu instid0(VALU_DEP_1)
	s_and_saveexec_b32 s3, s2
	s_cbranch_execz .LBB238_10
; %bb.9:
	v_add_nc_u32_e32 v6, -16, v4
	ds_load_b32 v6, v6
	s_waitcnt lgkmcnt(0)
	v_add_nc_u32_e32 v3, v6, v3
.LBB238_10:
	s_or_b32 exec_lo, exec_lo, s3
	; wave barrier
	s_and_saveexec_b32 s3, s2
	s_cbranch_execz .LBB238_12
; %bb.11:
	ds_store_b32 v4, v3
.LBB238_12:
	s_or_b32 exec_lo, exec_lo, s3
	s_load_b64 s[4:5], s[0:1], 0x10
	v_cmp_lt_u32_e64 s2, 7, v5
	; wave barrier
	s_delay_alu instid0(VALU_DEP_1)
	s_and_saveexec_b32 s3, s2
	s_cbranch_execz .LBB238_14
; %bb.13:
	v_subrev_nc_u32_e32 v5, 32, v4
	ds_load_b32 v5, v5
	s_waitcnt lgkmcnt(0)
	v_add_nc_u32_e32 v3, v5, v3
.LBB238_14:
	s_or_b32 exec_lo, exec_lo, s3
	; wave barrier
	s_and_saveexec_b32 s3, s2
	s_cbranch_execz .LBB238_16
; %bb.15:
	ds_store_b32 v4, v3
.LBB238_16:
	s_or_b32 exec_lo, exec_lo, s3
	s_load_b32 s0, s[0:1], 0x18
	; wave barrier
	s_waitcnt lgkmcnt(0)
	v_mov_b32_e32 v4, s0
	s_and_saveexec_b32 s1, vcc_lo
	s_cbranch_execz .LBB238_18
; %bb.17:
	ds_load_b32 v0, v0
	s_waitcnt lgkmcnt(0)
	v_add_nc_u32_e32 v4, s0, v0
.LBB238_18:
	s_or_b32 exec_lo, exec_lo, s1
	v_add_co_u32 v5, vcc_lo, s6, v1
	v_add_co_ci_u32_e32 v6, vcc_lo, s7, v2, vcc_lo
	v_add_co_u32 v0, vcc_lo, s4, v1
	v_add_nc_u32_e32 v3, s0, v3
	v_add_co_ci_u32_e32 v1, vcc_lo, s5, v2, vcc_lo
	global_store_b32 v[5:6], v3, off
	global_store_b32 v[0:1], v4, off
	s_nop 0
	s_sendmsg sendmsg(MSG_DEALLOC_VGPRS)
	s_endpgm
	.section	.rodata,"a",@progbits
	.p2align	6, 0x0
	.amdhsa_kernel _Z16warp_scan_kernelIiLj30ELj15EENSt9enable_ifIXsr10test_utilsE35device_test_enabled_for_warp_size_vIXT1_EEEvE4typeEPT_S4_S4_S3_
		.amdhsa_group_segment_fixed_size 120
		.amdhsa_private_segment_fixed_size 0
		.amdhsa_kernarg_size 288
		.amdhsa_user_sgpr_count 15
		.amdhsa_user_sgpr_dispatch_ptr 0
		.amdhsa_user_sgpr_queue_ptr 0
		.amdhsa_user_sgpr_kernarg_segment_ptr 1
		.amdhsa_user_sgpr_dispatch_id 0
		.amdhsa_user_sgpr_private_segment_size 0
		.amdhsa_wavefront_size32 1
		.amdhsa_uses_dynamic_stack 0
		.amdhsa_enable_private_segment 0
		.amdhsa_system_sgpr_workgroup_id_x 1
		.amdhsa_system_sgpr_workgroup_id_y 0
		.amdhsa_system_sgpr_workgroup_id_z 0
		.amdhsa_system_sgpr_workgroup_info 0
		.amdhsa_system_vgpr_workitem_id 0
		.amdhsa_next_free_vgpr 7
		.amdhsa_next_free_sgpr 16
		.amdhsa_reserve_vcc 1
		.amdhsa_float_round_mode_32 0
		.amdhsa_float_round_mode_16_64 0
		.amdhsa_float_denorm_mode_32 3
		.amdhsa_float_denorm_mode_16_64 3
		.amdhsa_dx10_clamp 1
		.amdhsa_ieee_mode 1
		.amdhsa_fp16_overflow 0
		.amdhsa_workgroup_processor_mode 1
		.amdhsa_memory_ordered 1
		.amdhsa_forward_progress 0
		.amdhsa_shared_vgpr_count 0
		.amdhsa_exception_fp_ieee_invalid_op 0
		.amdhsa_exception_fp_denorm_src 0
		.amdhsa_exception_fp_ieee_div_zero 0
		.amdhsa_exception_fp_ieee_overflow 0
		.amdhsa_exception_fp_ieee_underflow 0
		.amdhsa_exception_fp_ieee_inexact 0
		.amdhsa_exception_int_div_zero 0
	.end_amdhsa_kernel
	.section	.text._Z16warp_scan_kernelIiLj30ELj15EENSt9enable_ifIXsr10test_utilsE35device_test_enabled_for_warp_size_vIXT1_EEEvE4typeEPT_S4_S4_S3_,"axG",@progbits,_Z16warp_scan_kernelIiLj30ELj15EENSt9enable_ifIXsr10test_utilsE35device_test_enabled_for_warp_size_vIXT1_EEEvE4typeEPT_S4_S4_S3_,comdat
.Lfunc_end238:
	.size	_Z16warp_scan_kernelIiLj30ELj15EENSt9enable_ifIXsr10test_utilsE35device_test_enabled_for_warp_size_vIXT1_EEEvE4typeEPT_S4_S4_S3_, .Lfunc_end238-_Z16warp_scan_kernelIiLj30ELj15EENSt9enable_ifIXsr10test_utilsE35device_test_enabled_for_warp_size_vIXT1_EEEvE4typeEPT_S4_S4_S3_
                                        ; -- End function
	.section	.AMDGPU.csdata,"",@progbits
; Kernel info:
; codeLenInByte = 516
; NumSgprs: 18
; NumVgprs: 7
; ScratchSize: 0
; MemoryBound: 0
; FloatMode: 240
; IeeeMode: 1
; LDSByteSize: 120 bytes/workgroup (compile time only)
; SGPRBlocks: 2
; VGPRBlocks: 0
; NumSGPRsForWavesPerEU: 18
; NumVGPRsForWavesPerEU: 7
; Occupancy: 16
; WaveLimiterHint : 0
; COMPUTE_PGM_RSRC2:SCRATCH_EN: 0
; COMPUTE_PGM_RSRC2:USER_SGPR: 15
; COMPUTE_PGM_RSRC2:TRAP_HANDLER: 0
; COMPUTE_PGM_RSRC2:TGID_X_EN: 1
; COMPUTE_PGM_RSRC2:TGID_Y_EN: 0
; COMPUTE_PGM_RSRC2:TGID_Z_EN: 0
; COMPUTE_PGM_RSRC2:TIDIG_COMP_CNT: 0
	.section	.text._Z16warp_scan_kernelIiLj60ELj15EENSt9enable_ifIXsr10test_utilsE35device_test_enabled_for_warp_size_vIXT1_EEEvE4typeEPT_S4_S4_S3_,"axG",@progbits,_Z16warp_scan_kernelIiLj60ELj15EENSt9enable_ifIXsr10test_utilsE35device_test_enabled_for_warp_size_vIXT1_EEEvE4typeEPT_S4_S4_S3_,comdat
	.protected	_Z16warp_scan_kernelIiLj60ELj15EENSt9enable_ifIXsr10test_utilsE35device_test_enabled_for_warp_size_vIXT1_EEEvE4typeEPT_S4_S4_S3_ ; -- Begin function _Z16warp_scan_kernelIiLj60ELj15EENSt9enable_ifIXsr10test_utilsE35device_test_enabled_for_warp_size_vIXT1_EEEvE4typeEPT_S4_S4_S3_
	.globl	_Z16warp_scan_kernelIiLj60ELj15EENSt9enable_ifIXsr10test_utilsE35device_test_enabled_for_warp_size_vIXT1_EEEvE4typeEPT_S4_S4_S3_
	.p2align	8
	.type	_Z16warp_scan_kernelIiLj60ELj15EENSt9enable_ifIXsr10test_utilsE35device_test_enabled_for_warp_size_vIXT1_EEEvE4typeEPT_S4_S4_S3_,@function
_Z16warp_scan_kernelIiLj60ELj15EENSt9enable_ifIXsr10test_utilsE35device_test_enabled_for_warp_size_vIXT1_EEEvE4typeEPT_S4_S4_S3_: ; @_Z16warp_scan_kernelIiLj60ELj15EENSt9enable_ifIXsr10test_utilsE35device_test_enabled_for_warp_size_vIXT1_EEEvE4typeEPT_S4_S4_S3_
; %bb.0:
	s_clause 0x1
	s_load_b32 s2, s[0:1], 0x2c
	s_load_b128 s[4:7], s[0:1], 0x0
	s_waitcnt lgkmcnt(0)
	s_and_b32 s2, s2, 0xffff
	s_delay_alu instid0(SALU_CYCLE_1) | instskip(SKIP_2) | instid1(VALU_DEP_1)
	v_mad_u64_u32 v[1:2], null, s15, s2, v[0:1]
	v_mov_b32_e32 v2, 0
	v_mul_u32_u24_e32 v0, 0x1112, v0
	v_lshrrev_b32_e32 v0, 16, v0
	s_delay_alu instid0(VALU_DEP_3) | instskip(NEXT) | instid1(VALU_DEP_1)
	v_lshlrev_b64 v[1:2], 2, v[1:2]
	v_add_co_u32 v3, vcc_lo, s4, v1
	s_delay_alu instid0(VALU_DEP_2) | instskip(SKIP_2) | instid1(VALU_DEP_1)
	v_add_co_ci_u32_e32 v4, vcc_lo, s5, v2, vcc_lo
	global_load_b32 v3, v[3:4], off
	v_mbcnt_lo_u32_b32 v4, -1, 0
	v_mul_hi_u32 v5, 0x11111112, v4
	s_delay_alu instid0(VALU_DEP_1) | instskip(NEXT) | instid1(VALU_DEP_1)
	v_mul_u32_u24_e32 v5, 15, v5
	v_sub_nc_u32_e32 v5, v4, v5
	s_delay_alu instid0(VALU_DEP_1) | instskip(SKIP_1) | instid1(VALU_DEP_2)
	v_lshlrev_b32_e32 v4, 2, v5
	v_cmp_ne_u32_e32 vcc_lo, 0, v5
	v_mad_u32_u24 v4, v0, 60, v4
	s_delay_alu instid0(VALU_DEP_1)
	v_add_nc_u32_e32 v0, -4, v4
	s_waitcnt vmcnt(0)
	ds_store_b32 v4, v3
	; wave barrier
	s_and_saveexec_b32 s2, vcc_lo
	s_cbranch_execz .LBB239_2
; %bb.1:
	ds_load_b32 v6, v0
	s_waitcnt lgkmcnt(0)
	v_add_nc_u32_e32 v3, v6, v3
.LBB239_2:
	s_or_b32 exec_lo, exec_lo, s2
	; wave barrier
	s_and_saveexec_b32 s2, vcc_lo
	s_cbranch_execz .LBB239_4
; %bb.3:
	ds_store_b32 v4, v3
.LBB239_4:
	s_or_b32 exec_lo, exec_lo, s2
	v_cmp_lt_u32_e64 s2, 1, v5
	; wave barrier
	s_delay_alu instid0(VALU_DEP_1)
	s_and_saveexec_b32 s3, s2
	s_cbranch_execz .LBB239_6
; %bb.5:
	v_add_nc_u32_e32 v6, -8, v4
	ds_load_b32 v6, v6
	s_waitcnt lgkmcnt(0)
	v_add_nc_u32_e32 v3, v6, v3
.LBB239_6:
	s_or_b32 exec_lo, exec_lo, s3
	; wave barrier
	s_and_saveexec_b32 s3, s2
	s_cbranch_execz .LBB239_8
; %bb.7:
	ds_store_b32 v4, v3
.LBB239_8:
	s_or_b32 exec_lo, exec_lo, s3
	v_cmp_lt_u32_e64 s2, 3, v5
	; wave barrier
	s_delay_alu instid0(VALU_DEP_1)
	s_and_saveexec_b32 s3, s2
	s_cbranch_execz .LBB239_10
; %bb.9:
	v_add_nc_u32_e32 v6, -16, v4
	ds_load_b32 v6, v6
	s_waitcnt lgkmcnt(0)
	v_add_nc_u32_e32 v3, v6, v3
.LBB239_10:
	s_or_b32 exec_lo, exec_lo, s3
	; wave barrier
	s_and_saveexec_b32 s3, s2
	s_cbranch_execz .LBB239_12
; %bb.11:
	ds_store_b32 v4, v3
.LBB239_12:
	s_or_b32 exec_lo, exec_lo, s3
	s_load_b64 s[4:5], s[0:1], 0x10
	v_cmp_lt_u32_e64 s2, 7, v5
	; wave barrier
	s_delay_alu instid0(VALU_DEP_1)
	s_and_saveexec_b32 s3, s2
	s_cbranch_execz .LBB239_14
; %bb.13:
	v_subrev_nc_u32_e32 v5, 32, v4
	ds_load_b32 v5, v5
	s_waitcnt lgkmcnt(0)
	v_add_nc_u32_e32 v3, v5, v3
.LBB239_14:
	s_or_b32 exec_lo, exec_lo, s3
	; wave barrier
	s_and_saveexec_b32 s3, s2
	s_cbranch_execz .LBB239_16
; %bb.15:
	ds_store_b32 v4, v3
.LBB239_16:
	s_or_b32 exec_lo, exec_lo, s3
	s_load_b32 s0, s[0:1], 0x18
	; wave barrier
	s_waitcnt lgkmcnt(0)
	v_mov_b32_e32 v4, s0
	s_and_saveexec_b32 s1, vcc_lo
	s_cbranch_execz .LBB239_18
; %bb.17:
	ds_load_b32 v0, v0
	s_waitcnt lgkmcnt(0)
	v_add_nc_u32_e32 v4, s0, v0
.LBB239_18:
	s_or_b32 exec_lo, exec_lo, s1
	v_add_co_u32 v5, vcc_lo, s6, v1
	v_add_co_ci_u32_e32 v6, vcc_lo, s7, v2, vcc_lo
	v_add_co_u32 v0, vcc_lo, s4, v1
	v_add_nc_u32_e32 v3, s0, v3
	v_add_co_ci_u32_e32 v1, vcc_lo, s5, v2, vcc_lo
	global_store_b32 v[5:6], v3, off
	global_store_b32 v[0:1], v4, off
	s_nop 0
	s_sendmsg sendmsg(MSG_DEALLOC_VGPRS)
	s_endpgm
	.section	.rodata,"a",@progbits
	.p2align	6, 0x0
	.amdhsa_kernel _Z16warp_scan_kernelIiLj60ELj15EENSt9enable_ifIXsr10test_utilsE35device_test_enabled_for_warp_size_vIXT1_EEEvE4typeEPT_S4_S4_S3_
		.amdhsa_group_segment_fixed_size 240
		.amdhsa_private_segment_fixed_size 0
		.amdhsa_kernarg_size 288
		.amdhsa_user_sgpr_count 15
		.amdhsa_user_sgpr_dispatch_ptr 0
		.amdhsa_user_sgpr_queue_ptr 0
		.amdhsa_user_sgpr_kernarg_segment_ptr 1
		.amdhsa_user_sgpr_dispatch_id 0
		.amdhsa_user_sgpr_private_segment_size 0
		.amdhsa_wavefront_size32 1
		.amdhsa_uses_dynamic_stack 0
		.amdhsa_enable_private_segment 0
		.amdhsa_system_sgpr_workgroup_id_x 1
		.amdhsa_system_sgpr_workgroup_id_y 0
		.amdhsa_system_sgpr_workgroup_id_z 0
		.amdhsa_system_sgpr_workgroup_info 0
		.amdhsa_system_vgpr_workitem_id 0
		.amdhsa_next_free_vgpr 7
		.amdhsa_next_free_sgpr 16
		.amdhsa_reserve_vcc 1
		.amdhsa_float_round_mode_32 0
		.amdhsa_float_round_mode_16_64 0
		.amdhsa_float_denorm_mode_32 3
		.amdhsa_float_denorm_mode_16_64 3
		.amdhsa_dx10_clamp 1
		.amdhsa_ieee_mode 1
		.amdhsa_fp16_overflow 0
		.amdhsa_workgroup_processor_mode 1
		.amdhsa_memory_ordered 1
		.amdhsa_forward_progress 0
		.amdhsa_shared_vgpr_count 0
		.amdhsa_exception_fp_ieee_invalid_op 0
		.amdhsa_exception_fp_denorm_src 0
		.amdhsa_exception_fp_ieee_div_zero 0
		.amdhsa_exception_fp_ieee_overflow 0
		.amdhsa_exception_fp_ieee_underflow 0
		.amdhsa_exception_fp_ieee_inexact 0
		.amdhsa_exception_int_div_zero 0
	.end_amdhsa_kernel
	.section	.text._Z16warp_scan_kernelIiLj60ELj15EENSt9enable_ifIXsr10test_utilsE35device_test_enabled_for_warp_size_vIXT1_EEEvE4typeEPT_S4_S4_S3_,"axG",@progbits,_Z16warp_scan_kernelIiLj60ELj15EENSt9enable_ifIXsr10test_utilsE35device_test_enabled_for_warp_size_vIXT1_EEEvE4typeEPT_S4_S4_S3_,comdat
.Lfunc_end239:
	.size	_Z16warp_scan_kernelIiLj60ELj15EENSt9enable_ifIXsr10test_utilsE35device_test_enabled_for_warp_size_vIXT1_EEEvE4typeEPT_S4_S4_S3_, .Lfunc_end239-_Z16warp_scan_kernelIiLj60ELj15EENSt9enable_ifIXsr10test_utilsE35device_test_enabled_for_warp_size_vIXT1_EEEvE4typeEPT_S4_S4_S3_
                                        ; -- End function
	.section	.AMDGPU.csdata,"",@progbits
; Kernel info:
; codeLenInByte = 516
; NumSgprs: 18
; NumVgprs: 7
; ScratchSize: 0
; MemoryBound: 0
; FloatMode: 240
; IeeeMode: 1
; LDSByteSize: 240 bytes/workgroup (compile time only)
; SGPRBlocks: 2
; VGPRBlocks: 0
; NumSGPRsForWavesPerEU: 18
; NumVGPRsForWavesPerEU: 7
; Occupancy: 16
; WaveLimiterHint : 0
; COMPUTE_PGM_RSRC2:SCRATCH_EN: 0
; COMPUTE_PGM_RSRC2:USER_SGPR: 15
; COMPUTE_PGM_RSRC2:TRAP_HANDLER: 0
; COMPUTE_PGM_RSRC2:TGID_X_EN: 1
; COMPUTE_PGM_RSRC2:TGID_Y_EN: 0
; COMPUTE_PGM_RSRC2:TGID_Z_EN: 0
; COMPUTE_PGM_RSRC2:TIDIG_COMP_CNT: 0
	.section	.text._Z16warp_scan_kernelIiLj28ELj7EENSt9enable_ifIXsr10test_utilsE35device_test_enabled_for_warp_size_vIXT1_EEEvE4typeEPT_S4_S4_S3_,"axG",@progbits,_Z16warp_scan_kernelIiLj28ELj7EENSt9enable_ifIXsr10test_utilsE35device_test_enabled_for_warp_size_vIXT1_EEEvE4typeEPT_S4_S4_S3_,comdat
	.protected	_Z16warp_scan_kernelIiLj28ELj7EENSt9enable_ifIXsr10test_utilsE35device_test_enabled_for_warp_size_vIXT1_EEEvE4typeEPT_S4_S4_S3_ ; -- Begin function _Z16warp_scan_kernelIiLj28ELj7EENSt9enable_ifIXsr10test_utilsE35device_test_enabled_for_warp_size_vIXT1_EEEvE4typeEPT_S4_S4_S3_
	.globl	_Z16warp_scan_kernelIiLj28ELj7EENSt9enable_ifIXsr10test_utilsE35device_test_enabled_for_warp_size_vIXT1_EEEvE4typeEPT_S4_S4_S3_
	.p2align	8
	.type	_Z16warp_scan_kernelIiLj28ELj7EENSt9enable_ifIXsr10test_utilsE35device_test_enabled_for_warp_size_vIXT1_EEEvE4typeEPT_S4_S4_S3_,@function
_Z16warp_scan_kernelIiLj28ELj7EENSt9enable_ifIXsr10test_utilsE35device_test_enabled_for_warp_size_vIXT1_EEEvE4typeEPT_S4_S4_S3_: ; @_Z16warp_scan_kernelIiLj28ELj7EENSt9enable_ifIXsr10test_utilsE35device_test_enabled_for_warp_size_vIXT1_EEEvE4typeEPT_S4_S4_S3_
; %bb.0:
	s_clause 0x1
	s_load_b32 s2, s[0:1], 0x2c
	s_load_b128 s[4:7], s[0:1], 0x0
	s_waitcnt lgkmcnt(0)
	s_and_b32 s2, s2, 0xffff
	s_delay_alu instid0(SALU_CYCLE_1) | instskip(SKIP_2) | instid1(VALU_DEP_1)
	v_mad_u64_u32 v[1:2], null, s15, s2, v[0:1]
	v_mov_b32_e32 v2, 0
	v_mul_u32_u24_e32 v0, 0x2493, v0
	v_lshrrev_b32_e32 v0, 16, v0
	s_delay_alu instid0(VALU_DEP_3) | instskip(NEXT) | instid1(VALU_DEP_1)
	v_lshlrev_b64 v[1:2], 2, v[1:2]
	v_add_co_u32 v3, vcc_lo, s4, v1
	s_delay_alu instid0(VALU_DEP_2) | instskip(SKIP_2) | instid1(VALU_DEP_1)
	v_add_co_ci_u32_e32 v4, vcc_lo, s5, v2, vcc_lo
	global_load_b32 v3, v[3:4], off
	v_mbcnt_lo_u32_b32 v4, -1, 0
	v_mul_hi_u32 v5, 0x24924925, v4
	s_delay_alu instid0(VALU_DEP_1) | instskip(NEXT) | instid1(VALU_DEP_1)
	v_mul_u32_u24_e32 v5, 7, v5
	v_sub_nc_u32_e32 v5, v4, v5
	s_delay_alu instid0(VALU_DEP_1) | instskip(SKIP_1) | instid1(VALU_DEP_2)
	v_lshlrev_b32_e32 v4, 2, v5
	v_cmp_ne_u32_e32 vcc_lo, 0, v5
	v_mad_u32_u24 v4, v0, 28, v4
	s_delay_alu instid0(VALU_DEP_1)
	v_add_nc_u32_e32 v0, -4, v4
	s_waitcnt vmcnt(0)
	ds_store_b32 v4, v3
	; wave barrier
	s_and_saveexec_b32 s2, vcc_lo
	s_cbranch_execz .LBB240_2
; %bb.1:
	ds_load_b32 v6, v0
	s_waitcnt lgkmcnt(0)
	v_add_nc_u32_e32 v3, v6, v3
.LBB240_2:
	s_or_b32 exec_lo, exec_lo, s2
	; wave barrier
	s_and_saveexec_b32 s2, vcc_lo
	s_cbranch_execz .LBB240_4
; %bb.3:
	ds_store_b32 v4, v3
.LBB240_4:
	s_or_b32 exec_lo, exec_lo, s2
	v_cmp_lt_u32_e64 s2, 1, v5
	; wave barrier
	s_delay_alu instid0(VALU_DEP_1)
	s_and_saveexec_b32 s3, s2
	s_cbranch_execz .LBB240_6
; %bb.5:
	v_add_nc_u32_e32 v6, -8, v4
	ds_load_b32 v6, v6
	s_waitcnt lgkmcnt(0)
	v_add_nc_u32_e32 v3, v6, v3
.LBB240_6:
	s_or_b32 exec_lo, exec_lo, s3
	; wave barrier
	s_and_saveexec_b32 s3, s2
	s_cbranch_execz .LBB240_8
; %bb.7:
	ds_store_b32 v4, v3
.LBB240_8:
	s_or_b32 exec_lo, exec_lo, s3
	s_load_b64 s[4:5], s[0:1], 0x10
	v_cmp_lt_u32_e64 s2, 3, v5
	; wave barrier
	s_delay_alu instid0(VALU_DEP_1)
	s_and_saveexec_b32 s3, s2
	s_cbranch_execz .LBB240_10
; %bb.9:
	v_add_nc_u32_e32 v5, -16, v4
	ds_load_b32 v5, v5
	s_waitcnt lgkmcnt(0)
	v_add_nc_u32_e32 v3, v5, v3
.LBB240_10:
	s_or_b32 exec_lo, exec_lo, s3
	; wave barrier
	s_and_saveexec_b32 s3, s2
	s_cbranch_execz .LBB240_12
; %bb.11:
	ds_store_b32 v4, v3
.LBB240_12:
	s_or_b32 exec_lo, exec_lo, s3
	s_load_b32 s0, s[0:1], 0x18
	; wave barrier
	s_waitcnt lgkmcnt(0)
	v_mov_b32_e32 v4, s0
	s_and_saveexec_b32 s1, vcc_lo
	s_cbranch_execz .LBB240_14
; %bb.13:
	ds_load_b32 v0, v0
	s_waitcnt lgkmcnt(0)
	v_add_nc_u32_e32 v4, s0, v0
.LBB240_14:
	s_or_b32 exec_lo, exec_lo, s1
	v_add_co_u32 v5, vcc_lo, s6, v1
	v_add_co_ci_u32_e32 v6, vcc_lo, s7, v2, vcc_lo
	v_add_co_u32 v0, vcc_lo, s4, v1
	v_add_nc_u32_e32 v3, s0, v3
	v_add_co_ci_u32_e32 v1, vcc_lo, s5, v2, vcc_lo
	global_store_b32 v[5:6], v3, off
	global_store_b32 v[0:1], v4, off
	s_nop 0
	s_sendmsg sendmsg(MSG_DEALLOC_VGPRS)
	s_endpgm
	.section	.rodata,"a",@progbits
	.p2align	6, 0x0
	.amdhsa_kernel _Z16warp_scan_kernelIiLj28ELj7EENSt9enable_ifIXsr10test_utilsE35device_test_enabled_for_warp_size_vIXT1_EEEvE4typeEPT_S4_S4_S3_
		.amdhsa_group_segment_fixed_size 112
		.amdhsa_private_segment_fixed_size 0
		.amdhsa_kernarg_size 288
		.amdhsa_user_sgpr_count 15
		.amdhsa_user_sgpr_dispatch_ptr 0
		.amdhsa_user_sgpr_queue_ptr 0
		.amdhsa_user_sgpr_kernarg_segment_ptr 1
		.amdhsa_user_sgpr_dispatch_id 0
		.amdhsa_user_sgpr_private_segment_size 0
		.amdhsa_wavefront_size32 1
		.amdhsa_uses_dynamic_stack 0
		.amdhsa_enable_private_segment 0
		.amdhsa_system_sgpr_workgroup_id_x 1
		.amdhsa_system_sgpr_workgroup_id_y 0
		.amdhsa_system_sgpr_workgroup_id_z 0
		.amdhsa_system_sgpr_workgroup_info 0
		.amdhsa_system_vgpr_workitem_id 0
		.amdhsa_next_free_vgpr 7
		.amdhsa_next_free_sgpr 16
		.amdhsa_reserve_vcc 1
		.amdhsa_float_round_mode_32 0
		.amdhsa_float_round_mode_16_64 0
		.amdhsa_float_denorm_mode_32 3
		.amdhsa_float_denorm_mode_16_64 3
		.amdhsa_dx10_clamp 1
		.amdhsa_ieee_mode 1
		.amdhsa_fp16_overflow 0
		.amdhsa_workgroup_processor_mode 1
		.amdhsa_memory_ordered 1
		.amdhsa_forward_progress 0
		.amdhsa_shared_vgpr_count 0
		.amdhsa_exception_fp_ieee_invalid_op 0
		.amdhsa_exception_fp_denorm_src 0
		.amdhsa_exception_fp_ieee_div_zero 0
		.amdhsa_exception_fp_ieee_overflow 0
		.amdhsa_exception_fp_ieee_underflow 0
		.amdhsa_exception_fp_ieee_inexact 0
		.amdhsa_exception_int_div_zero 0
	.end_amdhsa_kernel
	.section	.text._Z16warp_scan_kernelIiLj28ELj7EENSt9enable_ifIXsr10test_utilsE35device_test_enabled_for_warp_size_vIXT1_EEEvE4typeEPT_S4_S4_S3_,"axG",@progbits,_Z16warp_scan_kernelIiLj28ELj7EENSt9enable_ifIXsr10test_utilsE35device_test_enabled_for_warp_size_vIXT1_EEEvE4typeEPT_S4_S4_S3_,comdat
.Lfunc_end240:
	.size	_Z16warp_scan_kernelIiLj28ELj7EENSt9enable_ifIXsr10test_utilsE35device_test_enabled_for_warp_size_vIXT1_EEEvE4typeEPT_S4_S4_S3_, .Lfunc_end240-_Z16warp_scan_kernelIiLj28ELj7EENSt9enable_ifIXsr10test_utilsE35device_test_enabled_for_warp_size_vIXT1_EEEvE4typeEPT_S4_S4_S3_
                                        ; -- End function
	.section	.AMDGPU.csdata,"",@progbits
; Kernel info:
; codeLenInByte = 452
; NumSgprs: 18
; NumVgprs: 7
; ScratchSize: 0
; MemoryBound: 0
; FloatMode: 240
; IeeeMode: 1
; LDSByteSize: 112 bytes/workgroup (compile time only)
; SGPRBlocks: 2
; VGPRBlocks: 0
; NumSGPRsForWavesPerEU: 18
; NumVGPRsForWavesPerEU: 7
; Occupancy: 16
; WaveLimiterHint : 0
; COMPUTE_PGM_RSRC2:SCRATCH_EN: 0
; COMPUTE_PGM_RSRC2:USER_SGPR: 15
; COMPUTE_PGM_RSRC2:TRAP_HANDLER: 0
; COMPUTE_PGM_RSRC2:TGID_X_EN: 1
; COMPUTE_PGM_RSRC2:TGID_Y_EN: 0
; COMPUTE_PGM_RSRC2:TGID_Z_EN: 0
; COMPUTE_PGM_RSRC2:TIDIG_COMP_CNT: 0
	.section	.text._Z16warp_scan_kernelIiLj63ELj7EENSt9enable_ifIXsr10test_utilsE35device_test_enabled_for_warp_size_vIXT1_EEEvE4typeEPT_S4_S4_S3_,"axG",@progbits,_Z16warp_scan_kernelIiLj63ELj7EENSt9enable_ifIXsr10test_utilsE35device_test_enabled_for_warp_size_vIXT1_EEEvE4typeEPT_S4_S4_S3_,comdat
	.protected	_Z16warp_scan_kernelIiLj63ELj7EENSt9enable_ifIXsr10test_utilsE35device_test_enabled_for_warp_size_vIXT1_EEEvE4typeEPT_S4_S4_S3_ ; -- Begin function _Z16warp_scan_kernelIiLj63ELj7EENSt9enable_ifIXsr10test_utilsE35device_test_enabled_for_warp_size_vIXT1_EEEvE4typeEPT_S4_S4_S3_
	.globl	_Z16warp_scan_kernelIiLj63ELj7EENSt9enable_ifIXsr10test_utilsE35device_test_enabled_for_warp_size_vIXT1_EEEvE4typeEPT_S4_S4_S3_
	.p2align	8
	.type	_Z16warp_scan_kernelIiLj63ELj7EENSt9enable_ifIXsr10test_utilsE35device_test_enabled_for_warp_size_vIXT1_EEEvE4typeEPT_S4_S4_S3_,@function
_Z16warp_scan_kernelIiLj63ELj7EENSt9enable_ifIXsr10test_utilsE35device_test_enabled_for_warp_size_vIXT1_EEEvE4typeEPT_S4_S4_S3_: ; @_Z16warp_scan_kernelIiLj63ELj7EENSt9enable_ifIXsr10test_utilsE35device_test_enabled_for_warp_size_vIXT1_EEEvE4typeEPT_S4_S4_S3_
; %bb.0:
	s_clause 0x1
	s_load_b32 s2, s[0:1], 0x2c
	s_load_b128 s[4:7], s[0:1], 0x0
	s_waitcnt lgkmcnt(0)
	s_and_b32 s2, s2, 0xffff
	s_delay_alu instid0(SALU_CYCLE_1) | instskip(SKIP_2) | instid1(VALU_DEP_1)
	v_mad_u64_u32 v[1:2], null, s15, s2, v[0:1]
	v_mov_b32_e32 v2, 0
	v_mul_u32_u24_e32 v0, 0x2493, v0
	v_lshrrev_b32_e32 v0, 16, v0
	s_delay_alu instid0(VALU_DEP_3) | instskip(NEXT) | instid1(VALU_DEP_1)
	v_lshlrev_b64 v[1:2], 2, v[1:2]
	v_add_co_u32 v3, vcc_lo, s4, v1
	s_delay_alu instid0(VALU_DEP_2) | instskip(SKIP_2) | instid1(VALU_DEP_1)
	v_add_co_ci_u32_e32 v4, vcc_lo, s5, v2, vcc_lo
	global_load_b32 v3, v[3:4], off
	v_mbcnt_lo_u32_b32 v4, -1, 0
	v_mul_hi_u32 v5, 0x24924925, v4
	s_delay_alu instid0(VALU_DEP_1) | instskip(NEXT) | instid1(VALU_DEP_1)
	v_mul_u32_u24_e32 v5, 7, v5
	v_sub_nc_u32_e32 v5, v4, v5
	s_delay_alu instid0(VALU_DEP_1) | instskip(SKIP_1) | instid1(VALU_DEP_2)
	v_lshlrev_b32_e32 v4, 2, v5
	v_cmp_ne_u32_e32 vcc_lo, 0, v5
	v_mad_u32_u24 v4, v0, 28, v4
	s_delay_alu instid0(VALU_DEP_1)
	v_add_nc_u32_e32 v0, -4, v4
	s_waitcnt vmcnt(0)
	ds_store_b32 v4, v3
	; wave barrier
	s_and_saveexec_b32 s2, vcc_lo
	s_cbranch_execz .LBB241_2
; %bb.1:
	ds_load_b32 v6, v0
	s_waitcnt lgkmcnt(0)
	v_add_nc_u32_e32 v3, v6, v3
.LBB241_2:
	s_or_b32 exec_lo, exec_lo, s2
	; wave barrier
	s_and_saveexec_b32 s2, vcc_lo
	s_cbranch_execz .LBB241_4
; %bb.3:
	ds_store_b32 v4, v3
.LBB241_4:
	s_or_b32 exec_lo, exec_lo, s2
	v_cmp_lt_u32_e64 s2, 1, v5
	; wave barrier
	s_delay_alu instid0(VALU_DEP_1)
	s_and_saveexec_b32 s3, s2
	s_cbranch_execz .LBB241_6
; %bb.5:
	v_add_nc_u32_e32 v6, -8, v4
	ds_load_b32 v6, v6
	s_waitcnt lgkmcnt(0)
	v_add_nc_u32_e32 v3, v6, v3
.LBB241_6:
	s_or_b32 exec_lo, exec_lo, s3
	; wave barrier
	s_and_saveexec_b32 s3, s2
	s_cbranch_execz .LBB241_8
; %bb.7:
	ds_store_b32 v4, v3
.LBB241_8:
	s_or_b32 exec_lo, exec_lo, s3
	s_load_b64 s[4:5], s[0:1], 0x10
	v_cmp_lt_u32_e64 s2, 3, v5
	; wave barrier
	s_delay_alu instid0(VALU_DEP_1)
	s_and_saveexec_b32 s3, s2
	s_cbranch_execz .LBB241_10
; %bb.9:
	v_add_nc_u32_e32 v5, -16, v4
	ds_load_b32 v5, v5
	s_waitcnt lgkmcnt(0)
	v_add_nc_u32_e32 v3, v5, v3
.LBB241_10:
	s_or_b32 exec_lo, exec_lo, s3
	; wave barrier
	s_and_saveexec_b32 s3, s2
	s_cbranch_execz .LBB241_12
; %bb.11:
	ds_store_b32 v4, v3
.LBB241_12:
	s_or_b32 exec_lo, exec_lo, s3
	s_load_b32 s0, s[0:1], 0x18
	; wave barrier
	s_waitcnt lgkmcnt(0)
	v_mov_b32_e32 v4, s0
	s_and_saveexec_b32 s1, vcc_lo
	s_cbranch_execz .LBB241_14
; %bb.13:
	ds_load_b32 v0, v0
	s_waitcnt lgkmcnt(0)
	v_add_nc_u32_e32 v4, s0, v0
.LBB241_14:
	s_or_b32 exec_lo, exec_lo, s1
	v_add_co_u32 v5, vcc_lo, s6, v1
	v_add_co_ci_u32_e32 v6, vcc_lo, s7, v2, vcc_lo
	v_add_co_u32 v0, vcc_lo, s4, v1
	v_add_nc_u32_e32 v3, s0, v3
	v_add_co_ci_u32_e32 v1, vcc_lo, s5, v2, vcc_lo
	global_store_b32 v[5:6], v3, off
	global_store_b32 v[0:1], v4, off
	s_nop 0
	s_sendmsg sendmsg(MSG_DEALLOC_VGPRS)
	s_endpgm
	.section	.rodata,"a",@progbits
	.p2align	6, 0x0
	.amdhsa_kernel _Z16warp_scan_kernelIiLj63ELj7EENSt9enable_ifIXsr10test_utilsE35device_test_enabled_for_warp_size_vIXT1_EEEvE4typeEPT_S4_S4_S3_
		.amdhsa_group_segment_fixed_size 252
		.amdhsa_private_segment_fixed_size 0
		.amdhsa_kernarg_size 288
		.amdhsa_user_sgpr_count 15
		.amdhsa_user_sgpr_dispatch_ptr 0
		.amdhsa_user_sgpr_queue_ptr 0
		.amdhsa_user_sgpr_kernarg_segment_ptr 1
		.amdhsa_user_sgpr_dispatch_id 0
		.amdhsa_user_sgpr_private_segment_size 0
		.amdhsa_wavefront_size32 1
		.amdhsa_uses_dynamic_stack 0
		.amdhsa_enable_private_segment 0
		.amdhsa_system_sgpr_workgroup_id_x 1
		.amdhsa_system_sgpr_workgroup_id_y 0
		.amdhsa_system_sgpr_workgroup_id_z 0
		.amdhsa_system_sgpr_workgroup_info 0
		.amdhsa_system_vgpr_workitem_id 0
		.amdhsa_next_free_vgpr 7
		.amdhsa_next_free_sgpr 16
		.amdhsa_reserve_vcc 1
		.amdhsa_float_round_mode_32 0
		.amdhsa_float_round_mode_16_64 0
		.amdhsa_float_denorm_mode_32 3
		.amdhsa_float_denorm_mode_16_64 3
		.amdhsa_dx10_clamp 1
		.amdhsa_ieee_mode 1
		.amdhsa_fp16_overflow 0
		.amdhsa_workgroup_processor_mode 1
		.amdhsa_memory_ordered 1
		.amdhsa_forward_progress 0
		.amdhsa_shared_vgpr_count 0
		.amdhsa_exception_fp_ieee_invalid_op 0
		.amdhsa_exception_fp_denorm_src 0
		.amdhsa_exception_fp_ieee_div_zero 0
		.amdhsa_exception_fp_ieee_overflow 0
		.amdhsa_exception_fp_ieee_underflow 0
		.amdhsa_exception_fp_ieee_inexact 0
		.amdhsa_exception_int_div_zero 0
	.end_amdhsa_kernel
	.section	.text._Z16warp_scan_kernelIiLj63ELj7EENSt9enable_ifIXsr10test_utilsE35device_test_enabled_for_warp_size_vIXT1_EEEvE4typeEPT_S4_S4_S3_,"axG",@progbits,_Z16warp_scan_kernelIiLj63ELj7EENSt9enable_ifIXsr10test_utilsE35device_test_enabled_for_warp_size_vIXT1_EEEvE4typeEPT_S4_S4_S3_,comdat
.Lfunc_end241:
	.size	_Z16warp_scan_kernelIiLj63ELj7EENSt9enable_ifIXsr10test_utilsE35device_test_enabled_for_warp_size_vIXT1_EEEvE4typeEPT_S4_S4_S3_, .Lfunc_end241-_Z16warp_scan_kernelIiLj63ELj7EENSt9enable_ifIXsr10test_utilsE35device_test_enabled_for_warp_size_vIXT1_EEEvE4typeEPT_S4_S4_S3_
                                        ; -- End function
	.section	.AMDGPU.csdata,"",@progbits
; Kernel info:
; codeLenInByte = 452
; NumSgprs: 18
; NumVgprs: 7
; ScratchSize: 0
; MemoryBound: 0
; FloatMode: 240
; IeeeMode: 1
; LDSByteSize: 252 bytes/workgroup (compile time only)
; SGPRBlocks: 2
; VGPRBlocks: 0
; NumSGPRsForWavesPerEU: 18
; NumVGPRsForWavesPerEU: 7
; Occupancy: 16
; WaveLimiterHint : 0
; COMPUTE_PGM_RSRC2:SCRATCH_EN: 0
; COMPUTE_PGM_RSRC2:USER_SGPR: 15
; COMPUTE_PGM_RSRC2:TRAP_HANDLER: 0
; COMPUTE_PGM_RSRC2:TGID_X_EN: 1
; COMPUTE_PGM_RSRC2:TGID_Y_EN: 0
; COMPUTE_PGM_RSRC2:TGID_Z_EN: 0
; COMPUTE_PGM_RSRC2:TIDIG_COMP_CNT: 0
	.section	.text._Z16warp_scan_kernelIiLj30ELj3EENSt9enable_ifIXsr10test_utilsE35device_test_enabled_for_warp_size_vIXT1_EEEvE4typeEPT_S4_S4_S3_,"axG",@progbits,_Z16warp_scan_kernelIiLj30ELj3EENSt9enable_ifIXsr10test_utilsE35device_test_enabled_for_warp_size_vIXT1_EEEvE4typeEPT_S4_S4_S3_,comdat
	.protected	_Z16warp_scan_kernelIiLj30ELj3EENSt9enable_ifIXsr10test_utilsE35device_test_enabled_for_warp_size_vIXT1_EEEvE4typeEPT_S4_S4_S3_ ; -- Begin function _Z16warp_scan_kernelIiLj30ELj3EENSt9enable_ifIXsr10test_utilsE35device_test_enabled_for_warp_size_vIXT1_EEEvE4typeEPT_S4_S4_S3_
	.globl	_Z16warp_scan_kernelIiLj30ELj3EENSt9enable_ifIXsr10test_utilsE35device_test_enabled_for_warp_size_vIXT1_EEEvE4typeEPT_S4_S4_S3_
	.p2align	8
	.type	_Z16warp_scan_kernelIiLj30ELj3EENSt9enable_ifIXsr10test_utilsE35device_test_enabled_for_warp_size_vIXT1_EEEvE4typeEPT_S4_S4_S3_,@function
_Z16warp_scan_kernelIiLj30ELj3EENSt9enable_ifIXsr10test_utilsE35device_test_enabled_for_warp_size_vIXT1_EEEvE4typeEPT_S4_S4_S3_: ; @_Z16warp_scan_kernelIiLj30ELj3EENSt9enable_ifIXsr10test_utilsE35device_test_enabled_for_warp_size_vIXT1_EEEvE4typeEPT_S4_S4_S3_
; %bb.0:
	s_clause 0x1
	s_load_b32 s2, s[0:1], 0x2c
	s_load_b128 s[4:7], s[0:1], 0x0
	s_waitcnt lgkmcnt(0)
	s_and_b32 s2, s2, 0xffff
	s_delay_alu instid0(SALU_CYCLE_1) | instskip(SKIP_2) | instid1(VALU_DEP_1)
	v_mad_u64_u32 v[1:2], null, s15, s2, v[0:1]
	v_mov_b32_e32 v2, 0
	v_mul_u32_u24_e32 v0, 0x5556, v0
	v_lshrrev_b32_e32 v0, 16, v0
	s_delay_alu instid0(VALU_DEP_3) | instskip(NEXT) | instid1(VALU_DEP_1)
	v_lshlrev_b64 v[1:2], 2, v[1:2]
	v_add_co_u32 v3, vcc_lo, s4, v1
	s_delay_alu instid0(VALU_DEP_2) | instskip(SKIP_2) | instid1(VALU_DEP_1)
	v_add_co_ci_u32_e32 v4, vcc_lo, s5, v2, vcc_lo
	global_load_b32 v3, v[3:4], off
	v_mbcnt_lo_u32_b32 v4, -1, 0
	v_mul_hi_u32 v5, 0x55555556, v4
	s_delay_alu instid0(VALU_DEP_1) | instskip(NEXT) | instid1(VALU_DEP_1)
	v_mul_u32_u24_e32 v5, 3, v5
	v_sub_nc_u32_e32 v5, v4, v5
	s_delay_alu instid0(VALU_DEP_1) | instskip(SKIP_1) | instid1(VALU_DEP_2)
	v_lshlrev_b32_e32 v4, 2, v5
	v_cmp_ne_u32_e32 vcc_lo, 0, v5
	v_mad_u32_u24 v4, v0, 12, v4
	s_delay_alu instid0(VALU_DEP_1)
	v_add_nc_u32_e32 v0, -4, v4
	s_waitcnt vmcnt(0)
	ds_store_b32 v4, v3
	; wave barrier
	s_and_saveexec_b32 s2, vcc_lo
	s_cbranch_execz .LBB242_2
; %bb.1:
	ds_load_b32 v6, v0
	s_waitcnt lgkmcnt(0)
	v_add_nc_u32_e32 v3, v6, v3
.LBB242_2:
	s_or_b32 exec_lo, exec_lo, s2
	; wave barrier
	s_and_saveexec_b32 s2, vcc_lo
	s_cbranch_execz .LBB242_4
; %bb.3:
	ds_store_b32 v4, v3
.LBB242_4:
	s_or_b32 exec_lo, exec_lo, s2
	s_load_b64 s[4:5], s[0:1], 0x10
	v_cmp_lt_u32_e64 s2, 1, v5
	; wave barrier
	s_delay_alu instid0(VALU_DEP_1)
	s_and_saveexec_b32 s3, s2
	s_cbranch_execz .LBB242_6
; %bb.5:
	v_add_nc_u32_e32 v5, -8, v4
	ds_load_b32 v5, v5
	s_waitcnt lgkmcnt(0)
	v_add_nc_u32_e32 v3, v5, v3
.LBB242_6:
	s_or_b32 exec_lo, exec_lo, s3
	; wave barrier
	s_and_saveexec_b32 s3, s2
	s_cbranch_execz .LBB242_8
; %bb.7:
	ds_store_b32 v4, v3
.LBB242_8:
	s_or_b32 exec_lo, exec_lo, s3
	s_load_b32 s0, s[0:1], 0x18
	; wave barrier
	s_waitcnt lgkmcnt(0)
	v_mov_b32_e32 v4, s0
	s_and_saveexec_b32 s1, vcc_lo
	s_cbranch_execz .LBB242_10
; %bb.9:
	ds_load_b32 v0, v0
	s_waitcnt lgkmcnt(0)
	v_add_nc_u32_e32 v4, s0, v0
.LBB242_10:
	s_or_b32 exec_lo, exec_lo, s1
	v_add_co_u32 v5, vcc_lo, s6, v1
	v_add_co_ci_u32_e32 v6, vcc_lo, s7, v2, vcc_lo
	v_add_co_u32 v0, vcc_lo, s4, v1
	v_add_nc_u32_e32 v3, s0, v3
	v_add_co_ci_u32_e32 v1, vcc_lo, s5, v2, vcc_lo
	global_store_b32 v[5:6], v3, off
	global_store_b32 v[0:1], v4, off
	s_nop 0
	s_sendmsg sendmsg(MSG_DEALLOC_VGPRS)
	s_endpgm
	.section	.rodata,"a",@progbits
	.p2align	6, 0x0
	.amdhsa_kernel _Z16warp_scan_kernelIiLj30ELj3EENSt9enable_ifIXsr10test_utilsE35device_test_enabled_for_warp_size_vIXT1_EEEvE4typeEPT_S4_S4_S3_
		.amdhsa_group_segment_fixed_size 120
		.amdhsa_private_segment_fixed_size 0
		.amdhsa_kernarg_size 288
		.amdhsa_user_sgpr_count 15
		.amdhsa_user_sgpr_dispatch_ptr 0
		.amdhsa_user_sgpr_queue_ptr 0
		.amdhsa_user_sgpr_kernarg_segment_ptr 1
		.amdhsa_user_sgpr_dispatch_id 0
		.amdhsa_user_sgpr_private_segment_size 0
		.amdhsa_wavefront_size32 1
		.amdhsa_uses_dynamic_stack 0
		.amdhsa_enable_private_segment 0
		.amdhsa_system_sgpr_workgroup_id_x 1
		.amdhsa_system_sgpr_workgroup_id_y 0
		.amdhsa_system_sgpr_workgroup_id_z 0
		.amdhsa_system_sgpr_workgroup_info 0
		.amdhsa_system_vgpr_workitem_id 0
		.amdhsa_next_free_vgpr 7
		.amdhsa_next_free_sgpr 16
		.amdhsa_reserve_vcc 1
		.amdhsa_float_round_mode_32 0
		.amdhsa_float_round_mode_16_64 0
		.amdhsa_float_denorm_mode_32 3
		.amdhsa_float_denorm_mode_16_64 3
		.amdhsa_dx10_clamp 1
		.amdhsa_ieee_mode 1
		.amdhsa_fp16_overflow 0
		.amdhsa_workgroup_processor_mode 1
		.amdhsa_memory_ordered 1
		.amdhsa_forward_progress 0
		.amdhsa_shared_vgpr_count 0
		.amdhsa_exception_fp_ieee_invalid_op 0
		.amdhsa_exception_fp_denorm_src 0
		.amdhsa_exception_fp_ieee_div_zero 0
		.amdhsa_exception_fp_ieee_overflow 0
		.amdhsa_exception_fp_ieee_underflow 0
		.amdhsa_exception_fp_ieee_inexact 0
		.amdhsa_exception_int_div_zero 0
	.end_amdhsa_kernel
	.section	.text._Z16warp_scan_kernelIiLj30ELj3EENSt9enable_ifIXsr10test_utilsE35device_test_enabled_for_warp_size_vIXT1_EEEvE4typeEPT_S4_S4_S3_,"axG",@progbits,_Z16warp_scan_kernelIiLj30ELj3EENSt9enable_ifIXsr10test_utilsE35device_test_enabled_for_warp_size_vIXT1_EEEvE4typeEPT_S4_S4_S3_,comdat
.Lfunc_end242:
	.size	_Z16warp_scan_kernelIiLj30ELj3EENSt9enable_ifIXsr10test_utilsE35device_test_enabled_for_warp_size_vIXT1_EEEvE4typeEPT_S4_S4_S3_, .Lfunc_end242-_Z16warp_scan_kernelIiLj30ELj3EENSt9enable_ifIXsr10test_utilsE35device_test_enabled_for_warp_size_vIXT1_EEEvE4typeEPT_S4_S4_S3_
                                        ; -- End function
	.section	.AMDGPU.csdata,"",@progbits
; Kernel info:
; codeLenInByte = 388
; NumSgprs: 18
; NumVgprs: 7
; ScratchSize: 0
; MemoryBound: 0
; FloatMode: 240
; IeeeMode: 1
; LDSByteSize: 120 bytes/workgroup (compile time only)
; SGPRBlocks: 2
; VGPRBlocks: 0
; NumSGPRsForWavesPerEU: 18
; NumVGPRsForWavesPerEU: 7
; Occupancy: 16
; WaveLimiterHint : 0
; COMPUTE_PGM_RSRC2:SCRATCH_EN: 0
; COMPUTE_PGM_RSRC2:USER_SGPR: 15
; COMPUTE_PGM_RSRC2:TRAP_HANDLER: 0
; COMPUTE_PGM_RSRC2:TGID_X_EN: 1
; COMPUTE_PGM_RSRC2:TGID_Y_EN: 0
; COMPUTE_PGM_RSRC2:TGID_Z_EN: 0
; COMPUTE_PGM_RSRC2:TIDIG_COMP_CNT: 0
	.section	.text._Z16warp_scan_kernelIiLj63ELj3EENSt9enable_ifIXsr10test_utilsE35device_test_enabled_for_warp_size_vIXT1_EEEvE4typeEPT_S4_S4_S3_,"axG",@progbits,_Z16warp_scan_kernelIiLj63ELj3EENSt9enable_ifIXsr10test_utilsE35device_test_enabled_for_warp_size_vIXT1_EEEvE4typeEPT_S4_S4_S3_,comdat
	.protected	_Z16warp_scan_kernelIiLj63ELj3EENSt9enable_ifIXsr10test_utilsE35device_test_enabled_for_warp_size_vIXT1_EEEvE4typeEPT_S4_S4_S3_ ; -- Begin function _Z16warp_scan_kernelIiLj63ELj3EENSt9enable_ifIXsr10test_utilsE35device_test_enabled_for_warp_size_vIXT1_EEEvE4typeEPT_S4_S4_S3_
	.globl	_Z16warp_scan_kernelIiLj63ELj3EENSt9enable_ifIXsr10test_utilsE35device_test_enabled_for_warp_size_vIXT1_EEEvE4typeEPT_S4_S4_S3_
	.p2align	8
	.type	_Z16warp_scan_kernelIiLj63ELj3EENSt9enable_ifIXsr10test_utilsE35device_test_enabled_for_warp_size_vIXT1_EEEvE4typeEPT_S4_S4_S3_,@function
_Z16warp_scan_kernelIiLj63ELj3EENSt9enable_ifIXsr10test_utilsE35device_test_enabled_for_warp_size_vIXT1_EEEvE4typeEPT_S4_S4_S3_: ; @_Z16warp_scan_kernelIiLj63ELj3EENSt9enable_ifIXsr10test_utilsE35device_test_enabled_for_warp_size_vIXT1_EEEvE4typeEPT_S4_S4_S3_
; %bb.0:
	s_clause 0x1
	s_load_b32 s2, s[0:1], 0x2c
	s_load_b128 s[4:7], s[0:1], 0x0
	s_waitcnt lgkmcnt(0)
	s_and_b32 s2, s2, 0xffff
	s_delay_alu instid0(SALU_CYCLE_1) | instskip(SKIP_2) | instid1(VALU_DEP_1)
	v_mad_u64_u32 v[1:2], null, s15, s2, v[0:1]
	v_mov_b32_e32 v2, 0
	v_mul_u32_u24_e32 v0, 0x5556, v0
	v_lshrrev_b32_e32 v0, 16, v0
	s_delay_alu instid0(VALU_DEP_3) | instskip(NEXT) | instid1(VALU_DEP_1)
	v_lshlrev_b64 v[1:2], 2, v[1:2]
	v_add_co_u32 v3, vcc_lo, s4, v1
	s_delay_alu instid0(VALU_DEP_2) | instskip(SKIP_2) | instid1(VALU_DEP_1)
	v_add_co_ci_u32_e32 v4, vcc_lo, s5, v2, vcc_lo
	global_load_b32 v3, v[3:4], off
	v_mbcnt_lo_u32_b32 v4, -1, 0
	v_mul_hi_u32 v5, 0x55555556, v4
	s_delay_alu instid0(VALU_DEP_1) | instskip(NEXT) | instid1(VALU_DEP_1)
	v_mul_u32_u24_e32 v5, 3, v5
	v_sub_nc_u32_e32 v5, v4, v5
	s_delay_alu instid0(VALU_DEP_1) | instskip(SKIP_1) | instid1(VALU_DEP_2)
	v_lshlrev_b32_e32 v4, 2, v5
	v_cmp_ne_u32_e32 vcc_lo, 0, v5
	v_mad_u32_u24 v4, v0, 12, v4
	s_delay_alu instid0(VALU_DEP_1)
	v_add_nc_u32_e32 v0, -4, v4
	s_waitcnt vmcnt(0)
	ds_store_b32 v4, v3
	; wave barrier
	s_and_saveexec_b32 s2, vcc_lo
	s_cbranch_execz .LBB243_2
; %bb.1:
	ds_load_b32 v6, v0
	s_waitcnt lgkmcnt(0)
	v_add_nc_u32_e32 v3, v6, v3
.LBB243_2:
	s_or_b32 exec_lo, exec_lo, s2
	; wave barrier
	s_and_saveexec_b32 s2, vcc_lo
	s_cbranch_execz .LBB243_4
; %bb.3:
	ds_store_b32 v4, v3
.LBB243_4:
	s_or_b32 exec_lo, exec_lo, s2
	s_load_b64 s[4:5], s[0:1], 0x10
	v_cmp_lt_u32_e64 s2, 1, v5
	; wave barrier
	s_delay_alu instid0(VALU_DEP_1)
	s_and_saveexec_b32 s3, s2
	s_cbranch_execz .LBB243_6
; %bb.5:
	v_add_nc_u32_e32 v5, -8, v4
	ds_load_b32 v5, v5
	s_waitcnt lgkmcnt(0)
	v_add_nc_u32_e32 v3, v5, v3
.LBB243_6:
	s_or_b32 exec_lo, exec_lo, s3
	; wave barrier
	s_and_saveexec_b32 s3, s2
	s_cbranch_execz .LBB243_8
; %bb.7:
	ds_store_b32 v4, v3
.LBB243_8:
	s_or_b32 exec_lo, exec_lo, s3
	s_load_b32 s0, s[0:1], 0x18
	; wave barrier
	s_waitcnt lgkmcnt(0)
	v_mov_b32_e32 v4, s0
	s_and_saveexec_b32 s1, vcc_lo
	s_cbranch_execz .LBB243_10
; %bb.9:
	ds_load_b32 v0, v0
	s_waitcnt lgkmcnt(0)
	v_add_nc_u32_e32 v4, s0, v0
.LBB243_10:
	s_or_b32 exec_lo, exec_lo, s1
	v_add_co_u32 v5, vcc_lo, s6, v1
	v_add_co_ci_u32_e32 v6, vcc_lo, s7, v2, vcc_lo
	v_add_co_u32 v0, vcc_lo, s4, v1
	v_add_nc_u32_e32 v3, s0, v3
	v_add_co_ci_u32_e32 v1, vcc_lo, s5, v2, vcc_lo
	global_store_b32 v[5:6], v3, off
	global_store_b32 v[0:1], v4, off
	s_nop 0
	s_sendmsg sendmsg(MSG_DEALLOC_VGPRS)
	s_endpgm
	.section	.rodata,"a",@progbits
	.p2align	6, 0x0
	.amdhsa_kernel _Z16warp_scan_kernelIiLj63ELj3EENSt9enable_ifIXsr10test_utilsE35device_test_enabled_for_warp_size_vIXT1_EEEvE4typeEPT_S4_S4_S3_
		.amdhsa_group_segment_fixed_size 252
		.amdhsa_private_segment_fixed_size 0
		.amdhsa_kernarg_size 288
		.amdhsa_user_sgpr_count 15
		.amdhsa_user_sgpr_dispatch_ptr 0
		.amdhsa_user_sgpr_queue_ptr 0
		.amdhsa_user_sgpr_kernarg_segment_ptr 1
		.amdhsa_user_sgpr_dispatch_id 0
		.amdhsa_user_sgpr_private_segment_size 0
		.amdhsa_wavefront_size32 1
		.amdhsa_uses_dynamic_stack 0
		.amdhsa_enable_private_segment 0
		.amdhsa_system_sgpr_workgroup_id_x 1
		.amdhsa_system_sgpr_workgroup_id_y 0
		.amdhsa_system_sgpr_workgroup_id_z 0
		.amdhsa_system_sgpr_workgroup_info 0
		.amdhsa_system_vgpr_workitem_id 0
		.amdhsa_next_free_vgpr 7
		.amdhsa_next_free_sgpr 16
		.amdhsa_reserve_vcc 1
		.amdhsa_float_round_mode_32 0
		.amdhsa_float_round_mode_16_64 0
		.amdhsa_float_denorm_mode_32 3
		.amdhsa_float_denorm_mode_16_64 3
		.amdhsa_dx10_clamp 1
		.amdhsa_ieee_mode 1
		.amdhsa_fp16_overflow 0
		.amdhsa_workgroup_processor_mode 1
		.amdhsa_memory_ordered 1
		.amdhsa_forward_progress 0
		.amdhsa_shared_vgpr_count 0
		.amdhsa_exception_fp_ieee_invalid_op 0
		.amdhsa_exception_fp_denorm_src 0
		.amdhsa_exception_fp_ieee_div_zero 0
		.amdhsa_exception_fp_ieee_overflow 0
		.amdhsa_exception_fp_ieee_underflow 0
		.amdhsa_exception_fp_ieee_inexact 0
		.amdhsa_exception_int_div_zero 0
	.end_amdhsa_kernel
	.section	.text._Z16warp_scan_kernelIiLj63ELj3EENSt9enable_ifIXsr10test_utilsE35device_test_enabled_for_warp_size_vIXT1_EEEvE4typeEPT_S4_S4_S3_,"axG",@progbits,_Z16warp_scan_kernelIiLj63ELj3EENSt9enable_ifIXsr10test_utilsE35device_test_enabled_for_warp_size_vIXT1_EEEvE4typeEPT_S4_S4_S3_,comdat
.Lfunc_end243:
	.size	_Z16warp_scan_kernelIiLj63ELj3EENSt9enable_ifIXsr10test_utilsE35device_test_enabled_for_warp_size_vIXT1_EEEvE4typeEPT_S4_S4_S3_, .Lfunc_end243-_Z16warp_scan_kernelIiLj63ELj3EENSt9enable_ifIXsr10test_utilsE35device_test_enabled_for_warp_size_vIXT1_EEEvE4typeEPT_S4_S4_S3_
                                        ; -- End function
	.section	.AMDGPU.csdata,"",@progbits
; Kernel info:
; codeLenInByte = 388
; NumSgprs: 18
; NumVgprs: 7
; ScratchSize: 0
; MemoryBound: 0
; FloatMode: 240
; IeeeMode: 1
; LDSByteSize: 252 bytes/workgroup (compile time only)
; SGPRBlocks: 2
; VGPRBlocks: 0
; NumSGPRsForWavesPerEU: 18
; NumVGPRsForWavesPerEU: 7
; Occupancy: 16
; WaveLimiterHint : 0
; COMPUTE_PGM_RSRC2:SCRATCH_EN: 0
; COMPUTE_PGM_RSRC2:USER_SGPR: 15
; COMPUTE_PGM_RSRC2:TRAP_HANDLER: 0
; COMPUTE_PGM_RSRC2:TGID_X_EN: 1
; COMPUTE_PGM_RSRC2:TGID_Y_EN: 0
; COMPUTE_PGM_RSRC2:TGID_Z_EN: 0
; COMPUTE_PGM_RSRC2:TIDIG_COMP_CNT: 0
	.section	.text._Z16warp_scan_kernelI12hip_bfloat16Lj256ELj64EENSt9enable_ifIXntsr10test_utilsE35device_test_enabled_for_warp_size_vIXT1_EEEvE4typeEPT_S5_S5_S4_,"axG",@progbits,_Z16warp_scan_kernelI12hip_bfloat16Lj256ELj64EENSt9enable_ifIXntsr10test_utilsE35device_test_enabled_for_warp_size_vIXT1_EEEvE4typeEPT_S5_S5_S4_,comdat
	.protected	_Z16warp_scan_kernelI12hip_bfloat16Lj256ELj64EENSt9enable_ifIXntsr10test_utilsE35device_test_enabled_for_warp_size_vIXT1_EEEvE4typeEPT_S5_S5_S4_ ; -- Begin function _Z16warp_scan_kernelI12hip_bfloat16Lj256ELj64EENSt9enable_ifIXntsr10test_utilsE35device_test_enabled_for_warp_size_vIXT1_EEEvE4typeEPT_S5_S5_S4_
	.globl	_Z16warp_scan_kernelI12hip_bfloat16Lj256ELj64EENSt9enable_ifIXntsr10test_utilsE35device_test_enabled_for_warp_size_vIXT1_EEEvE4typeEPT_S5_S5_S4_
	.p2align	8
	.type	_Z16warp_scan_kernelI12hip_bfloat16Lj256ELj64EENSt9enable_ifIXntsr10test_utilsE35device_test_enabled_for_warp_size_vIXT1_EEEvE4typeEPT_S5_S5_S4_,@function
_Z16warp_scan_kernelI12hip_bfloat16Lj256ELj64EENSt9enable_ifIXntsr10test_utilsE35device_test_enabled_for_warp_size_vIXT1_EEEvE4typeEPT_S5_S5_S4_: ; @_Z16warp_scan_kernelI12hip_bfloat16Lj256ELj64EENSt9enable_ifIXntsr10test_utilsE35device_test_enabled_for_warp_size_vIXT1_EEEvE4typeEPT_S5_S5_S4_
; %bb.0:
	s_endpgm
	.section	.rodata,"a",@progbits
	.p2align	6, 0x0
	.amdhsa_kernel _Z16warp_scan_kernelI12hip_bfloat16Lj256ELj64EENSt9enable_ifIXntsr10test_utilsE35device_test_enabled_for_warp_size_vIXT1_EEEvE4typeEPT_S5_S5_S4_
		.amdhsa_group_segment_fixed_size 0
		.amdhsa_private_segment_fixed_size 0
		.amdhsa_kernarg_size 28
		.amdhsa_user_sgpr_count 15
		.amdhsa_user_sgpr_dispatch_ptr 0
		.amdhsa_user_sgpr_queue_ptr 0
		.amdhsa_user_sgpr_kernarg_segment_ptr 1
		.amdhsa_user_sgpr_dispatch_id 0
		.amdhsa_user_sgpr_private_segment_size 0
		.amdhsa_wavefront_size32 1
		.amdhsa_uses_dynamic_stack 0
		.amdhsa_enable_private_segment 0
		.amdhsa_system_sgpr_workgroup_id_x 1
		.amdhsa_system_sgpr_workgroup_id_y 0
		.amdhsa_system_sgpr_workgroup_id_z 0
		.amdhsa_system_sgpr_workgroup_info 0
		.amdhsa_system_vgpr_workitem_id 0
		.amdhsa_next_free_vgpr 1
		.amdhsa_next_free_sgpr 1
		.amdhsa_reserve_vcc 0
		.amdhsa_float_round_mode_32 0
		.amdhsa_float_round_mode_16_64 0
		.amdhsa_float_denorm_mode_32 3
		.amdhsa_float_denorm_mode_16_64 3
		.amdhsa_dx10_clamp 1
		.amdhsa_ieee_mode 1
		.amdhsa_fp16_overflow 0
		.amdhsa_workgroup_processor_mode 1
		.amdhsa_memory_ordered 1
		.amdhsa_forward_progress 0
		.amdhsa_shared_vgpr_count 0
		.amdhsa_exception_fp_ieee_invalid_op 0
		.amdhsa_exception_fp_denorm_src 0
		.amdhsa_exception_fp_ieee_div_zero 0
		.amdhsa_exception_fp_ieee_overflow 0
		.amdhsa_exception_fp_ieee_underflow 0
		.amdhsa_exception_fp_ieee_inexact 0
		.amdhsa_exception_int_div_zero 0
	.end_amdhsa_kernel
	.section	.text._Z16warp_scan_kernelI12hip_bfloat16Lj256ELj64EENSt9enable_ifIXntsr10test_utilsE35device_test_enabled_for_warp_size_vIXT1_EEEvE4typeEPT_S5_S5_S4_,"axG",@progbits,_Z16warp_scan_kernelI12hip_bfloat16Lj256ELj64EENSt9enable_ifIXntsr10test_utilsE35device_test_enabled_for_warp_size_vIXT1_EEEvE4typeEPT_S5_S5_S4_,comdat
.Lfunc_end244:
	.size	_Z16warp_scan_kernelI12hip_bfloat16Lj256ELj64EENSt9enable_ifIXntsr10test_utilsE35device_test_enabled_for_warp_size_vIXT1_EEEvE4typeEPT_S5_S5_S4_, .Lfunc_end244-_Z16warp_scan_kernelI12hip_bfloat16Lj256ELj64EENSt9enable_ifIXntsr10test_utilsE35device_test_enabled_for_warp_size_vIXT1_EEEvE4typeEPT_S5_S5_S4_
                                        ; -- End function
	.section	.AMDGPU.csdata,"",@progbits
; Kernel info:
; codeLenInByte = 4
; NumSgprs: 0
; NumVgprs: 0
; ScratchSize: 0
; MemoryBound: 0
; FloatMode: 240
; IeeeMode: 1
; LDSByteSize: 0 bytes/workgroup (compile time only)
; SGPRBlocks: 0
; VGPRBlocks: 0
; NumSGPRsForWavesPerEU: 1
; NumVGPRsForWavesPerEU: 1
; Occupancy: 16
; WaveLimiterHint : 0
; COMPUTE_PGM_RSRC2:SCRATCH_EN: 0
; COMPUTE_PGM_RSRC2:USER_SGPR: 15
; COMPUTE_PGM_RSRC2:TRAP_HANDLER: 0
; COMPUTE_PGM_RSRC2:TGID_X_EN: 1
; COMPUTE_PGM_RSRC2:TGID_Y_EN: 0
; COMPUTE_PGM_RSRC2:TGID_Z_EN: 0
; COMPUTE_PGM_RSRC2:TIDIG_COMP_CNT: 0
	.section	.text._Z16warp_scan_kernelI12hip_bfloat16Lj128ELj32EENSt9enable_ifIXsr10test_utilsE35device_test_enabled_for_warp_size_vIXT1_EEEvE4typeEPT_S5_S5_S4_,"axG",@progbits,_Z16warp_scan_kernelI12hip_bfloat16Lj128ELj32EENSt9enable_ifIXsr10test_utilsE35device_test_enabled_for_warp_size_vIXT1_EEEvE4typeEPT_S5_S5_S4_,comdat
	.protected	_Z16warp_scan_kernelI12hip_bfloat16Lj128ELj32EENSt9enable_ifIXsr10test_utilsE35device_test_enabled_for_warp_size_vIXT1_EEEvE4typeEPT_S5_S5_S4_ ; -- Begin function _Z16warp_scan_kernelI12hip_bfloat16Lj128ELj32EENSt9enable_ifIXsr10test_utilsE35device_test_enabled_for_warp_size_vIXT1_EEEvE4typeEPT_S5_S5_S4_
	.globl	_Z16warp_scan_kernelI12hip_bfloat16Lj128ELj32EENSt9enable_ifIXsr10test_utilsE35device_test_enabled_for_warp_size_vIXT1_EEEvE4typeEPT_S5_S5_S4_
	.p2align	8
	.type	_Z16warp_scan_kernelI12hip_bfloat16Lj128ELj32EENSt9enable_ifIXsr10test_utilsE35device_test_enabled_for_warp_size_vIXT1_EEEvE4typeEPT_S5_S5_S4_,@function
_Z16warp_scan_kernelI12hip_bfloat16Lj128ELj32EENSt9enable_ifIXsr10test_utilsE35device_test_enabled_for_warp_size_vIXT1_EEEvE4typeEPT_S5_S5_S4_: ; @_Z16warp_scan_kernelI12hip_bfloat16Lj128ELj32EENSt9enable_ifIXsr10test_utilsE35device_test_enabled_for_warp_size_vIXT1_EEEvE4typeEPT_S5_S5_S4_
; %bb.0:
	s_clause 0x1
	s_load_b32 s2, s[0:1], 0x2c
	s_load_b128 s[4:7], s[0:1], 0x0
                                        ; implicit-def: $vgpr6
	s_waitcnt lgkmcnt(0)
	s_and_b32 s2, s2, 0xffff
	s_delay_alu instid0(SALU_CYCLE_1) | instskip(SKIP_2) | instid1(VALU_DEP_1)
	v_mad_u64_u32 v[1:2], null, s15, s2, v[0:1]
	v_mov_b32_e32 v2, 0
	s_mov_b32 s2, exec_lo
	v_lshlrev_b64 v[0:1], 1, v[1:2]
	s_delay_alu instid0(VALU_DEP_1) | instskip(NEXT) | instid1(VALU_DEP_2)
	v_add_co_u32 v2, vcc_lo, s4, v0
	v_add_co_ci_u32_e32 v3, vcc_lo, s5, v1, vcc_lo
	global_load_u16 v4, v[2:3], off
	s_waitcnt vmcnt(0)
	v_lshlrev_b32_e32 v5, 16, v4
	v_mov_b32_dpp v2, v4 row_shr:1 row_mask:0xf bank_mask:0xf
	s_delay_alu instid0(VALU_DEP_1) | instskip(NEXT) | instid1(VALU_DEP_1)
	v_lshlrev_b32_e32 v2, 16, v2
	v_add_f32_e32 v2, v5, v2
	s_delay_alu instid0(VALU_DEP_1) | instskip(NEXT) | instid1(VALU_DEP_1)
	v_and_b32_e32 v3, 0x7f800000, v2
	v_cmpx_ne_u32_e32 0x7f800000, v3
	s_xor_b32 s2, exec_lo, s2
; %bb.1:
	v_bfe_u32 v3, v2, 16, 1
	s_delay_alu instid0(VALU_DEP_1)
	v_add3_u32 v6, v2, v3, 0x7fff
                                        ; implicit-def: $vgpr2
; %bb.2:
	s_and_not1_saveexec_b32 s2, s2
; %bb.3:
	v_and_b32_e32 v3, 0xffff, v2
	v_or_b32_e32 v6, 0x10000, v2
	s_delay_alu instid0(VALU_DEP_2) | instskip(NEXT) | instid1(VALU_DEP_2)
	v_cmp_eq_u32_e32 vcc_lo, 0, v3
	v_cndmask_b32_e32 v6, v6, v2, vcc_lo
; %bb.4:
	s_or_b32 exec_lo, exec_lo, s2
	v_mbcnt_lo_u32_b32 v2, -1, 0
	s_delay_alu instid0(VALU_DEP_2) | instskip(SKIP_1) | instid1(VALU_DEP_3)
	v_and_b32_e32 v7, 0xffff0000, v6
	v_lshrrev_b32_e32 v6, 16, v6
	v_and_b32_e32 v3, 15, v2
	s_delay_alu instid0(VALU_DEP_1) | instskip(NEXT) | instid1(VALU_DEP_3)
	v_cmp_eq_u32_e32 vcc_lo, 0, v3
	v_cndmask_b32_e32 v4, v6, v4, vcc_lo
	s_delay_alu instid0(VALU_DEP_1) | instskip(NEXT) | instid1(VALU_DEP_1)
	v_mov_b32_dpp v6, v4 row_shr:2 row_mask:0xf bank_mask:0xf
	v_dual_cndmask_b32 v5, v7, v5 :: v_dual_lshlrev_b32 v6, 16, v6
	s_delay_alu instid0(VALU_DEP_1) | instskip(NEXT) | instid1(VALU_DEP_1)
	v_add_f32_e32 v6, v5, v6
	v_and_b32_e32 v7, 0x7f800000, v6
	s_delay_alu instid0(VALU_DEP_1) | instskip(SKIP_1) | instid1(SALU_CYCLE_1)
	v_cmp_ne_u32_e32 vcc_lo, 0x7f800000, v7
                                        ; implicit-def: $vgpr7
	s_and_saveexec_b32 s2, vcc_lo
	s_xor_b32 s2, exec_lo, s2
; %bb.5:
	v_bfe_u32 v7, v6, 16, 1
	s_delay_alu instid0(VALU_DEP_1)
	v_add3_u32 v7, v6, v7, 0x7fff
                                        ; implicit-def: $vgpr6
; %bb.6:
	s_and_not1_saveexec_b32 s2, s2
; %bb.7:
	v_and_b32_e32 v7, 0xffff, v6
	v_or_b32_e32 v8, 0x10000, v6
	s_delay_alu instid0(VALU_DEP_2) | instskip(NEXT) | instid1(VALU_DEP_2)
	v_cmp_eq_u32_e32 vcc_lo, 0, v7
	v_cndmask_b32_e32 v7, v8, v6, vcc_lo
; %bb.8:
	s_or_b32 exec_lo, exec_lo, s2
	s_delay_alu instid0(VALU_DEP_1) | instskip(SKIP_2) | instid1(VALU_DEP_2)
	v_and_b32_e32 v6, 0xffff0000, v7
	v_lshrrev_b32_e32 v7, 16, v7
	v_cmp_lt_u32_e32 vcc_lo, 1, v3
	v_dual_cndmask_b32 v5, v5, v6 :: v_dual_cndmask_b32 v4, v4, v7
	s_delay_alu instid0(VALU_DEP_1) | instskip(NEXT) | instid1(VALU_DEP_1)
	v_mov_b32_dpp v6, v4 row_shr:4 row_mask:0xf bank_mask:0xf
	v_lshlrev_b32_e32 v6, 16, v6
	s_delay_alu instid0(VALU_DEP_1) | instskip(NEXT) | instid1(VALU_DEP_1)
	v_add_f32_e32 v6, v5, v6
	v_and_b32_e32 v7, 0x7f800000, v6
	s_delay_alu instid0(VALU_DEP_1) | instskip(SKIP_1) | instid1(SALU_CYCLE_1)
	v_cmp_ne_u32_e32 vcc_lo, 0x7f800000, v7
                                        ; implicit-def: $vgpr7
	s_and_saveexec_b32 s2, vcc_lo
	s_xor_b32 s2, exec_lo, s2
; %bb.9:
	v_bfe_u32 v7, v6, 16, 1
	s_delay_alu instid0(VALU_DEP_1)
	v_add3_u32 v7, v6, v7, 0x7fff
                                        ; implicit-def: $vgpr6
; %bb.10:
	s_and_not1_saveexec_b32 s2, s2
; %bb.11:
	v_and_b32_e32 v7, 0xffff, v6
	v_or_b32_e32 v8, 0x10000, v6
	s_delay_alu instid0(VALU_DEP_2) | instskip(NEXT) | instid1(VALU_DEP_2)
	v_cmp_eq_u32_e32 vcc_lo, 0, v7
	v_cndmask_b32_e32 v7, v8, v6, vcc_lo
; %bb.12:
	s_or_b32 exec_lo, exec_lo, s2
	s_delay_alu instid0(VALU_DEP_1) | instskip(SKIP_2) | instid1(VALU_DEP_2)
	v_and_b32_e32 v6, 0xffff0000, v7
	v_lshrrev_b32_e32 v7, 16, v7
	v_cmp_lt_u32_e32 vcc_lo, 3, v3
	v_dual_cndmask_b32 v5, v5, v6 :: v_dual_cndmask_b32 v4, v4, v7
	s_delay_alu instid0(VALU_DEP_1) | instskip(NEXT) | instid1(VALU_DEP_1)
	v_mov_b32_dpp v6, v4 row_shr:8 row_mask:0xf bank_mask:0xf
	v_lshlrev_b32_e32 v6, 16, v6
	s_delay_alu instid0(VALU_DEP_1) | instskip(NEXT) | instid1(VALU_DEP_1)
	v_add_f32_e32 v6, v5, v6
	v_and_b32_e32 v7, 0x7f800000, v6
	s_delay_alu instid0(VALU_DEP_1) | instskip(SKIP_1) | instid1(SALU_CYCLE_1)
	v_cmp_ne_u32_e32 vcc_lo, 0x7f800000, v7
                                        ; implicit-def: $vgpr7
	s_and_saveexec_b32 s2, vcc_lo
	s_xor_b32 s2, exec_lo, s2
; %bb.13:
	v_bfe_u32 v7, v6, 16, 1
	s_delay_alu instid0(VALU_DEP_1)
	v_add3_u32 v7, v6, v7, 0x7fff
                                        ; implicit-def: $vgpr6
; %bb.14:
	s_and_not1_saveexec_b32 s2, s2
; %bb.15:
	v_and_b32_e32 v7, 0xffff, v6
	v_or_b32_e32 v8, 0x10000, v6
	s_delay_alu instid0(VALU_DEP_2) | instskip(NEXT) | instid1(VALU_DEP_2)
	v_cmp_eq_u32_e32 vcc_lo, 0, v7
	v_cndmask_b32_e32 v7, v8, v6, vcc_lo
; %bb.16:
	s_or_b32 exec_lo, exec_lo, s2
	s_delay_alu instid0(VALU_DEP_1) | instskip(SKIP_2) | instid1(VALU_DEP_2)
	v_and_b32_e32 v6, 0xffff0000, v7
	v_lshrrev_b32_e32 v7, 16, v7
	v_cmp_lt_u32_e32 vcc_lo, 7, v3
	v_cndmask_b32_e32 v3, v4, v7, vcc_lo
	ds_swizzle_b32 v4, v3 offset:swizzle(BROADCAST,32,15)
	s_waitcnt lgkmcnt(0)
	v_dual_cndmask_b32 v5, v5, v6 :: v_dual_lshlrev_b32 v4, 16, v4
	s_delay_alu instid0(VALU_DEP_1) | instskip(NEXT) | instid1(VALU_DEP_1)
	v_add_f32_e32 v4, v5, v4
	v_and_b32_e32 v5, 0x7f800000, v4
	s_delay_alu instid0(VALU_DEP_1) | instskip(SKIP_1) | instid1(SALU_CYCLE_1)
	v_cmp_ne_u32_e32 vcc_lo, 0x7f800000, v5
                                        ; implicit-def: $vgpr5
	s_and_saveexec_b32 s2, vcc_lo
	s_xor_b32 s2, exec_lo, s2
; %bb.17:
	v_bfe_u32 v5, v4, 16, 1
	s_delay_alu instid0(VALU_DEP_1)
	v_add3_u32 v5, v4, v5, 0x7fff
                                        ; implicit-def: $vgpr4
; %bb.18:
	s_and_not1_saveexec_b32 s2, s2
; %bb.19:
	v_and_b32_e32 v5, 0xffff, v4
	v_or_b32_e32 v6, 0x10000, v4
	s_delay_alu instid0(VALU_DEP_2) | instskip(NEXT) | instid1(VALU_DEP_2)
	v_cmp_eq_u32_e32 vcc_lo, 0, v5
	v_cndmask_b32_e32 v5, v6, v4, vcc_lo
; %bb.20:
	s_or_b32 exec_lo, exec_lo, s2
	s_load_b32 s4, s[0:1], 0x18
	s_delay_alu instid0(VALU_DEP_1) | instskip(SKIP_1) | instid1(VALU_DEP_1)
	v_lshrrev_b32_e32 v5, 16, v5
	v_and_b32_e32 v4, 16, v2
                                        ; implicit-def: $vgpr7
	v_cmp_eq_u32_e32 vcc_lo, 0, v4
	s_delay_alu instid0(VALU_DEP_3) | instskip(NEXT) | instid1(VALU_DEP_1)
	v_cndmask_b32_e32 v3, v5, v3, vcc_lo
	v_lshlrev_b32_e32 v3, 16, v3
	s_waitcnt lgkmcnt(0)
	s_lshl_b32 s2, s4, 16
	s_delay_alu instid0(VALU_DEP_1) | instid1(SALU_CYCLE_1)
	v_add_f32_e32 v4, s2, v3
	s_delay_alu instid0(VALU_DEP_1) | instskip(SKIP_1) | instid1(VALU_DEP_2)
	v_and_b32_e32 v3, 0x7f800000, v4
	v_bfe_u32 v5, v4, 16, 1
	v_cmp_ne_u32_e32 vcc_lo, 0x7f800000, v3
	s_delay_alu instid0(VALU_DEP_2) | instskip(SKIP_1) | instid1(SALU_CYCLE_1)
	v_add3_u32 v3, v4, v5, 0x7fff
	s_and_saveexec_b32 s2, vcc_lo
	s_xor_b32 s2, exec_lo, s2
; %bb.21:
	v_add3_u32 v7, v4, v5, 0x7fff
; %bb.22:
	s_or_saveexec_b32 s5, s2
	s_load_b64 s[2:3], s[0:1], 0x10
	v_and_b32_e32 v5, 0xffff, v4
	v_or_b32_e32 v6, 0x10000, v4
	s_xor_b32 exec_lo, exec_lo, s5
; %bb.23:
	s_delay_alu instid0(VALU_DEP_2) | instskip(NEXT) | instid1(VALU_DEP_1)
	v_cmp_eq_u32_e64 s0, 0, v5
	v_cndmask_b32_e64 v7, v6, v4, s0
; %bb.24:
	s_or_b32 exec_lo, exec_lo, s5
	v_add_nc_u32_e32 v8, -1, v2
	s_delay_alu instid0(VALU_DEP_2) | instskip(NEXT) | instid1(VALU_DEP_2)
	v_lshrrev_b32_e32 v7, 16, v7
	v_cmp_gt_i32_e64 s0, 0, v8
	s_delay_alu instid0(VALU_DEP_1) | instskip(NEXT) | instid1(VALU_DEP_1)
	v_cndmask_b32_e64 v8, v8, v2, s0
	v_lshlrev_b32_e32 v8, 2, v8
	ds_bpermute_b32 v7, v8, v7
	s_and_saveexec_b32 s0, vcc_lo
	s_delay_alu instid0(SALU_CYCLE_1)
	s_xor_b32 s0, exec_lo, s0
; %bb.25:
                                        ; implicit-def: $vgpr5
                                        ; implicit-def: $vgpr6
                                        ; implicit-def: $vgpr4
; %bb.26:
	s_delay_alu instid0(SALU_CYCLE_1)
	s_and_not1_saveexec_b32 s0, s0
; %bb.27:
	v_cmp_eq_u32_e32 vcc_lo, 0, v5
	v_cndmask_b32_e32 v3, v6, v4, vcc_lo
; %bb.28:
	s_or_b32 exec_lo, exec_lo, s0
	v_cmp_eq_u32_e32 vcc_lo, 0, v2
	s_waitcnt lgkmcnt(0)
	v_cndmask_b32_e64 v2, v7, s4, vcc_lo
	v_add_co_u32 v4, vcc_lo, s6, v0
	v_add_co_ci_u32_e32 v5, vcc_lo, s7, v1, vcc_lo
	v_add_co_u32 v0, vcc_lo, s2, v0
	v_add_co_ci_u32_e32 v1, vcc_lo, s3, v1, vcc_lo
	global_store_d16_hi_b16 v[4:5], v3, off
	global_store_b16 v[0:1], v2, off
	s_nop 0
	s_sendmsg sendmsg(MSG_DEALLOC_VGPRS)
	s_endpgm
	.section	.rodata,"a",@progbits
	.p2align	6, 0x0
	.amdhsa_kernel _Z16warp_scan_kernelI12hip_bfloat16Lj128ELj32EENSt9enable_ifIXsr10test_utilsE35device_test_enabled_for_warp_size_vIXT1_EEEvE4typeEPT_S5_S5_S4_
		.amdhsa_group_segment_fixed_size 0
		.amdhsa_private_segment_fixed_size 0
		.amdhsa_kernarg_size 288
		.amdhsa_user_sgpr_count 15
		.amdhsa_user_sgpr_dispatch_ptr 0
		.amdhsa_user_sgpr_queue_ptr 0
		.amdhsa_user_sgpr_kernarg_segment_ptr 1
		.amdhsa_user_sgpr_dispatch_id 0
		.amdhsa_user_sgpr_private_segment_size 0
		.amdhsa_wavefront_size32 1
		.amdhsa_uses_dynamic_stack 0
		.amdhsa_enable_private_segment 0
		.amdhsa_system_sgpr_workgroup_id_x 1
		.amdhsa_system_sgpr_workgroup_id_y 0
		.amdhsa_system_sgpr_workgroup_id_z 0
		.amdhsa_system_sgpr_workgroup_info 0
		.amdhsa_system_vgpr_workitem_id 0
		.amdhsa_next_free_vgpr 9
		.amdhsa_next_free_sgpr 16
		.amdhsa_reserve_vcc 1
		.amdhsa_float_round_mode_32 0
		.amdhsa_float_round_mode_16_64 0
		.amdhsa_float_denorm_mode_32 3
		.amdhsa_float_denorm_mode_16_64 3
		.amdhsa_dx10_clamp 1
		.amdhsa_ieee_mode 1
		.amdhsa_fp16_overflow 0
		.amdhsa_workgroup_processor_mode 1
		.amdhsa_memory_ordered 1
		.amdhsa_forward_progress 0
		.amdhsa_shared_vgpr_count 0
		.amdhsa_exception_fp_ieee_invalid_op 0
		.amdhsa_exception_fp_denorm_src 0
		.amdhsa_exception_fp_ieee_div_zero 0
		.amdhsa_exception_fp_ieee_overflow 0
		.amdhsa_exception_fp_ieee_underflow 0
		.amdhsa_exception_fp_ieee_inexact 0
		.amdhsa_exception_int_div_zero 0
	.end_amdhsa_kernel
	.section	.text._Z16warp_scan_kernelI12hip_bfloat16Lj128ELj32EENSt9enable_ifIXsr10test_utilsE35device_test_enabled_for_warp_size_vIXT1_EEEvE4typeEPT_S5_S5_S4_,"axG",@progbits,_Z16warp_scan_kernelI12hip_bfloat16Lj128ELj32EENSt9enable_ifIXsr10test_utilsE35device_test_enabled_for_warp_size_vIXT1_EEEvE4typeEPT_S5_S5_S4_,comdat
.Lfunc_end245:
	.size	_Z16warp_scan_kernelI12hip_bfloat16Lj128ELj32EENSt9enable_ifIXsr10test_utilsE35device_test_enabled_for_warp_size_vIXT1_EEEvE4typeEPT_S5_S5_S4_, .Lfunc_end245-_Z16warp_scan_kernelI12hip_bfloat16Lj128ELj32EENSt9enable_ifIXsr10test_utilsE35device_test_enabled_for_warp_size_vIXT1_EEEvE4typeEPT_S5_S5_S4_
                                        ; -- End function
	.section	.AMDGPU.csdata,"",@progbits
; Kernel info:
; codeLenInByte = 1088
; NumSgprs: 18
; NumVgprs: 9
; ScratchSize: 0
; MemoryBound: 0
; FloatMode: 240
; IeeeMode: 1
; LDSByteSize: 0 bytes/workgroup (compile time only)
; SGPRBlocks: 2
; VGPRBlocks: 1
; NumSGPRsForWavesPerEU: 18
; NumVGPRsForWavesPerEU: 9
; Occupancy: 16
; WaveLimiterHint : 0
; COMPUTE_PGM_RSRC2:SCRATCH_EN: 0
; COMPUTE_PGM_RSRC2:USER_SGPR: 15
; COMPUTE_PGM_RSRC2:TRAP_HANDLER: 0
; COMPUTE_PGM_RSRC2:TGID_X_EN: 1
; COMPUTE_PGM_RSRC2:TGID_Y_EN: 0
; COMPUTE_PGM_RSRC2:TGID_Z_EN: 0
; COMPUTE_PGM_RSRC2:TIDIG_COMP_CNT: 0
	.section	.text._Z16warp_scan_kernelI12hip_bfloat16Lj64ELj16EENSt9enable_ifIXsr10test_utilsE35device_test_enabled_for_warp_size_vIXT1_EEEvE4typeEPT_S5_S5_S4_,"axG",@progbits,_Z16warp_scan_kernelI12hip_bfloat16Lj64ELj16EENSt9enable_ifIXsr10test_utilsE35device_test_enabled_for_warp_size_vIXT1_EEEvE4typeEPT_S5_S5_S4_,comdat
	.protected	_Z16warp_scan_kernelI12hip_bfloat16Lj64ELj16EENSt9enable_ifIXsr10test_utilsE35device_test_enabled_for_warp_size_vIXT1_EEEvE4typeEPT_S5_S5_S4_ ; -- Begin function _Z16warp_scan_kernelI12hip_bfloat16Lj64ELj16EENSt9enable_ifIXsr10test_utilsE35device_test_enabled_for_warp_size_vIXT1_EEEvE4typeEPT_S5_S5_S4_
	.globl	_Z16warp_scan_kernelI12hip_bfloat16Lj64ELj16EENSt9enable_ifIXsr10test_utilsE35device_test_enabled_for_warp_size_vIXT1_EEEvE4typeEPT_S5_S5_S4_
	.p2align	8
	.type	_Z16warp_scan_kernelI12hip_bfloat16Lj64ELj16EENSt9enable_ifIXsr10test_utilsE35device_test_enabled_for_warp_size_vIXT1_EEEvE4typeEPT_S5_S5_S4_,@function
_Z16warp_scan_kernelI12hip_bfloat16Lj64ELj16EENSt9enable_ifIXsr10test_utilsE35device_test_enabled_for_warp_size_vIXT1_EEEvE4typeEPT_S5_S5_S4_: ; @_Z16warp_scan_kernelI12hip_bfloat16Lj64ELj16EENSt9enable_ifIXsr10test_utilsE35device_test_enabled_for_warp_size_vIXT1_EEEvE4typeEPT_S5_S5_S4_
; %bb.0:
	s_clause 0x1
	s_load_b32 s2, s[0:1], 0x2c
	s_load_b128 s[4:7], s[0:1], 0x0
                                        ; implicit-def: $vgpr6
	s_waitcnt lgkmcnt(0)
	s_and_b32 s2, s2, 0xffff
	s_delay_alu instid0(SALU_CYCLE_1) | instskip(SKIP_2) | instid1(VALU_DEP_1)
	v_mad_u64_u32 v[1:2], null, s15, s2, v[0:1]
	v_mov_b32_e32 v2, 0
	s_mov_b32 s2, exec_lo
	v_lshlrev_b64 v[0:1], 1, v[1:2]
	s_delay_alu instid0(VALU_DEP_1) | instskip(NEXT) | instid1(VALU_DEP_2)
	v_add_co_u32 v2, vcc_lo, s4, v0
	v_add_co_ci_u32_e32 v3, vcc_lo, s5, v1, vcc_lo
	global_load_u16 v4, v[2:3], off
	s_waitcnt vmcnt(0)
	v_lshlrev_b32_e32 v5, 16, v4
	v_mov_b32_dpp v2, v4 row_shr:1 row_mask:0xf bank_mask:0xf
	s_delay_alu instid0(VALU_DEP_1) | instskip(NEXT) | instid1(VALU_DEP_1)
	v_lshlrev_b32_e32 v2, 16, v2
	v_add_f32_e32 v2, v5, v2
	s_delay_alu instid0(VALU_DEP_1) | instskip(NEXT) | instid1(VALU_DEP_1)
	v_and_b32_e32 v3, 0x7f800000, v2
	v_cmpx_ne_u32_e32 0x7f800000, v3
	s_xor_b32 s2, exec_lo, s2
; %bb.1:
	v_bfe_u32 v3, v2, 16, 1
	s_delay_alu instid0(VALU_DEP_1)
	v_add3_u32 v6, v2, v3, 0x7fff
                                        ; implicit-def: $vgpr2
; %bb.2:
	s_and_not1_saveexec_b32 s2, s2
; %bb.3:
	v_and_b32_e32 v3, 0xffff, v2
	v_or_b32_e32 v6, 0x10000, v2
	s_delay_alu instid0(VALU_DEP_2) | instskip(NEXT) | instid1(VALU_DEP_2)
	v_cmp_eq_u32_e32 vcc_lo, 0, v3
	v_cndmask_b32_e32 v6, v6, v2, vcc_lo
; %bb.4:
	s_or_b32 exec_lo, exec_lo, s2
	v_mbcnt_lo_u32_b32 v2, -1, 0
	s_delay_alu instid0(VALU_DEP_2) | instskip(SKIP_1) | instid1(VALU_DEP_3)
	v_and_b32_e32 v7, 0xffff0000, v6
	v_lshrrev_b32_e32 v6, 16, v6
	v_and_b32_e32 v3, 15, v2
	s_delay_alu instid0(VALU_DEP_1) | instskip(NEXT) | instid1(VALU_DEP_3)
	v_cmp_eq_u32_e32 vcc_lo, 0, v3
	v_cndmask_b32_e32 v4, v6, v4, vcc_lo
	s_delay_alu instid0(VALU_DEP_1) | instskip(NEXT) | instid1(VALU_DEP_1)
	v_mov_b32_dpp v6, v4 row_shr:2 row_mask:0xf bank_mask:0xf
	v_dual_cndmask_b32 v5, v7, v5 :: v_dual_lshlrev_b32 v6, 16, v6
	s_delay_alu instid0(VALU_DEP_1) | instskip(NEXT) | instid1(VALU_DEP_1)
	v_add_f32_e32 v6, v5, v6
	v_and_b32_e32 v7, 0x7f800000, v6
	s_delay_alu instid0(VALU_DEP_1) | instskip(NEXT) | instid1(VALU_DEP_1)
	v_cmp_ne_u32_e64 s2, 0x7f800000, v7
                                        ; implicit-def: $vgpr7
	s_and_saveexec_b32 s3, s2
	s_delay_alu instid0(SALU_CYCLE_1)
	s_xor_b32 s2, exec_lo, s3
; %bb.5:
	v_bfe_u32 v7, v6, 16, 1
	s_delay_alu instid0(VALU_DEP_1)
	v_add3_u32 v7, v6, v7, 0x7fff
                                        ; implicit-def: $vgpr6
; %bb.6:
	s_and_not1_saveexec_b32 s3, s2
; %bb.7:
	v_and_b32_e32 v7, 0xffff, v6
	v_or_b32_e32 v8, 0x10000, v6
	s_delay_alu instid0(VALU_DEP_2) | instskip(NEXT) | instid1(VALU_DEP_1)
	v_cmp_eq_u32_e64 s2, 0, v7
	v_cndmask_b32_e64 v7, v8, v6, s2
; %bb.8:
	s_or_b32 exec_lo, exec_lo, s3
	s_delay_alu instid0(VALU_DEP_1) | instskip(SKIP_2) | instid1(VALU_DEP_1)
	v_and_b32_e32 v6, 0xffff0000, v7
	v_lshrrev_b32_e32 v7, 16, v7
	v_cmp_lt_u32_e64 s2, 1, v3
	v_cndmask_b32_e64 v4, v4, v7, s2
	s_delay_alu instid0(VALU_DEP_4) | instskip(NEXT) | instid1(VALU_DEP_2)
	v_cndmask_b32_e64 v5, v5, v6, s2
	v_mov_b32_dpp v6, v4 row_shr:4 row_mask:0xf bank_mask:0xf
	s_delay_alu instid0(VALU_DEP_1) | instskip(NEXT) | instid1(VALU_DEP_1)
	v_lshlrev_b32_e32 v6, 16, v6
	v_add_f32_e32 v6, v5, v6
	s_delay_alu instid0(VALU_DEP_1) | instskip(NEXT) | instid1(VALU_DEP_1)
	v_and_b32_e32 v7, 0x7f800000, v6
	v_cmp_ne_u32_e64 s2, 0x7f800000, v7
                                        ; implicit-def: $vgpr7
	s_delay_alu instid0(VALU_DEP_1) | instskip(NEXT) | instid1(SALU_CYCLE_1)
	s_and_saveexec_b32 s3, s2
	s_xor_b32 s2, exec_lo, s3
; %bb.9:
	v_bfe_u32 v7, v6, 16, 1
	s_delay_alu instid0(VALU_DEP_1)
	v_add3_u32 v7, v6, v7, 0x7fff
                                        ; implicit-def: $vgpr6
; %bb.10:
	s_and_not1_saveexec_b32 s3, s2
; %bb.11:
	v_and_b32_e32 v7, 0xffff, v6
	v_or_b32_e32 v8, 0x10000, v6
	s_delay_alu instid0(VALU_DEP_2) | instskip(NEXT) | instid1(VALU_DEP_1)
	v_cmp_eq_u32_e64 s2, 0, v7
	v_cndmask_b32_e64 v7, v8, v6, s2
; %bb.12:
	s_or_b32 exec_lo, exec_lo, s3
	s_delay_alu instid0(VALU_DEP_1) | instskip(SKIP_2) | instid1(VALU_DEP_1)
	v_and_b32_e32 v6, 0xffff0000, v7
	v_lshrrev_b32_e32 v7, 16, v7
	v_cmp_lt_u32_e64 s2, 3, v3
	v_cndmask_b32_e64 v4, v4, v7, s2
	s_delay_alu instid0(VALU_DEP_4) | instskip(NEXT) | instid1(VALU_DEP_2)
	v_cndmask_b32_e64 v5, v5, v6, s2
	v_mov_b32_dpp v6, v4 row_shr:8 row_mask:0xf bank_mask:0xf
	s_delay_alu instid0(VALU_DEP_1) | instskip(NEXT) | instid1(VALU_DEP_1)
	v_lshlrev_b32_e32 v6, 16, v6
	v_add_f32_e32 v5, v5, v6
	s_delay_alu instid0(VALU_DEP_1) | instskip(NEXT) | instid1(VALU_DEP_1)
	v_and_b32_e32 v6, 0x7f800000, v5
	v_cmp_ne_u32_e64 s2, 0x7f800000, v6
                                        ; implicit-def: $vgpr6
	s_delay_alu instid0(VALU_DEP_1) | instskip(NEXT) | instid1(SALU_CYCLE_1)
	s_and_saveexec_b32 s3, s2
	s_xor_b32 s2, exec_lo, s3
; %bb.13:
	v_bfe_u32 v6, v5, 16, 1
	s_delay_alu instid0(VALU_DEP_1)
	v_add3_u32 v6, v5, v6, 0x7fff
                                        ; implicit-def: $vgpr5
; %bb.14:
	s_and_not1_saveexec_b32 s3, s2
; %bb.15:
	v_and_b32_e32 v6, 0xffff, v5
	v_or_b32_e32 v7, 0x10000, v5
	s_delay_alu instid0(VALU_DEP_2) | instskip(NEXT) | instid1(VALU_DEP_1)
	v_cmp_eq_u32_e64 s2, 0, v6
	v_cndmask_b32_e64 v6, v7, v5, s2
; %bb.16:
	s_or_b32 exec_lo, exec_lo, s3
	s_load_b32 s3, s[0:1], 0x18
	s_delay_alu instid0(VALU_DEP_1) | instskip(SKIP_1) | instid1(VALU_DEP_1)
	v_lshrrev_b32_e32 v5, 16, v6
	v_cmp_lt_u32_e64 s2, 7, v3
                                        ; implicit-def: $vgpr7
	v_cndmask_b32_e64 v3, v4, v5, s2
	s_delay_alu instid0(VALU_DEP_1)
	v_lshlrev_b32_e32 v3, 16, v3
	s_waitcnt lgkmcnt(0)
	s_lshl_b32 s2, s3, 16
	s_delay_alu instid0(VALU_DEP_1) | instid1(SALU_CYCLE_1)
	v_add_f32_e32 v4, s2, v3
	s_delay_alu instid0(VALU_DEP_1) | instskip(SKIP_1) | instid1(VALU_DEP_2)
	v_and_b32_e32 v3, 0x7f800000, v4
	v_bfe_u32 v5, v4, 16, 1
	v_cmp_ne_u32_e64 s2, 0x7f800000, v3
	s_delay_alu instid0(VALU_DEP_2) | instskip(NEXT) | instid1(VALU_DEP_2)
	v_add3_u32 v3, v4, v5, 0x7fff
	s_and_saveexec_b32 s4, s2
	s_delay_alu instid0(SALU_CYCLE_1)
	s_xor_b32 s4, exec_lo, s4
; %bb.17:
	v_add3_u32 v7, v4, v5, 0x7fff
; %bb.18:
	s_or_saveexec_b32 s8, s4
	s_load_b64 s[4:5], s[0:1], 0x10
	v_and_b32_e32 v5, 0xffff, v4
	v_or_b32_e32 v6, 0x10000, v4
	s_xor_b32 exec_lo, exec_lo, s8
; %bb.19:
	s_delay_alu instid0(VALU_DEP_2) | instskip(NEXT) | instid1(VALU_DEP_1)
	v_cmp_eq_u32_e64 s0, 0, v5
	v_cndmask_b32_e64 v7, v6, v4, s0
; %bb.20:
	s_or_b32 exec_lo, exec_lo, s8
	v_add_nc_u32_e32 v8, -1, v2
	v_and_b32_e32 v9, 16, v2
	s_delay_alu instid0(VALU_DEP_3) | instskip(NEXT) | instid1(VALU_DEP_2)
	v_lshrrev_b32_e32 v7, 16, v7
	v_cmp_lt_i32_e64 s0, v8, v9
	s_delay_alu instid0(VALU_DEP_1) | instskip(NEXT) | instid1(VALU_DEP_1)
	v_cndmask_b32_e64 v2, v8, v2, s0
	v_lshlrev_b32_e32 v2, 2, v2
	ds_bpermute_b32 v2, v2, v7
	s_and_saveexec_b32 s0, s2
	s_delay_alu instid0(SALU_CYCLE_1)
	s_xor_b32 s0, exec_lo, s0
; %bb.21:
                                        ; implicit-def: $vgpr5
                                        ; implicit-def: $vgpr6
                                        ; implicit-def: $vgpr4
; %bb.22:
	s_delay_alu instid0(SALU_CYCLE_1)
	s_and_not1_saveexec_b32 s1, s0
; %bb.23:
	v_cmp_eq_u32_e64 s0, 0, v5
	s_delay_alu instid0(VALU_DEP_1)
	v_cndmask_b32_e64 v3, v6, v4, s0
; %bb.24:
	s_or_b32 exec_lo, exec_lo, s1
	s_waitcnt lgkmcnt(0)
	v_cndmask_b32_e64 v2, v2, s3, vcc_lo
	v_add_co_u32 v4, vcc_lo, s6, v0
	v_add_co_ci_u32_e32 v5, vcc_lo, s7, v1, vcc_lo
	v_add_co_u32 v0, vcc_lo, s4, v0
	v_add_co_ci_u32_e32 v1, vcc_lo, s5, v1, vcc_lo
	global_store_d16_hi_b16 v[4:5], v3, off
	global_store_b16 v[0:1], v2, off
	s_nop 0
	s_sendmsg sendmsg(MSG_DEALLOC_VGPRS)
	s_endpgm
	.section	.rodata,"a",@progbits
	.p2align	6, 0x0
	.amdhsa_kernel _Z16warp_scan_kernelI12hip_bfloat16Lj64ELj16EENSt9enable_ifIXsr10test_utilsE35device_test_enabled_for_warp_size_vIXT1_EEEvE4typeEPT_S5_S5_S4_
		.amdhsa_group_segment_fixed_size 0
		.amdhsa_private_segment_fixed_size 0
		.amdhsa_kernarg_size 288
		.amdhsa_user_sgpr_count 15
		.amdhsa_user_sgpr_dispatch_ptr 0
		.amdhsa_user_sgpr_queue_ptr 0
		.amdhsa_user_sgpr_kernarg_segment_ptr 1
		.amdhsa_user_sgpr_dispatch_id 0
		.amdhsa_user_sgpr_private_segment_size 0
		.amdhsa_wavefront_size32 1
		.amdhsa_uses_dynamic_stack 0
		.amdhsa_enable_private_segment 0
		.amdhsa_system_sgpr_workgroup_id_x 1
		.amdhsa_system_sgpr_workgroup_id_y 0
		.amdhsa_system_sgpr_workgroup_id_z 0
		.amdhsa_system_sgpr_workgroup_info 0
		.amdhsa_system_vgpr_workitem_id 0
		.amdhsa_next_free_vgpr 10
		.amdhsa_next_free_sgpr 16
		.amdhsa_reserve_vcc 1
		.amdhsa_float_round_mode_32 0
		.amdhsa_float_round_mode_16_64 0
		.amdhsa_float_denorm_mode_32 3
		.amdhsa_float_denorm_mode_16_64 3
		.amdhsa_dx10_clamp 1
		.amdhsa_ieee_mode 1
		.amdhsa_fp16_overflow 0
		.amdhsa_workgroup_processor_mode 1
		.amdhsa_memory_ordered 1
		.amdhsa_forward_progress 0
		.amdhsa_shared_vgpr_count 0
		.amdhsa_exception_fp_ieee_invalid_op 0
		.amdhsa_exception_fp_denorm_src 0
		.amdhsa_exception_fp_ieee_div_zero 0
		.amdhsa_exception_fp_ieee_overflow 0
		.amdhsa_exception_fp_ieee_underflow 0
		.amdhsa_exception_fp_ieee_inexact 0
		.amdhsa_exception_int_div_zero 0
	.end_amdhsa_kernel
	.section	.text._Z16warp_scan_kernelI12hip_bfloat16Lj64ELj16EENSt9enable_ifIXsr10test_utilsE35device_test_enabled_for_warp_size_vIXT1_EEEvE4typeEPT_S5_S5_S4_,"axG",@progbits,_Z16warp_scan_kernelI12hip_bfloat16Lj64ELj16EENSt9enable_ifIXsr10test_utilsE35device_test_enabled_for_warp_size_vIXT1_EEEvE4typeEPT_S5_S5_S4_,comdat
.Lfunc_end246:
	.size	_Z16warp_scan_kernelI12hip_bfloat16Lj64ELj16EENSt9enable_ifIXsr10test_utilsE35device_test_enabled_for_warp_size_vIXT1_EEEvE4typeEPT_S5_S5_S4_, .Lfunc_end246-_Z16warp_scan_kernelI12hip_bfloat16Lj64ELj16EENSt9enable_ifIXsr10test_utilsE35device_test_enabled_for_warp_size_vIXT1_EEEvE4typeEPT_S5_S5_S4_
                                        ; -- End function
	.section	.AMDGPU.csdata,"",@progbits
; Kernel info:
; codeLenInByte = 1044
; NumSgprs: 18
; NumVgprs: 10
; ScratchSize: 0
; MemoryBound: 0
; FloatMode: 240
; IeeeMode: 1
; LDSByteSize: 0 bytes/workgroup (compile time only)
; SGPRBlocks: 2
; VGPRBlocks: 1
; NumSGPRsForWavesPerEU: 18
; NumVGPRsForWavesPerEU: 10
; Occupancy: 16
; WaveLimiterHint : 0
; COMPUTE_PGM_RSRC2:SCRATCH_EN: 0
; COMPUTE_PGM_RSRC2:USER_SGPR: 15
; COMPUTE_PGM_RSRC2:TRAP_HANDLER: 0
; COMPUTE_PGM_RSRC2:TGID_X_EN: 1
; COMPUTE_PGM_RSRC2:TGID_Y_EN: 0
; COMPUTE_PGM_RSRC2:TGID_Z_EN: 0
; COMPUTE_PGM_RSRC2:TIDIG_COMP_CNT: 0
	.section	.text._Z16warp_scan_kernelI12hip_bfloat16Lj32ELj8EENSt9enable_ifIXsr10test_utilsE35device_test_enabled_for_warp_size_vIXT1_EEEvE4typeEPT_S5_S5_S4_,"axG",@progbits,_Z16warp_scan_kernelI12hip_bfloat16Lj32ELj8EENSt9enable_ifIXsr10test_utilsE35device_test_enabled_for_warp_size_vIXT1_EEEvE4typeEPT_S5_S5_S4_,comdat
	.protected	_Z16warp_scan_kernelI12hip_bfloat16Lj32ELj8EENSt9enable_ifIXsr10test_utilsE35device_test_enabled_for_warp_size_vIXT1_EEEvE4typeEPT_S5_S5_S4_ ; -- Begin function _Z16warp_scan_kernelI12hip_bfloat16Lj32ELj8EENSt9enable_ifIXsr10test_utilsE35device_test_enabled_for_warp_size_vIXT1_EEEvE4typeEPT_S5_S5_S4_
	.globl	_Z16warp_scan_kernelI12hip_bfloat16Lj32ELj8EENSt9enable_ifIXsr10test_utilsE35device_test_enabled_for_warp_size_vIXT1_EEEvE4typeEPT_S5_S5_S4_
	.p2align	8
	.type	_Z16warp_scan_kernelI12hip_bfloat16Lj32ELj8EENSt9enable_ifIXsr10test_utilsE35device_test_enabled_for_warp_size_vIXT1_EEEvE4typeEPT_S5_S5_S4_,@function
_Z16warp_scan_kernelI12hip_bfloat16Lj32ELj8EENSt9enable_ifIXsr10test_utilsE35device_test_enabled_for_warp_size_vIXT1_EEEvE4typeEPT_S5_S5_S4_: ; @_Z16warp_scan_kernelI12hip_bfloat16Lj32ELj8EENSt9enable_ifIXsr10test_utilsE35device_test_enabled_for_warp_size_vIXT1_EEEvE4typeEPT_S5_S5_S4_
; %bb.0:
	s_clause 0x1
	s_load_b32 s2, s[0:1], 0x2c
	s_load_b128 s[4:7], s[0:1], 0x0
                                        ; implicit-def: $vgpr6
	s_waitcnt lgkmcnt(0)
	s_and_b32 s2, s2, 0xffff
	s_delay_alu instid0(SALU_CYCLE_1) | instskip(SKIP_2) | instid1(VALU_DEP_1)
	v_mad_u64_u32 v[1:2], null, s15, s2, v[0:1]
	v_mov_b32_e32 v2, 0
	s_mov_b32 s2, exec_lo
	v_lshlrev_b64 v[0:1], 1, v[1:2]
	s_delay_alu instid0(VALU_DEP_1) | instskip(NEXT) | instid1(VALU_DEP_2)
	v_add_co_u32 v2, vcc_lo, s4, v0
	v_add_co_ci_u32_e32 v3, vcc_lo, s5, v1, vcc_lo
	global_load_u16 v4, v[2:3], off
	s_waitcnt vmcnt(0)
	v_lshlrev_b32_e32 v5, 16, v4
	v_mov_b32_dpp v2, v4 row_shr:1 row_mask:0xf bank_mask:0xf
	s_delay_alu instid0(VALU_DEP_1) | instskip(NEXT) | instid1(VALU_DEP_1)
	v_lshlrev_b32_e32 v2, 16, v2
	v_add_f32_e32 v2, v5, v2
	s_delay_alu instid0(VALU_DEP_1) | instskip(NEXT) | instid1(VALU_DEP_1)
	v_and_b32_e32 v3, 0x7f800000, v2
	v_cmpx_ne_u32_e32 0x7f800000, v3
	s_xor_b32 s2, exec_lo, s2
; %bb.1:
	v_bfe_u32 v3, v2, 16, 1
	s_delay_alu instid0(VALU_DEP_1)
	v_add3_u32 v6, v2, v3, 0x7fff
                                        ; implicit-def: $vgpr2
; %bb.2:
	s_and_not1_saveexec_b32 s2, s2
; %bb.3:
	v_and_b32_e32 v3, 0xffff, v2
	v_or_b32_e32 v6, 0x10000, v2
	s_delay_alu instid0(VALU_DEP_2) | instskip(NEXT) | instid1(VALU_DEP_2)
	v_cmp_eq_u32_e32 vcc_lo, 0, v3
	v_cndmask_b32_e32 v6, v6, v2, vcc_lo
; %bb.4:
	s_or_b32 exec_lo, exec_lo, s2
	v_mbcnt_lo_u32_b32 v2, -1, 0
	s_delay_alu instid0(VALU_DEP_2) | instskip(SKIP_1) | instid1(VALU_DEP_3)
	v_and_b32_e32 v7, 0xffff0000, v6
	v_lshrrev_b32_e32 v6, 16, v6
	v_and_b32_e32 v3, 7, v2
	s_delay_alu instid0(VALU_DEP_1) | instskip(NEXT) | instid1(VALU_DEP_3)
	v_cmp_eq_u32_e32 vcc_lo, 0, v3
	v_cndmask_b32_e32 v4, v6, v4, vcc_lo
	s_delay_alu instid0(VALU_DEP_1) | instskip(NEXT) | instid1(VALU_DEP_1)
	v_mov_b32_dpp v6, v4 row_shr:2 row_mask:0xf bank_mask:0xf
	v_dual_cndmask_b32 v5, v7, v5 :: v_dual_lshlrev_b32 v6, 16, v6
	s_delay_alu instid0(VALU_DEP_1) | instskip(NEXT) | instid1(VALU_DEP_1)
	v_add_f32_e32 v6, v5, v6
	v_and_b32_e32 v7, 0x7f800000, v6
	s_delay_alu instid0(VALU_DEP_1) | instskip(NEXT) | instid1(VALU_DEP_1)
	v_cmp_ne_u32_e64 s2, 0x7f800000, v7
                                        ; implicit-def: $vgpr7
	s_and_saveexec_b32 s3, s2
	s_delay_alu instid0(SALU_CYCLE_1)
	s_xor_b32 s2, exec_lo, s3
; %bb.5:
	v_bfe_u32 v7, v6, 16, 1
	s_delay_alu instid0(VALU_DEP_1)
	v_add3_u32 v7, v6, v7, 0x7fff
                                        ; implicit-def: $vgpr6
; %bb.6:
	s_and_not1_saveexec_b32 s3, s2
; %bb.7:
	v_and_b32_e32 v7, 0xffff, v6
	v_or_b32_e32 v8, 0x10000, v6
	s_delay_alu instid0(VALU_DEP_2) | instskip(NEXT) | instid1(VALU_DEP_1)
	v_cmp_eq_u32_e64 s2, 0, v7
	v_cndmask_b32_e64 v7, v8, v6, s2
; %bb.8:
	s_or_b32 exec_lo, exec_lo, s3
	s_delay_alu instid0(VALU_DEP_1) | instskip(SKIP_2) | instid1(VALU_DEP_1)
	v_and_b32_e32 v6, 0xffff0000, v7
	v_lshrrev_b32_e32 v7, 16, v7
	v_cmp_lt_u32_e64 s2, 1, v3
	v_cndmask_b32_e64 v4, v4, v7, s2
	s_delay_alu instid0(VALU_DEP_4) | instskip(NEXT) | instid1(VALU_DEP_2)
	v_cndmask_b32_e64 v5, v5, v6, s2
	v_mov_b32_dpp v6, v4 row_shr:4 row_mask:0xf bank_mask:0xf
	s_delay_alu instid0(VALU_DEP_1) | instskip(NEXT) | instid1(VALU_DEP_1)
	v_lshlrev_b32_e32 v6, 16, v6
	v_add_f32_e32 v5, v5, v6
	s_delay_alu instid0(VALU_DEP_1) | instskip(NEXT) | instid1(VALU_DEP_1)
	v_and_b32_e32 v6, 0x7f800000, v5
	v_cmp_ne_u32_e64 s2, 0x7f800000, v6
                                        ; implicit-def: $vgpr6
	s_delay_alu instid0(VALU_DEP_1) | instskip(NEXT) | instid1(SALU_CYCLE_1)
	s_and_saveexec_b32 s3, s2
	s_xor_b32 s2, exec_lo, s3
; %bb.9:
	v_bfe_u32 v6, v5, 16, 1
	s_delay_alu instid0(VALU_DEP_1)
	v_add3_u32 v6, v5, v6, 0x7fff
                                        ; implicit-def: $vgpr5
; %bb.10:
	s_and_not1_saveexec_b32 s3, s2
; %bb.11:
	v_and_b32_e32 v6, 0xffff, v5
	v_or_b32_e32 v7, 0x10000, v5
	s_delay_alu instid0(VALU_DEP_2) | instskip(NEXT) | instid1(VALU_DEP_1)
	v_cmp_eq_u32_e64 s2, 0, v6
	v_cndmask_b32_e64 v6, v7, v5, s2
; %bb.12:
	s_or_b32 exec_lo, exec_lo, s3
	s_load_b32 s3, s[0:1], 0x18
	s_delay_alu instid0(VALU_DEP_1) | instskip(SKIP_1) | instid1(VALU_DEP_1)
	v_lshrrev_b32_e32 v5, 16, v6
	v_cmp_lt_u32_e64 s2, 3, v3
                                        ; implicit-def: $vgpr7
	v_cndmask_b32_e64 v3, v4, v5, s2
	s_delay_alu instid0(VALU_DEP_1)
	v_lshlrev_b32_e32 v3, 16, v3
	s_waitcnt lgkmcnt(0)
	s_lshl_b32 s2, s3, 16
	s_delay_alu instid0(VALU_DEP_1) | instid1(SALU_CYCLE_1)
	v_add_f32_e32 v4, s2, v3
	s_delay_alu instid0(VALU_DEP_1) | instskip(SKIP_1) | instid1(VALU_DEP_2)
	v_and_b32_e32 v3, 0x7f800000, v4
	v_bfe_u32 v5, v4, 16, 1
	v_cmp_ne_u32_e64 s2, 0x7f800000, v3
	s_delay_alu instid0(VALU_DEP_2) | instskip(NEXT) | instid1(VALU_DEP_2)
	v_add3_u32 v3, v4, v5, 0x7fff
	s_and_saveexec_b32 s4, s2
	s_delay_alu instid0(SALU_CYCLE_1)
	s_xor_b32 s4, exec_lo, s4
; %bb.13:
	v_add3_u32 v7, v4, v5, 0x7fff
; %bb.14:
	s_or_saveexec_b32 s8, s4
	s_load_b64 s[4:5], s[0:1], 0x10
	v_and_b32_e32 v5, 0xffff, v4
	v_or_b32_e32 v6, 0x10000, v4
	s_xor_b32 exec_lo, exec_lo, s8
; %bb.15:
	s_delay_alu instid0(VALU_DEP_2) | instskip(NEXT) | instid1(VALU_DEP_1)
	v_cmp_eq_u32_e64 s0, 0, v5
	v_cndmask_b32_e64 v7, v6, v4, s0
; %bb.16:
	s_or_b32 exec_lo, exec_lo, s8
	v_add_nc_u32_e32 v8, -1, v2
	v_and_b32_e32 v9, 24, v2
	s_delay_alu instid0(VALU_DEP_3) | instskip(NEXT) | instid1(VALU_DEP_2)
	v_lshrrev_b32_e32 v7, 16, v7
	v_cmp_lt_i32_e64 s0, v8, v9
	s_delay_alu instid0(VALU_DEP_1) | instskip(NEXT) | instid1(VALU_DEP_1)
	v_cndmask_b32_e64 v2, v8, v2, s0
	v_lshlrev_b32_e32 v2, 2, v2
	ds_bpermute_b32 v2, v2, v7
	s_and_saveexec_b32 s0, s2
	s_delay_alu instid0(SALU_CYCLE_1)
	s_xor_b32 s0, exec_lo, s0
; %bb.17:
                                        ; implicit-def: $vgpr5
                                        ; implicit-def: $vgpr6
                                        ; implicit-def: $vgpr4
; %bb.18:
	s_delay_alu instid0(SALU_CYCLE_1)
	s_and_not1_saveexec_b32 s1, s0
; %bb.19:
	v_cmp_eq_u32_e64 s0, 0, v5
	s_delay_alu instid0(VALU_DEP_1)
	v_cndmask_b32_e64 v3, v6, v4, s0
; %bb.20:
	s_or_b32 exec_lo, exec_lo, s1
	s_waitcnt lgkmcnt(0)
	v_cndmask_b32_e64 v2, v2, s3, vcc_lo
	v_add_co_u32 v4, vcc_lo, s6, v0
	v_add_co_ci_u32_e32 v5, vcc_lo, s7, v1, vcc_lo
	v_add_co_u32 v0, vcc_lo, s4, v0
	v_add_co_ci_u32_e32 v1, vcc_lo, s5, v1, vcc_lo
	global_store_d16_hi_b16 v[4:5], v3, off
	global_store_b16 v[0:1], v2, off
	s_nop 0
	s_sendmsg sendmsg(MSG_DEALLOC_VGPRS)
	s_endpgm
	.section	.rodata,"a",@progbits
	.p2align	6, 0x0
	.amdhsa_kernel _Z16warp_scan_kernelI12hip_bfloat16Lj32ELj8EENSt9enable_ifIXsr10test_utilsE35device_test_enabled_for_warp_size_vIXT1_EEEvE4typeEPT_S5_S5_S4_
		.amdhsa_group_segment_fixed_size 0
		.amdhsa_private_segment_fixed_size 0
		.amdhsa_kernarg_size 288
		.amdhsa_user_sgpr_count 15
		.amdhsa_user_sgpr_dispatch_ptr 0
		.amdhsa_user_sgpr_queue_ptr 0
		.amdhsa_user_sgpr_kernarg_segment_ptr 1
		.amdhsa_user_sgpr_dispatch_id 0
		.amdhsa_user_sgpr_private_segment_size 0
		.amdhsa_wavefront_size32 1
		.amdhsa_uses_dynamic_stack 0
		.amdhsa_enable_private_segment 0
		.amdhsa_system_sgpr_workgroup_id_x 1
		.amdhsa_system_sgpr_workgroup_id_y 0
		.amdhsa_system_sgpr_workgroup_id_z 0
		.amdhsa_system_sgpr_workgroup_info 0
		.amdhsa_system_vgpr_workitem_id 0
		.amdhsa_next_free_vgpr 10
		.amdhsa_next_free_sgpr 16
		.amdhsa_reserve_vcc 1
		.amdhsa_float_round_mode_32 0
		.amdhsa_float_round_mode_16_64 0
		.amdhsa_float_denorm_mode_32 3
		.amdhsa_float_denorm_mode_16_64 3
		.amdhsa_dx10_clamp 1
		.amdhsa_ieee_mode 1
		.amdhsa_fp16_overflow 0
		.amdhsa_workgroup_processor_mode 1
		.amdhsa_memory_ordered 1
		.amdhsa_forward_progress 0
		.amdhsa_shared_vgpr_count 0
		.amdhsa_exception_fp_ieee_invalid_op 0
		.amdhsa_exception_fp_denorm_src 0
		.amdhsa_exception_fp_ieee_div_zero 0
		.amdhsa_exception_fp_ieee_overflow 0
		.amdhsa_exception_fp_ieee_underflow 0
		.amdhsa_exception_fp_ieee_inexact 0
		.amdhsa_exception_int_div_zero 0
	.end_amdhsa_kernel
	.section	.text._Z16warp_scan_kernelI12hip_bfloat16Lj32ELj8EENSt9enable_ifIXsr10test_utilsE35device_test_enabled_for_warp_size_vIXT1_EEEvE4typeEPT_S5_S5_S4_,"axG",@progbits,_Z16warp_scan_kernelI12hip_bfloat16Lj32ELj8EENSt9enable_ifIXsr10test_utilsE35device_test_enabled_for_warp_size_vIXT1_EEEvE4typeEPT_S5_S5_S4_,comdat
.Lfunc_end247:
	.size	_Z16warp_scan_kernelI12hip_bfloat16Lj32ELj8EENSt9enable_ifIXsr10test_utilsE35device_test_enabled_for_warp_size_vIXT1_EEEvE4typeEPT_S5_S5_S4_, .Lfunc_end247-_Z16warp_scan_kernelI12hip_bfloat16Lj32ELj8EENSt9enable_ifIXsr10test_utilsE35device_test_enabled_for_warp_size_vIXT1_EEEvE4typeEPT_S5_S5_S4_
                                        ; -- End function
	.section	.AMDGPU.csdata,"",@progbits
; Kernel info:
; codeLenInByte = 876
; NumSgprs: 18
; NumVgprs: 10
; ScratchSize: 0
; MemoryBound: 0
; FloatMode: 240
; IeeeMode: 1
; LDSByteSize: 0 bytes/workgroup (compile time only)
; SGPRBlocks: 2
; VGPRBlocks: 1
; NumSGPRsForWavesPerEU: 18
; NumVGPRsForWavesPerEU: 10
; Occupancy: 16
; WaveLimiterHint : 0
; COMPUTE_PGM_RSRC2:SCRATCH_EN: 0
; COMPUTE_PGM_RSRC2:USER_SGPR: 15
; COMPUTE_PGM_RSRC2:TRAP_HANDLER: 0
; COMPUTE_PGM_RSRC2:TGID_X_EN: 1
; COMPUTE_PGM_RSRC2:TGID_Y_EN: 0
; COMPUTE_PGM_RSRC2:TGID_Z_EN: 0
; COMPUTE_PGM_RSRC2:TIDIG_COMP_CNT: 0
	.section	.text._Z16warp_scan_kernelI12hip_bfloat16Lj64ELj8EENSt9enable_ifIXsr10test_utilsE35device_test_enabled_for_warp_size_vIXT1_EEEvE4typeEPT_S5_S5_S4_,"axG",@progbits,_Z16warp_scan_kernelI12hip_bfloat16Lj64ELj8EENSt9enable_ifIXsr10test_utilsE35device_test_enabled_for_warp_size_vIXT1_EEEvE4typeEPT_S5_S5_S4_,comdat
	.protected	_Z16warp_scan_kernelI12hip_bfloat16Lj64ELj8EENSt9enable_ifIXsr10test_utilsE35device_test_enabled_for_warp_size_vIXT1_EEEvE4typeEPT_S5_S5_S4_ ; -- Begin function _Z16warp_scan_kernelI12hip_bfloat16Lj64ELj8EENSt9enable_ifIXsr10test_utilsE35device_test_enabled_for_warp_size_vIXT1_EEEvE4typeEPT_S5_S5_S4_
	.globl	_Z16warp_scan_kernelI12hip_bfloat16Lj64ELj8EENSt9enable_ifIXsr10test_utilsE35device_test_enabled_for_warp_size_vIXT1_EEEvE4typeEPT_S5_S5_S4_
	.p2align	8
	.type	_Z16warp_scan_kernelI12hip_bfloat16Lj64ELj8EENSt9enable_ifIXsr10test_utilsE35device_test_enabled_for_warp_size_vIXT1_EEEvE4typeEPT_S5_S5_S4_,@function
_Z16warp_scan_kernelI12hip_bfloat16Lj64ELj8EENSt9enable_ifIXsr10test_utilsE35device_test_enabled_for_warp_size_vIXT1_EEEvE4typeEPT_S5_S5_S4_: ; @_Z16warp_scan_kernelI12hip_bfloat16Lj64ELj8EENSt9enable_ifIXsr10test_utilsE35device_test_enabled_for_warp_size_vIXT1_EEEvE4typeEPT_S5_S5_S4_
; %bb.0:
	s_clause 0x1
	s_load_b32 s2, s[0:1], 0x2c
	s_load_b128 s[4:7], s[0:1], 0x0
                                        ; implicit-def: $vgpr6
	s_waitcnt lgkmcnt(0)
	s_and_b32 s2, s2, 0xffff
	s_delay_alu instid0(SALU_CYCLE_1) | instskip(SKIP_2) | instid1(VALU_DEP_1)
	v_mad_u64_u32 v[1:2], null, s15, s2, v[0:1]
	v_mov_b32_e32 v2, 0
	s_mov_b32 s2, exec_lo
	v_lshlrev_b64 v[0:1], 1, v[1:2]
	s_delay_alu instid0(VALU_DEP_1) | instskip(NEXT) | instid1(VALU_DEP_2)
	v_add_co_u32 v2, vcc_lo, s4, v0
	v_add_co_ci_u32_e32 v3, vcc_lo, s5, v1, vcc_lo
	global_load_u16 v4, v[2:3], off
	s_waitcnt vmcnt(0)
	v_lshlrev_b32_e32 v5, 16, v4
	v_mov_b32_dpp v2, v4 row_shr:1 row_mask:0xf bank_mask:0xf
	s_delay_alu instid0(VALU_DEP_1) | instskip(NEXT) | instid1(VALU_DEP_1)
	v_lshlrev_b32_e32 v2, 16, v2
	v_add_f32_e32 v2, v5, v2
	s_delay_alu instid0(VALU_DEP_1) | instskip(NEXT) | instid1(VALU_DEP_1)
	v_and_b32_e32 v3, 0x7f800000, v2
	v_cmpx_ne_u32_e32 0x7f800000, v3
	s_xor_b32 s2, exec_lo, s2
; %bb.1:
	v_bfe_u32 v3, v2, 16, 1
	s_delay_alu instid0(VALU_DEP_1)
	v_add3_u32 v6, v2, v3, 0x7fff
                                        ; implicit-def: $vgpr2
; %bb.2:
	s_and_not1_saveexec_b32 s2, s2
; %bb.3:
	v_and_b32_e32 v3, 0xffff, v2
	v_or_b32_e32 v6, 0x10000, v2
	s_delay_alu instid0(VALU_DEP_2) | instskip(NEXT) | instid1(VALU_DEP_2)
	v_cmp_eq_u32_e32 vcc_lo, 0, v3
	v_cndmask_b32_e32 v6, v6, v2, vcc_lo
; %bb.4:
	s_or_b32 exec_lo, exec_lo, s2
	v_mbcnt_lo_u32_b32 v2, -1, 0
	s_delay_alu instid0(VALU_DEP_2) | instskip(SKIP_1) | instid1(VALU_DEP_3)
	v_and_b32_e32 v7, 0xffff0000, v6
	v_lshrrev_b32_e32 v6, 16, v6
	v_and_b32_e32 v3, 7, v2
	s_delay_alu instid0(VALU_DEP_1) | instskip(NEXT) | instid1(VALU_DEP_3)
	v_cmp_eq_u32_e32 vcc_lo, 0, v3
	v_cndmask_b32_e32 v4, v6, v4, vcc_lo
	s_delay_alu instid0(VALU_DEP_1) | instskip(NEXT) | instid1(VALU_DEP_1)
	v_mov_b32_dpp v6, v4 row_shr:2 row_mask:0xf bank_mask:0xf
	v_dual_cndmask_b32 v5, v7, v5 :: v_dual_lshlrev_b32 v6, 16, v6
	s_delay_alu instid0(VALU_DEP_1) | instskip(NEXT) | instid1(VALU_DEP_1)
	v_add_f32_e32 v6, v5, v6
	v_and_b32_e32 v7, 0x7f800000, v6
	s_delay_alu instid0(VALU_DEP_1) | instskip(NEXT) | instid1(VALU_DEP_1)
	v_cmp_ne_u32_e64 s2, 0x7f800000, v7
                                        ; implicit-def: $vgpr7
	s_and_saveexec_b32 s3, s2
	s_delay_alu instid0(SALU_CYCLE_1)
	s_xor_b32 s2, exec_lo, s3
; %bb.5:
	v_bfe_u32 v7, v6, 16, 1
	s_delay_alu instid0(VALU_DEP_1)
	v_add3_u32 v7, v6, v7, 0x7fff
                                        ; implicit-def: $vgpr6
; %bb.6:
	s_and_not1_saveexec_b32 s3, s2
; %bb.7:
	v_and_b32_e32 v7, 0xffff, v6
	v_or_b32_e32 v8, 0x10000, v6
	s_delay_alu instid0(VALU_DEP_2) | instskip(NEXT) | instid1(VALU_DEP_1)
	v_cmp_eq_u32_e64 s2, 0, v7
	v_cndmask_b32_e64 v7, v8, v6, s2
; %bb.8:
	s_or_b32 exec_lo, exec_lo, s3
	s_delay_alu instid0(VALU_DEP_1) | instskip(SKIP_2) | instid1(VALU_DEP_1)
	v_and_b32_e32 v6, 0xffff0000, v7
	v_lshrrev_b32_e32 v7, 16, v7
	v_cmp_lt_u32_e64 s2, 1, v3
	v_cndmask_b32_e64 v4, v4, v7, s2
	s_delay_alu instid0(VALU_DEP_4) | instskip(NEXT) | instid1(VALU_DEP_2)
	v_cndmask_b32_e64 v5, v5, v6, s2
	v_mov_b32_dpp v6, v4 row_shr:4 row_mask:0xf bank_mask:0xf
	s_delay_alu instid0(VALU_DEP_1) | instskip(NEXT) | instid1(VALU_DEP_1)
	v_lshlrev_b32_e32 v6, 16, v6
	v_add_f32_e32 v5, v5, v6
	s_delay_alu instid0(VALU_DEP_1) | instskip(NEXT) | instid1(VALU_DEP_1)
	v_and_b32_e32 v6, 0x7f800000, v5
	v_cmp_ne_u32_e64 s2, 0x7f800000, v6
                                        ; implicit-def: $vgpr6
	s_delay_alu instid0(VALU_DEP_1) | instskip(NEXT) | instid1(SALU_CYCLE_1)
	s_and_saveexec_b32 s3, s2
	s_xor_b32 s2, exec_lo, s3
; %bb.9:
	v_bfe_u32 v6, v5, 16, 1
	s_delay_alu instid0(VALU_DEP_1)
	v_add3_u32 v6, v5, v6, 0x7fff
                                        ; implicit-def: $vgpr5
; %bb.10:
	s_and_not1_saveexec_b32 s3, s2
; %bb.11:
	v_and_b32_e32 v6, 0xffff, v5
	v_or_b32_e32 v7, 0x10000, v5
	s_delay_alu instid0(VALU_DEP_2) | instskip(NEXT) | instid1(VALU_DEP_1)
	v_cmp_eq_u32_e64 s2, 0, v6
	v_cndmask_b32_e64 v6, v7, v5, s2
; %bb.12:
	s_or_b32 exec_lo, exec_lo, s3
	s_load_b32 s3, s[0:1], 0x18
	s_delay_alu instid0(VALU_DEP_1) | instskip(SKIP_1) | instid1(VALU_DEP_1)
	v_lshrrev_b32_e32 v5, 16, v6
	v_cmp_lt_u32_e64 s2, 3, v3
                                        ; implicit-def: $vgpr7
	v_cndmask_b32_e64 v3, v4, v5, s2
	s_delay_alu instid0(VALU_DEP_1)
	v_lshlrev_b32_e32 v3, 16, v3
	s_waitcnt lgkmcnt(0)
	s_lshl_b32 s2, s3, 16
	s_delay_alu instid0(VALU_DEP_1) | instid1(SALU_CYCLE_1)
	v_add_f32_e32 v4, s2, v3
	s_delay_alu instid0(VALU_DEP_1) | instskip(SKIP_1) | instid1(VALU_DEP_2)
	v_and_b32_e32 v3, 0x7f800000, v4
	v_bfe_u32 v5, v4, 16, 1
	v_cmp_ne_u32_e64 s2, 0x7f800000, v3
	s_delay_alu instid0(VALU_DEP_2) | instskip(NEXT) | instid1(VALU_DEP_2)
	v_add3_u32 v3, v4, v5, 0x7fff
	s_and_saveexec_b32 s4, s2
	s_delay_alu instid0(SALU_CYCLE_1)
	s_xor_b32 s4, exec_lo, s4
; %bb.13:
	v_add3_u32 v7, v4, v5, 0x7fff
; %bb.14:
	s_or_saveexec_b32 s8, s4
	s_load_b64 s[4:5], s[0:1], 0x10
	v_and_b32_e32 v5, 0xffff, v4
	v_or_b32_e32 v6, 0x10000, v4
	s_xor_b32 exec_lo, exec_lo, s8
; %bb.15:
	s_delay_alu instid0(VALU_DEP_2) | instskip(NEXT) | instid1(VALU_DEP_1)
	v_cmp_eq_u32_e64 s0, 0, v5
	v_cndmask_b32_e64 v7, v6, v4, s0
; %bb.16:
	s_or_b32 exec_lo, exec_lo, s8
	v_add_nc_u32_e32 v8, -1, v2
	v_and_b32_e32 v9, 24, v2
	s_delay_alu instid0(VALU_DEP_3) | instskip(NEXT) | instid1(VALU_DEP_2)
	v_lshrrev_b32_e32 v7, 16, v7
	v_cmp_lt_i32_e64 s0, v8, v9
	s_delay_alu instid0(VALU_DEP_1) | instskip(NEXT) | instid1(VALU_DEP_1)
	v_cndmask_b32_e64 v2, v8, v2, s0
	v_lshlrev_b32_e32 v2, 2, v2
	ds_bpermute_b32 v2, v2, v7
	s_and_saveexec_b32 s0, s2
	s_delay_alu instid0(SALU_CYCLE_1)
	s_xor_b32 s0, exec_lo, s0
; %bb.17:
                                        ; implicit-def: $vgpr5
                                        ; implicit-def: $vgpr6
                                        ; implicit-def: $vgpr4
; %bb.18:
	s_delay_alu instid0(SALU_CYCLE_1)
	s_and_not1_saveexec_b32 s1, s0
; %bb.19:
	v_cmp_eq_u32_e64 s0, 0, v5
	s_delay_alu instid0(VALU_DEP_1)
	v_cndmask_b32_e64 v3, v6, v4, s0
; %bb.20:
	s_or_b32 exec_lo, exec_lo, s1
	s_waitcnt lgkmcnt(0)
	v_cndmask_b32_e64 v2, v2, s3, vcc_lo
	v_add_co_u32 v4, vcc_lo, s6, v0
	v_add_co_ci_u32_e32 v5, vcc_lo, s7, v1, vcc_lo
	v_add_co_u32 v0, vcc_lo, s4, v0
	v_add_co_ci_u32_e32 v1, vcc_lo, s5, v1, vcc_lo
	global_store_d16_hi_b16 v[4:5], v3, off
	global_store_b16 v[0:1], v2, off
	s_nop 0
	s_sendmsg sendmsg(MSG_DEALLOC_VGPRS)
	s_endpgm
	.section	.rodata,"a",@progbits
	.p2align	6, 0x0
	.amdhsa_kernel _Z16warp_scan_kernelI12hip_bfloat16Lj64ELj8EENSt9enable_ifIXsr10test_utilsE35device_test_enabled_for_warp_size_vIXT1_EEEvE4typeEPT_S5_S5_S4_
		.amdhsa_group_segment_fixed_size 0
		.amdhsa_private_segment_fixed_size 0
		.amdhsa_kernarg_size 288
		.amdhsa_user_sgpr_count 15
		.amdhsa_user_sgpr_dispatch_ptr 0
		.amdhsa_user_sgpr_queue_ptr 0
		.amdhsa_user_sgpr_kernarg_segment_ptr 1
		.amdhsa_user_sgpr_dispatch_id 0
		.amdhsa_user_sgpr_private_segment_size 0
		.amdhsa_wavefront_size32 1
		.amdhsa_uses_dynamic_stack 0
		.amdhsa_enable_private_segment 0
		.amdhsa_system_sgpr_workgroup_id_x 1
		.amdhsa_system_sgpr_workgroup_id_y 0
		.amdhsa_system_sgpr_workgroup_id_z 0
		.amdhsa_system_sgpr_workgroup_info 0
		.amdhsa_system_vgpr_workitem_id 0
		.amdhsa_next_free_vgpr 10
		.amdhsa_next_free_sgpr 16
		.amdhsa_reserve_vcc 1
		.amdhsa_float_round_mode_32 0
		.amdhsa_float_round_mode_16_64 0
		.amdhsa_float_denorm_mode_32 3
		.amdhsa_float_denorm_mode_16_64 3
		.amdhsa_dx10_clamp 1
		.amdhsa_ieee_mode 1
		.amdhsa_fp16_overflow 0
		.amdhsa_workgroup_processor_mode 1
		.amdhsa_memory_ordered 1
		.amdhsa_forward_progress 0
		.amdhsa_shared_vgpr_count 0
		.amdhsa_exception_fp_ieee_invalid_op 0
		.amdhsa_exception_fp_denorm_src 0
		.amdhsa_exception_fp_ieee_div_zero 0
		.amdhsa_exception_fp_ieee_overflow 0
		.amdhsa_exception_fp_ieee_underflow 0
		.amdhsa_exception_fp_ieee_inexact 0
		.amdhsa_exception_int_div_zero 0
	.end_amdhsa_kernel
	.section	.text._Z16warp_scan_kernelI12hip_bfloat16Lj64ELj8EENSt9enable_ifIXsr10test_utilsE35device_test_enabled_for_warp_size_vIXT1_EEEvE4typeEPT_S5_S5_S4_,"axG",@progbits,_Z16warp_scan_kernelI12hip_bfloat16Lj64ELj8EENSt9enable_ifIXsr10test_utilsE35device_test_enabled_for_warp_size_vIXT1_EEEvE4typeEPT_S5_S5_S4_,comdat
.Lfunc_end248:
	.size	_Z16warp_scan_kernelI12hip_bfloat16Lj64ELj8EENSt9enable_ifIXsr10test_utilsE35device_test_enabled_for_warp_size_vIXT1_EEEvE4typeEPT_S5_S5_S4_, .Lfunc_end248-_Z16warp_scan_kernelI12hip_bfloat16Lj64ELj8EENSt9enable_ifIXsr10test_utilsE35device_test_enabled_for_warp_size_vIXT1_EEEvE4typeEPT_S5_S5_S4_
                                        ; -- End function
	.section	.AMDGPU.csdata,"",@progbits
; Kernel info:
; codeLenInByte = 876
; NumSgprs: 18
; NumVgprs: 10
; ScratchSize: 0
; MemoryBound: 0
; FloatMode: 240
; IeeeMode: 1
; LDSByteSize: 0 bytes/workgroup (compile time only)
; SGPRBlocks: 2
; VGPRBlocks: 1
; NumSGPRsForWavesPerEU: 18
; NumVGPRsForWavesPerEU: 10
; Occupancy: 16
; WaveLimiterHint : 0
; COMPUTE_PGM_RSRC2:SCRATCH_EN: 0
; COMPUTE_PGM_RSRC2:USER_SGPR: 15
; COMPUTE_PGM_RSRC2:TRAP_HANDLER: 0
; COMPUTE_PGM_RSRC2:TGID_X_EN: 1
; COMPUTE_PGM_RSRC2:TGID_Y_EN: 0
; COMPUTE_PGM_RSRC2:TGID_Z_EN: 0
; COMPUTE_PGM_RSRC2:TIDIG_COMP_CNT: 0
	.section	.text._Z16warp_scan_kernelI12hip_bfloat16Lj32ELj4EENSt9enable_ifIXsr10test_utilsE35device_test_enabled_for_warp_size_vIXT1_EEEvE4typeEPT_S5_S5_S4_,"axG",@progbits,_Z16warp_scan_kernelI12hip_bfloat16Lj32ELj4EENSt9enable_ifIXsr10test_utilsE35device_test_enabled_for_warp_size_vIXT1_EEEvE4typeEPT_S5_S5_S4_,comdat
	.protected	_Z16warp_scan_kernelI12hip_bfloat16Lj32ELj4EENSt9enable_ifIXsr10test_utilsE35device_test_enabled_for_warp_size_vIXT1_EEEvE4typeEPT_S5_S5_S4_ ; -- Begin function _Z16warp_scan_kernelI12hip_bfloat16Lj32ELj4EENSt9enable_ifIXsr10test_utilsE35device_test_enabled_for_warp_size_vIXT1_EEEvE4typeEPT_S5_S5_S4_
	.globl	_Z16warp_scan_kernelI12hip_bfloat16Lj32ELj4EENSt9enable_ifIXsr10test_utilsE35device_test_enabled_for_warp_size_vIXT1_EEEvE4typeEPT_S5_S5_S4_
	.p2align	8
	.type	_Z16warp_scan_kernelI12hip_bfloat16Lj32ELj4EENSt9enable_ifIXsr10test_utilsE35device_test_enabled_for_warp_size_vIXT1_EEEvE4typeEPT_S5_S5_S4_,@function
_Z16warp_scan_kernelI12hip_bfloat16Lj32ELj4EENSt9enable_ifIXsr10test_utilsE35device_test_enabled_for_warp_size_vIXT1_EEEvE4typeEPT_S5_S5_S4_: ; @_Z16warp_scan_kernelI12hip_bfloat16Lj32ELj4EENSt9enable_ifIXsr10test_utilsE35device_test_enabled_for_warp_size_vIXT1_EEEvE4typeEPT_S5_S5_S4_
; %bb.0:
	s_clause 0x1
	s_load_b32 s2, s[0:1], 0x2c
	s_load_b128 s[4:7], s[0:1], 0x0
                                        ; implicit-def: $vgpr6
	s_waitcnt lgkmcnt(0)
	s_and_b32 s2, s2, 0xffff
	s_delay_alu instid0(SALU_CYCLE_1) | instskip(SKIP_2) | instid1(VALU_DEP_1)
	v_mad_u64_u32 v[1:2], null, s15, s2, v[0:1]
	v_mov_b32_e32 v2, 0
	s_mov_b32 s2, exec_lo
	v_lshlrev_b64 v[0:1], 1, v[1:2]
	s_delay_alu instid0(VALU_DEP_1) | instskip(NEXT) | instid1(VALU_DEP_2)
	v_add_co_u32 v2, vcc_lo, s4, v0
	v_add_co_ci_u32_e32 v3, vcc_lo, s5, v1, vcc_lo
	global_load_u16 v4, v[2:3], off
	s_waitcnt vmcnt(0)
	v_lshlrev_b32_e32 v5, 16, v4
	v_mov_b32_dpp v2, v4 row_shr:1 row_mask:0xf bank_mask:0xf
	s_delay_alu instid0(VALU_DEP_1) | instskip(NEXT) | instid1(VALU_DEP_1)
	v_lshlrev_b32_e32 v2, 16, v2
	v_add_f32_e32 v2, v5, v2
	s_delay_alu instid0(VALU_DEP_1) | instskip(NEXT) | instid1(VALU_DEP_1)
	v_and_b32_e32 v3, 0x7f800000, v2
	v_cmpx_ne_u32_e32 0x7f800000, v3
	s_xor_b32 s2, exec_lo, s2
; %bb.1:
	v_bfe_u32 v3, v2, 16, 1
	s_delay_alu instid0(VALU_DEP_1)
	v_add3_u32 v6, v2, v3, 0x7fff
                                        ; implicit-def: $vgpr2
; %bb.2:
	s_and_not1_saveexec_b32 s2, s2
; %bb.3:
	v_and_b32_e32 v3, 0xffff, v2
	v_or_b32_e32 v6, 0x10000, v2
	s_delay_alu instid0(VALU_DEP_2) | instskip(NEXT) | instid1(VALU_DEP_2)
	v_cmp_eq_u32_e32 vcc_lo, 0, v3
	v_cndmask_b32_e32 v6, v6, v2, vcc_lo
; %bb.4:
	s_or_b32 exec_lo, exec_lo, s2
	v_mbcnt_lo_u32_b32 v2, -1, 0
	s_delay_alu instid0(VALU_DEP_2) | instskip(SKIP_1) | instid1(VALU_DEP_3)
	v_and_b32_e32 v7, 0xffff0000, v6
	v_lshrrev_b32_e32 v6, 16, v6
	v_and_b32_e32 v3, 3, v2
	s_delay_alu instid0(VALU_DEP_1) | instskip(NEXT) | instid1(VALU_DEP_3)
	v_cmp_eq_u32_e32 vcc_lo, 0, v3
	v_cndmask_b32_e32 v4, v6, v4, vcc_lo
	s_delay_alu instid0(VALU_DEP_1) | instskip(NEXT) | instid1(VALU_DEP_1)
	v_mov_b32_dpp v6, v4 row_shr:2 row_mask:0xf bank_mask:0xf
	v_dual_cndmask_b32 v5, v7, v5 :: v_dual_lshlrev_b32 v6, 16, v6
	s_delay_alu instid0(VALU_DEP_1) | instskip(NEXT) | instid1(VALU_DEP_1)
	v_add_f32_e32 v5, v5, v6
	v_and_b32_e32 v6, 0x7f800000, v5
	s_delay_alu instid0(VALU_DEP_1) | instskip(NEXT) | instid1(VALU_DEP_1)
	v_cmp_ne_u32_e64 s2, 0x7f800000, v6
                                        ; implicit-def: $vgpr6
	s_and_saveexec_b32 s3, s2
	s_delay_alu instid0(SALU_CYCLE_1)
	s_xor_b32 s2, exec_lo, s3
; %bb.5:
	v_bfe_u32 v6, v5, 16, 1
	s_delay_alu instid0(VALU_DEP_1)
	v_add3_u32 v6, v5, v6, 0x7fff
                                        ; implicit-def: $vgpr5
; %bb.6:
	s_and_not1_saveexec_b32 s3, s2
; %bb.7:
	v_and_b32_e32 v6, 0xffff, v5
	v_or_b32_e32 v7, 0x10000, v5
	s_delay_alu instid0(VALU_DEP_2) | instskip(NEXT) | instid1(VALU_DEP_1)
	v_cmp_eq_u32_e64 s2, 0, v6
	v_cndmask_b32_e64 v6, v7, v5, s2
; %bb.8:
	s_or_b32 exec_lo, exec_lo, s3
	s_load_b32 s3, s[0:1], 0x18
	s_delay_alu instid0(VALU_DEP_1) | instskip(SKIP_1) | instid1(VALU_DEP_1)
	v_lshrrev_b32_e32 v5, 16, v6
	v_cmp_lt_u32_e64 s2, 1, v3
                                        ; implicit-def: $vgpr7
	v_cndmask_b32_e64 v3, v4, v5, s2
	s_delay_alu instid0(VALU_DEP_1)
	v_lshlrev_b32_e32 v3, 16, v3
	s_waitcnt lgkmcnt(0)
	s_lshl_b32 s2, s3, 16
	s_delay_alu instid0(VALU_DEP_1) | instid1(SALU_CYCLE_1)
	v_add_f32_e32 v4, s2, v3
	s_delay_alu instid0(VALU_DEP_1) | instskip(SKIP_1) | instid1(VALU_DEP_2)
	v_and_b32_e32 v3, 0x7f800000, v4
	v_bfe_u32 v5, v4, 16, 1
	v_cmp_ne_u32_e64 s2, 0x7f800000, v3
	s_delay_alu instid0(VALU_DEP_2) | instskip(NEXT) | instid1(VALU_DEP_2)
	v_add3_u32 v3, v4, v5, 0x7fff
	s_and_saveexec_b32 s4, s2
	s_delay_alu instid0(SALU_CYCLE_1)
	s_xor_b32 s4, exec_lo, s4
; %bb.9:
	v_add3_u32 v7, v4, v5, 0x7fff
; %bb.10:
	s_or_saveexec_b32 s8, s4
	s_load_b64 s[4:5], s[0:1], 0x10
	v_and_b32_e32 v5, 0xffff, v4
	v_or_b32_e32 v6, 0x10000, v4
	s_xor_b32 exec_lo, exec_lo, s8
; %bb.11:
	s_delay_alu instid0(VALU_DEP_2) | instskip(NEXT) | instid1(VALU_DEP_1)
	v_cmp_eq_u32_e64 s0, 0, v5
	v_cndmask_b32_e64 v7, v6, v4, s0
; %bb.12:
	s_or_b32 exec_lo, exec_lo, s8
	v_add_nc_u32_e32 v8, -1, v2
	v_and_b32_e32 v9, 28, v2
	s_delay_alu instid0(VALU_DEP_3) | instskip(NEXT) | instid1(VALU_DEP_2)
	v_lshrrev_b32_e32 v7, 16, v7
	v_cmp_lt_i32_e64 s0, v8, v9
	s_delay_alu instid0(VALU_DEP_1) | instskip(NEXT) | instid1(VALU_DEP_1)
	v_cndmask_b32_e64 v2, v8, v2, s0
	v_lshlrev_b32_e32 v2, 2, v2
	ds_bpermute_b32 v2, v2, v7
	s_and_saveexec_b32 s0, s2
	s_delay_alu instid0(SALU_CYCLE_1)
	s_xor_b32 s0, exec_lo, s0
; %bb.13:
                                        ; implicit-def: $vgpr5
                                        ; implicit-def: $vgpr6
                                        ; implicit-def: $vgpr4
; %bb.14:
	s_delay_alu instid0(SALU_CYCLE_1)
	s_and_not1_saveexec_b32 s1, s0
; %bb.15:
	v_cmp_eq_u32_e64 s0, 0, v5
	s_delay_alu instid0(VALU_DEP_1)
	v_cndmask_b32_e64 v3, v6, v4, s0
; %bb.16:
	s_or_b32 exec_lo, exec_lo, s1
	s_waitcnt lgkmcnt(0)
	v_cndmask_b32_e64 v2, v2, s3, vcc_lo
	v_add_co_u32 v4, vcc_lo, s6, v0
	v_add_co_ci_u32_e32 v5, vcc_lo, s7, v1, vcc_lo
	v_add_co_u32 v0, vcc_lo, s4, v0
	v_add_co_ci_u32_e32 v1, vcc_lo, s5, v1, vcc_lo
	global_store_d16_hi_b16 v[4:5], v3, off
	global_store_b16 v[0:1], v2, off
	s_nop 0
	s_sendmsg sendmsg(MSG_DEALLOC_VGPRS)
	s_endpgm
	.section	.rodata,"a",@progbits
	.p2align	6, 0x0
	.amdhsa_kernel _Z16warp_scan_kernelI12hip_bfloat16Lj32ELj4EENSt9enable_ifIXsr10test_utilsE35device_test_enabled_for_warp_size_vIXT1_EEEvE4typeEPT_S5_S5_S4_
		.amdhsa_group_segment_fixed_size 0
		.amdhsa_private_segment_fixed_size 0
		.amdhsa_kernarg_size 288
		.amdhsa_user_sgpr_count 15
		.amdhsa_user_sgpr_dispatch_ptr 0
		.amdhsa_user_sgpr_queue_ptr 0
		.amdhsa_user_sgpr_kernarg_segment_ptr 1
		.amdhsa_user_sgpr_dispatch_id 0
		.amdhsa_user_sgpr_private_segment_size 0
		.amdhsa_wavefront_size32 1
		.amdhsa_uses_dynamic_stack 0
		.amdhsa_enable_private_segment 0
		.amdhsa_system_sgpr_workgroup_id_x 1
		.amdhsa_system_sgpr_workgroup_id_y 0
		.amdhsa_system_sgpr_workgroup_id_z 0
		.amdhsa_system_sgpr_workgroup_info 0
		.amdhsa_system_vgpr_workitem_id 0
		.amdhsa_next_free_vgpr 10
		.amdhsa_next_free_sgpr 16
		.amdhsa_reserve_vcc 1
		.amdhsa_float_round_mode_32 0
		.amdhsa_float_round_mode_16_64 0
		.amdhsa_float_denorm_mode_32 3
		.amdhsa_float_denorm_mode_16_64 3
		.amdhsa_dx10_clamp 1
		.amdhsa_ieee_mode 1
		.amdhsa_fp16_overflow 0
		.amdhsa_workgroup_processor_mode 1
		.amdhsa_memory_ordered 1
		.amdhsa_forward_progress 0
		.amdhsa_shared_vgpr_count 0
		.amdhsa_exception_fp_ieee_invalid_op 0
		.amdhsa_exception_fp_denorm_src 0
		.amdhsa_exception_fp_ieee_div_zero 0
		.amdhsa_exception_fp_ieee_overflow 0
		.amdhsa_exception_fp_ieee_underflow 0
		.amdhsa_exception_fp_ieee_inexact 0
		.amdhsa_exception_int_div_zero 0
	.end_amdhsa_kernel
	.section	.text._Z16warp_scan_kernelI12hip_bfloat16Lj32ELj4EENSt9enable_ifIXsr10test_utilsE35device_test_enabled_for_warp_size_vIXT1_EEEvE4typeEPT_S5_S5_S4_,"axG",@progbits,_Z16warp_scan_kernelI12hip_bfloat16Lj32ELj4EENSt9enable_ifIXsr10test_utilsE35device_test_enabled_for_warp_size_vIXT1_EEEvE4typeEPT_S5_S5_S4_,comdat
.Lfunc_end249:
	.size	_Z16warp_scan_kernelI12hip_bfloat16Lj32ELj4EENSt9enable_ifIXsr10test_utilsE35device_test_enabled_for_warp_size_vIXT1_EEEvE4typeEPT_S5_S5_S4_, .Lfunc_end249-_Z16warp_scan_kernelI12hip_bfloat16Lj32ELj4EENSt9enable_ifIXsr10test_utilsE35device_test_enabled_for_warp_size_vIXT1_EEEvE4typeEPT_S5_S5_S4_
                                        ; -- End function
	.section	.AMDGPU.csdata,"",@progbits
; Kernel info:
; codeLenInByte = 708
; NumSgprs: 18
; NumVgprs: 10
; ScratchSize: 0
; MemoryBound: 0
; FloatMode: 240
; IeeeMode: 1
; LDSByteSize: 0 bytes/workgroup (compile time only)
; SGPRBlocks: 2
; VGPRBlocks: 1
; NumSGPRsForWavesPerEU: 18
; NumVGPRsForWavesPerEU: 10
; Occupancy: 16
; WaveLimiterHint : 0
; COMPUTE_PGM_RSRC2:SCRATCH_EN: 0
; COMPUTE_PGM_RSRC2:USER_SGPR: 15
; COMPUTE_PGM_RSRC2:TRAP_HANDLER: 0
; COMPUTE_PGM_RSRC2:TGID_X_EN: 1
; COMPUTE_PGM_RSRC2:TGID_Y_EN: 0
; COMPUTE_PGM_RSRC2:TGID_Z_EN: 0
; COMPUTE_PGM_RSRC2:TIDIG_COMP_CNT: 0
	.section	.text._Z16warp_scan_kernelI12hip_bfloat16Lj64ELj4EENSt9enable_ifIXsr10test_utilsE35device_test_enabled_for_warp_size_vIXT1_EEEvE4typeEPT_S5_S5_S4_,"axG",@progbits,_Z16warp_scan_kernelI12hip_bfloat16Lj64ELj4EENSt9enable_ifIXsr10test_utilsE35device_test_enabled_for_warp_size_vIXT1_EEEvE4typeEPT_S5_S5_S4_,comdat
	.protected	_Z16warp_scan_kernelI12hip_bfloat16Lj64ELj4EENSt9enable_ifIXsr10test_utilsE35device_test_enabled_for_warp_size_vIXT1_EEEvE4typeEPT_S5_S5_S4_ ; -- Begin function _Z16warp_scan_kernelI12hip_bfloat16Lj64ELj4EENSt9enable_ifIXsr10test_utilsE35device_test_enabled_for_warp_size_vIXT1_EEEvE4typeEPT_S5_S5_S4_
	.globl	_Z16warp_scan_kernelI12hip_bfloat16Lj64ELj4EENSt9enable_ifIXsr10test_utilsE35device_test_enabled_for_warp_size_vIXT1_EEEvE4typeEPT_S5_S5_S4_
	.p2align	8
	.type	_Z16warp_scan_kernelI12hip_bfloat16Lj64ELj4EENSt9enable_ifIXsr10test_utilsE35device_test_enabled_for_warp_size_vIXT1_EEEvE4typeEPT_S5_S5_S4_,@function
_Z16warp_scan_kernelI12hip_bfloat16Lj64ELj4EENSt9enable_ifIXsr10test_utilsE35device_test_enabled_for_warp_size_vIXT1_EEEvE4typeEPT_S5_S5_S4_: ; @_Z16warp_scan_kernelI12hip_bfloat16Lj64ELj4EENSt9enable_ifIXsr10test_utilsE35device_test_enabled_for_warp_size_vIXT1_EEEvE4typeEPT_S5_S5_S4_
; %bb.0:
	s_clause 0x1
	s_load_b32 s2, s[0:1], 0x2c
	s_load_b128 s[4:7], s[0:1], 0x0
                                        ; implicit-def: $vgpr6
	s_waitcnt lgkmcnt(0)
	s_and_b32 s2, s2, 0xffff
	s_delay_alu instid0(SALU_CYCLE_1) | instskip(SKIP_2) | instid1(VALU_DEP_1)
	v_mad_u64_u32 v[1:2], null, s15, s2, v[0:1]
	v_mov_b32_e32 v2, 0
	s_mov_b32 s2, exec_lo
	v_lshlrev_b64 v[0:1], 1, v[1:2]
	s_delay_alu instid0(VALU_DEP_1) | instskip(NEXT) | instid1(VALU_DEP_2)
	v_add_co_u32 v2, vcc_lo, s4, v0
	v_add_co_ci_u32_e32 v3, vcc_lo, s5, v1, vcc_lo
	global_load_u16 v4, v[2:3], off
	s_waitcnt vmcnt(0)
	v_lshlrev_b32_e32 v5, 16, v4
	v_mov_b32_dpp v2, v4 row_shr:1 row_mask:0xf bank_mask:0xf
	s_delay_alu instid0(VALU_DEP_1) | instskip(NEXT) | instid1(VALU_DEP_1)
	v_lshlrev_b32_e32 v2, 16, v2
	v_add_f32_e32 v2, v5, v2
	s_delay_alu instid0(VALU_DEP_1) | instskip(NEXT) | instid1(VALU_DEP_1)
	v_and_b32_e32 v3, 0x7f800000, v2
	v_cmpx_ne_u32_e32 0x7f800000, v3
	s_xor_b32 s2, exec_lo, s2
; %bb.1:
	v_bfe_u32 v3, v2, 16, 1
	s_delay_alu instid0(VALU_DEP_1)
	v_add3_u32 v6, v2, v3, 0x7fff
                                        ; implicit-def: $vgpr2
; %bb.2:
	s_and_not1_saveexec_b32 s2, s2
; %bb.3:
	v_and_b32_e32 v3, 0xffff, v2
	v_or_b32_e32 v6, 0x10000, v2
	s_delay_alu instid0(VALU_DEP_2) | instskip(NEXT) | instid1(VALU_DEP_2)
	v_cmp_eq_u32_e32 vcc_lo, 0, v3
	v_cndmask_b32_e32 v6, v6, v2, vcc_lo
; %bb.4:
	s_or_b32 exec_lo, exec_lo, s2
	v_mbcnt_lo_u32_b32 v2, -1, 0
	s_delay_alu instid0(VALU_DEP_2) | instskip(SKIP_1) | instid1(VALU_DEP_3)
	v_and_b32_e32 v7, 0xffff0000, v6
	v_lshrrev_b32_e32 v6, 16, v6
	v_and_b32_e32 v3, 3, v2
	s_delay_alu instid0(VALU_DEP_1) | instskip(NEXT) | instid1(VALU_DEP_3)
	v_cmp_eq_u32_e32 vcc_lo, 0, v3
	v_cndmask_b32_e32 v4, v6, v4, vcc_lo
	s_delay_alu instid0(VALU_DEP_1) | instskip(NEXT) | instid1(VALU_DEP_1)
	v_mov_b32_dpp v6, v4 row_shr:2 row_mask:0xf bank_mask:0xf
	v_dual_cndmask_b32 v5, v7, v5 :: v_dual_lshlrev_b32 v6, 16, v6
	s_delay_alu instid0(VALU_DEP_1) | instskip(NEXT) | instid1(VALU_DEP_1)
	v_add_f32_e32 v5, v5, v6
	v_and_b32_e32 v6, 0x7f800000, v5
	s_delay_alu instid0(VALU_DEP_1) | instskip(NEXT) | instid1(VALU_DEP_1)
	v_cmp_ne_u32_e64 s2, 0x7f800000, v6
                                        ; implicit-def: $vgpr6
	s_and_saveexec_b32 s3, s2
	s_delay_alu instid0(SALU_CYCLE_1)
	s_xor_b32 s2, exec_lo, s3
; %bb.5:
	v_bfe_u32 v6, v5, 16, 1
	s_delay_alu instid0(VALU_DEP_1)
	v_add3_u32 v6, v5, v6, 0x7fff
                                        ; implicit-def: $vgpr5
; %bb.6:
	s_and_not1_saveexec_b32 s3, s2
; %bb.7:
	v_and_b32_e32 v6, 0xffff, v5
	v_or_b32_e32 v7, 0x10000, v5
	s_delay_alu instid0(VALU_DEP_2) | instskip(NEXT) | instid1(VALU_DEP_1)
	v_cmp_eq_u32_e64 s2, 0, v6
	v_cndmask_b32_e64 v6, v7, v5, s2
; %bb.8:
	s_or_b32 exec_lo, exec_lo, s3
	s_load_b32 s3, s[0:1], 0x18
	s_delay_alu instid0(VALU_DEP_1) | instskip(SKIP_1) | instid1(VALU_DEP_1)
	v_lshrrev_b32_e32 v5, 16, v6
	v_cmp_lt_u32_e64 s2, 1, v3
                                        ; implicit-def: $vgpr7
	v_cndmask_b32_e64 v3, v4, v5, s2
	s_delay_alu instid0(VALU_DEP_1)
	v_lshlrev_b32_e32 v3, 16, v3
	s_waitcnt lgkmcnt(0)
	s_lshl_b32 s2, s3, 16
	s_delay_alu instid0(VALU_DEP_1) | instid1(SALU_CYCLE_1)
	v_add_f32_e32 v4, s2, v3
	s_delay_alu instid0(VALU_DEP_1) | instskip(SKIP_1) | instid1(VALU_DEP_2)
	v_and_b32_e32 v3, 0x7f800000, v4
	v_bfe_u32 v5, v4, 16, 1
	v_cmp_ne_u32_e64 s2, 0x7f800000, v3
	s_delay_alu instid0(VALU_DEP_2) | instskip(NEXT) | instid1(VALU_DEP_2)
	v_add3_u32 v3, v4, v5, 0x7fff
	s_and_saveexec_b32 s4, s2
	s_delay_alu instid0(SALU_CYCLE_1)
	s_xor_b32 s4, exec_lo, s4
; %bb.9:
	v_add3_u32 v7, v4, v5, 0x7fff
; %bb.10:
	s_or_saveexec_b32 s8, s4
	s_load_b64 s[4:5], s[0:1], 0x10
	v_and_b32_e32 v5, 0xffff, v4
	v_or_b32_e32 v6, 0x10000, v4
	s_xor_b32 exec_lo, exec_lo, s8
; %bb.11:
	s_delay_alu instid0(VALU_DEP_2) | instskip(NEXT) | instid1(VALU_DEP_1)
	v_cmp_eq_u32_e64 s0, 0, v5
	v_cndmask_b32_e64 v7, v6, v4, s0
; %bb.12:
	s_or_b32 exec_lo, exec_lo, s8
	v_add_nc_u32_e32 v8, -1, v2
	v_and_b32_e32 v9, 28, v2
	s_delay_alu instid0(VALU_DEP_3) | instskip(NEXT) | instid1(VALU_DEP_2)
	v_lshrrev_b32_e32 v7, 16, v7
	v_cmp_lt_i32_e64 s0, v8, v9
	s_delay_alu instid0(VALU_DEP_1) | instskip(NEXT) | instid1(VALU_DEP_1)
	v_cndmask_b32_e64 v2, v8, v2, s0
	v_lshlrev_b32_e32 v2, 2, v2
	ds_bpermute_b32 v2, v2, v7
	s_and_saveexec_b32 s0, s2
	s_delay_alu instid0(SALU_CYCLE_1)
	s_xor_b32 s0, exec_lo, s0
; %bb.13:
                                        ; implicit-def: $vgpr5
                                        ; implicit-def: $vgpr6
                                        ; implicit-def: $vgpr4
; %bb.14:
	s_delay_alu instid0(SALU_CYCLE_1)
	s_and_not1_saveexec_b32 s1, s0
; %bb.15:
	v_cmp_eq_u32_e64 s0, 0, v5
	s_delay_alu instid0(VALU_DEP_1)
	v_cndmask_b32_e64 v3, v6, v4, s0
; %bb.16:
	s_or_b32 exec_lo, exec_lo, s1
	s_waitcnt lgkmcnt(0)
	v_cndmask_b32_e64 v2, v2, s3, vcc_lo
	v_add_co_u32 v4, vcc_lo, s6, v0
	v_add_co_ci_u32_e32 v5, vcc_lo, s7, v1, vcc_lo
	v_add_co_u32 v0, vcc_lo, s4, v0
	v_add_co_ci_u32_e32 v1, vcc_lo, s5, v1, vcc_lo
	global_store_d16_hi_b16 v[4:5], v3, off
	global_store_b16 v[0:1], v2, off
	s_nop 0
	s_sendmsg sendmsg(MSG_DEALLOC_VGPRS)
	s_endpgm
	.section	.rodata,"a",@progbits
	.p2align	6, 0x0
	.amdhsa_kernel _Z16warp_scan_kernelI12hip_bfloat16Lj64ELj4EENSt9enable_ifIXsr10test_utilsE35device_test_enabled_for_warp_size_vIXT1_EEEvE4typeEPT_S5_S5_S4_
		.amdhsa_group_segment_fixed_size 0
		.amdhsa_private_segment_fixed_size 0
		.amdhsa_kernarg_size 288
		.amdhsa_user_sgpr_count 15
		.amdhsa_user_sgpr_dispatch_ptr 0
		.amdhsa_user_sgpr_queue_ptr 0
		.amdhsa_user_sgpr_kernarg_segment_ptr 1
		.amdhsa_user_sgpr_dispatch_id 0
		.amdhsa_user_sgpr_private_segment_size 0
		.amdhsa_wavefront_size32 1
		.amdhsa_uses_dynamic_stack 0
		.amdhsa_enable_private_segment 0
		.amdhsa_system_sgpr_workgroup_id_x 1
		.amdhsa_system_sgpr_workgroup_id_y 0
		.amdhsa_system_sgpr_workgroup_id_z 0
		.amdhsa_system_sgpr_workgroup_info 0
		.amdhsa_system_vgpr_workitem_id 0
		.amdhsa_next_free_vgpr 10
		.amdhsa_next_free_sgpr 16
		.amdhsa_reserve_vcc 1
		.amdhsa_float_round_mode_32 0
		.amdhsa_float_round_mode_16_64 0
		.amdhsa_float_denorm_mode_32 3
		.amdhsa_float_denorm_mode_16_64 3
		.amdhsa_dx10_clamp 1
		.amdhsa_ieee_mode 1
		.amdhsa_fp16_overflow 0
		.amdhsa_workgroup_processor_mode 1
		.amdhsa_memory_ordered 1
		.amdhsa_forward_progress 0
		.amdhsa_shared_vgpr_count 0
		.amdhsa_exception_fp_ieee_invalid_op 0
		.amdhsa_exception_fp_denorm_src 0
		.amdhsa_exception_fp_ieee_div_zero 0
		.amdhsa_exception_fp_ieee_overflow 0
		.amdhsa_exception_fp_ieee_underflow 0
		.amdhsa_exception_fp_ieee_inexact 0
		.amdhsa_exception_int_div_zero 0
	.end_amdhsa_kernel
	.section	.text._Z16warp_scan_kernelI12hip_bfloat16Lj64ELj4EENSt9enable_ifIXsr10test_utilsE35device_test_enabled_for_warp_size_vIXT1_EEEvE4typeEPT_S5_S5_S4_,"axG",@progbits,_Z16warp_scan_kernelI12hip_bfloat16Lj64ELj4EENSt9enable_ifIXsr10test_utilsE35device_test_enabled_for_warp_size_vIXT1_EEEvE4typeEPT_S5_S5_S4_,comdat
.Lfunc_end250:
	.size	_Z16warp_scan_kernelI12hip_bfloat16Lj64ELj4EENSt9enable_ifIXsr10test_utilsE35device_test_enabled_for_warp_size_vIXT1_EEEvE4typeEPT_S5_S5_S4_, .Lfunc_end250-_Z16warp_scan_kernelI12hip_bfloat16Lj64ELj4EENSt9enable_ifIXsr10test_utilsE35device_test_enabled_for_warp_size_vIXT1_EEEvE4typeEPT_S5_S5_S4_
                                        ; -- End function
	.section	.AMDGPU.csdata,"",@progbits
; Kernel info:
; codeLenInByte = 708
; NumSgprs: 18
; NumVgprs: 10
; ScratchSize: 0
; MemoryBound: 0
; FloatMode: 240
; IeeeMode: 1
; LDSByteSize: 0 bytes/workgroup (compile time only)
; SGPRBlocks: 2
; VGPRBlocks: 1
; NumSGPRsForWavesPerEU: 18
; NumVGPRsForWavesPerEU: 10
; Occupancy: 16
; WaveLimiterHint : 0
; COMPUTE_PGM_RSRC2:SCRATCH_EN: 0
; COMPUTE_PGM_RSRC2:USER_SGPR: 15
; COMPUTE_PGM_RSRC2:TRAP_HANDLER: 0
; COMPUTE_PGM_RSRC2:TGID_X_EN: 1
; COMPUTE_PGM_RSRC2:TGID_Y_EN: 0
; COMPUTE_PGM_RSRC2:TGID_Z_EN: 0
; COMPUTE_PGM_RSRC2:TIDIG_COMP_CNT: 0
	.section	.text._Z16warp_scan_kernelI12hip_bfloat16Lj32ELj2EENSt9enable_ifIXsr10test_utilsE35device_test_enabled_for_warp_size_vIXT1_EEEvE4typeEPT_S5_S5_S4_,"axG",@progbits,_Z16warp_scan_kernelI12hip_bfloat16Lj32ELj2EENSt9enable_ifIXsr10test_utilsE35device_test_enabled_for_warp_size_vIXT1_EEEvE4typeEPT_S5_S5_S4_,comdat
	.protected	_Z16warp_scan_kernelI12hip_bfloat16Lj32ELj2EENSt9enable_ifIXsr10test_utilsE35device_test_enabled_for_warp_size_vIXT1_EEEvE4typeEPT_S5_S5_S4_ ; -- Begin function _Z16warp_scan_kernelI12hip_bfloat16Lj32ELj2EENSt9enable_ifIXsr10test_utilsE35device_test_enabled_for_warp_size_vIXT1_EEEvE4typeEPT_S5_S5_S4_
	.globl	_Z16warp_scan_kernelI12hip_bfloat16Lj32ELj2EENSt9enable_ifIXsr10test_utilsE35device_test_enabled_for_warp_size_vIXT1_EEEvE4typeEPT_S5_S5_S4_
	.p2align	8
	.type	_Z16warp_scan_kernelI12hip_bfloat16Lj32ELj2EENSt9enable_ifIXsr10test_utilsE35device_test_enabled_for_warp_size_vIXT1_EEEvE4typeEPT_S5_S5_S4_,@function
_Z16warp_scan_kernelI12hip_bfloat16Lj32ELj2EENSt9enable_ifIXsr10test_utilsE35device_test_enabled_for_warp_size_vIXT1_EEEvE4typeEPT_S5_S5_S4_: ; @_Z16warp_scan_kernelI12hip_bfloat16Lj32ELj2EENSt9enable_ifIXsr10test_utilsE35device_test_enabled_for_warp_size_vIXT1_EEEvE4typeEPT_S5_S5_S4_
; %bb.0:
	s_clause 0x1
	s_load_b32 s2, s[0:1], 0x2c
	s_load_b128 s[4:7], s[0:1], 0x0
	s_waitcnt lgkmcnt(0)
	s_and_b32 s2, s2, 0xffff
	s_delay_alu instid0(SALU_CYCLE_1) | instskip(SKIP_1) | instid1(VALU_DEP_1)
	v_mad_u64_u32 v[1:2], null, s15, s2, v[0:1]
	v_mov_b32_e32 v2, 0
	v_lshlrev_b64 v[0:1], 1, v[1:2]
	s_delay_alu instid0(VALU_DEP_1) | instskip(NEXT) | instid1(VALU_DEP_2)
	v_add_co_u32 v2, vcc_lo, s4, v0
	v_add_co_ci_u32_e32 v3, vcc_lo, s5, v1, vcc_lo
	global_load_u16 v2, v[2:3], off
	s_waitcnt vmcnt(0)
	v_and_b32_e32 v3, 0xffff, v2
	v_lshlrev_b32_e32 v5, 16, v2
	s_delay_alu instid0(VALU_DEP_2) | instskip(NEXT) | instid1(VALU_DEP_1)
	v_mov_b32_dpp v3, v3 row_shr:1 row_mask:0xf bank_mask:0xf
	v_lshlrev_b32_e32 v3, 16, v3
	s_delay_alu instid0(VALU_DEP_1) | instskip(NEXT) | instid1(VALU_DEP_1)
	v_add_f32_e32 v4, v5, v3
	v_and_b32_e32 v3, 0x7f800000, v4
	s_delay_alu instid0(VALU_DEP_1) | instskip(SKIP_1) | instid1(SALU_CYCLE_1)
	v_cmp_ne_u32_e32 vcc_lo, 0x7f800000, v3
                                        ; implicit-def: $vgpr3
	s_and_saveexec_b32 s2, vcc_lo
	s_xor_b32 s2, exec_lo, s2
; %bb.1:
	v_bfe_u32 v3, v4, 16, 1
	s_delay_alu instid0(VALU_DEP_1)
	v_add3_u32 v3, v4, v3, 0x7fff
                                        ; implicit-def: $vgpr4
; %bb.2:
	s_and_not1_saveexec_b32 s2, s2
; %bb.3:
	v_and_b32_e32 v3, 0xffff, v4
	v_or_b32_e32 v6, 0x10000, v4
	s_delay_alu instid0(VALU_DEP_2) | instskip(NEXT) | instid1(VALU_DEP_2)
	v_cmp_eq_u32_e32 vcc_lo, 0, v3
	v_cndmask_b32_e32 v3, v6, v4, vcc_lo
; %bb.4:
	s_or_b32 exec_lo, exec_lo, s2
	s_load_b32 s4, s[0:1], 0x18
	v_mbcnt_lo_u32_b32 v4, -1, 0
	s_waitcnt lgkmcnt(0)
	s_lshl_b32 s5, s4, 16
	v_and_b32_e32 v7, 0xffff0000, v3
	s_delay_alu instid0(VALU_DEP_2) | instskip(NEXT) | instid1(VALU_DEP_1)
	v_and_b32_e32 v6, 1, v4
	v_cmp_eq_u32_e32 vcc_lo, 0, v6
	s_delay_alu instid0(VALU_DEP_3) | instskip(NEXT) | instid1(VALU_DEP_1)
	v_cndmask_b32_e32 v5, v7, v5, vcc_lo
	v_add_f32_e32 v6, s5, v5
	s_delay_alu instid0(VALU_DEP_1) | instskip(NEXT) | instid1(VALU_DEP_1)
	v_and_b32_e32 v5, 0x7f800000, v6
	v_cmp_ne_u32_e64 s2, 0x7f800000, v5
                                        ; implicit-def: $vgpr5
	s_delay_alu instid0(VALU_DEP_1) | instskip(NEXT) | instid1(SALU_CYCLE_1)
	s_and_saveexec_b32 s3, s2
	s_xor_b32 s2, exec_lo, s3
; %bb.5:
	v_bfe_u32 v5, v6, 16, 1
	s_delay_alu instid0(VALU_DEP_1)
	v_add3_u32 v5, v6, v5, 0x7fff
                                        ; implicit-def: $vgpr6
; %bb.6:
	s_or_saveexec_b32 s8, s2
	s_load_b64 s[2:3], s[0:1], 0x10
	s_xor_b32 exec_lo, exec_lo, s8
; %bb.7:
	v_and_b32_e32 v5, 0xffff, v6
	v_or_b32_e32 v7, 0x10000, v6
	s_delay_alu instid0(VALU_DEP_2) | instskip(NEXT) | instid1(VALU_DEP_1)
	v_cmp_eq_u32_e64 s0, 0, v5
	v_cndmask_b32_e64 v5, v7, v6, s0
; %bb.8:
	s_or_b32 exec_lo, exec_lo, s8
	v_lshrrev_b32_e32 v3, 16, v3
	v_add_nc_u32_e32 v6, -1, v4
	s_delay_alu instid0(VALU_DEP_3) | instskip(NEXT) | instid1(VALU_DEP_3)
	v_lshrrev_b32_e32 v5, 16, v5
	v_cndmask_b32_e32 v3, v3, v2, vcc_lo
	s_delay_alu instid0(VALU_DEP_1) | instskip(SKIP_1) | instid1(VALU_DEP_1)
	v_lshlrev_b32_e32 v3, 16, v3
	v_and_b32_e32 v7, 30, v4
	v_cmp_lt_i32_e64 s0, v6, v7
	s_delay_alu instid0(VALU_DEP_1) | instskip(NEXT) | instid1(VALU_DEP_1)
	v_cndmask_b32_e64 v4, v6, v4, s0
	v_lshlrev_b32_e32 v4, 2, v4
	ds_bpermute_b32 v2, v4, v5
	v_add_f32_e32 v4, s5, v3
	s_delay_alu instid0(VALU_DEP_1) | instskip(NEXT) | instid1(VALU_DEP_1)
	v_and_b32_e32 v3, 0x7f800000, v4
	v_cmp_ne_u32_e64 s0, 0x7f800000, v3
                                        ; implicit-def: $vgpr3
	s_delay_alu instid0(VALU_DEP_1) | instskip(NEXT) | instid1(SALU_CYCLE_1)
	s_and_saveexec_b32 s1, s0
	s_xor_b32 s0, exec_lo, s1
; %bb.9:
	v_bfe_u32 v3, v4, 16, 1
	s_delay_alu instid0(VALU_DEP_1)
	v_add3_u32 v3, v4, v3, 0x7fff
                                        ; implicit-def: $vgpr4
; %bb.10:
	s_and_not1_saveexec_b32 s1, s0
; %bb.11:
	v_and_b32_e32 v3, 0xffff, v4
	v_or_b32_e32 v5, 0x10000, v4
	s_delay_alu instid0(VALU_DEP_2) | instskip(NEXT) | instid1(VALU_DEP_1)
	v_cmp_eq_u32_e64 s0, 0, v3
	v_cndmask_b32_e64 v3, v5, v4, s0
; %bb.12:
	s_or_b32 exec_lo, exec_lo, s1
	s_waitcnt lgkmcnt(0)
	v_cndmask_b32_e64 v2, v2, s4, vcc_lo
	v_add_co_u32 v4, vcc_lo, s6, v0
	v_add_co_ci_u32_e32 v5, vcc_lo, s7, v1, vcc_lo
	v_add_co_u32 v0, vcc_lo, s2, v0
	v_add_co_ci_u32_e32 v1, vcc_lo, s3, v1, vcc_lo
	global_store_d16_hi_b16 v[4:5], v3, off
	global_store_b16 v[0:1], v2, off
	s_nop 0
	s_sendmsg sendmsg(MSG_DEALLOC_VGPRS)
	s_endpgm
	.section	.rodata,"a",@progbits
	.p2align	6, 0x0
	.amdhsa_kernel _Z16warp_scan_kernelI12hip_bfloat16Lj32ELj2EENSt9enable_ifIXsr10test_utilsE35device_test_enabled_for_warp_size_vIXT1_EEEvE4typeEPT_S5_S5_S4_
		.amdhsa_group_segment_fixed_size 0
		.amdhsa_private_segment_fixed_size 0
		.amdhsa_kernarg_size 288
		.amdhsa_user_sgpr_count 15
		.amdhsa_user_sgpr_dispatch_ptr 0
		.amdhsa_user_sgpr_queue_ptr 0
		.amdhsa_user_sgpr_kernarg_segment_ptr 1
		.amdhsa_user_sgpr_dispatch_id 0
		.amdhsa_user_sgpr_private_segment_size 0
		.amdhsa_wavefront_size32 1
		.amdhsa_uses_dynamic_stack 0
		.amdhsa_enable_private_segment 0
		.amdhsa_system_sgpr_workgroup_id_x 1
		.amdhsa_system_sgpr_workgroup_id_y 0
		.amdhsa_system_sgpr_workgroup_id_z 0
		.amdhsa_system_sgpr_workgroup_info 0
		.amdhsa_system_vgpr_workitem_id 0
		.amdhsa_next_free_vgpr 8
		.amdhsa_next_free_sgpr 16
		.amdhsa_reserve_vcc 1
		.amdhsa_float_round_mode_32 0
		.amdhsa_float_round_mode_16_64 0
		.amdhsa_float_denorm_mode_32 3
		.amdhsa_float_denorm_mode_16_64 3
		.amdhsa_dx10_clamp 1
		.amdhsa_ieee_mode 1
		.amdhsa_fp16_overflow 0
		.amdhsa_workgroup_processor_mode 1
		.amdhsa_memory_ordered 1
		.amdhsa_forward_progress 0
		.amdhsa_shared_vgpr_count 0
		.amdhsa_exception_fp_ieee_invalid_op 0
		.amdhsa_exception_fp_denorm_src 0
		.amdhsa_exception_fp_ieee_div_zero 0
		.amdhsa_exception_fp_ieee_overflow 0
		.amdhsa_exception_fp_ieee_underflow 0
		.amdhsa_exception_fp_ieee_inexact 0
		.amdhsa_exception_int_div_zero 0
	.end_amdhsa_kernel
	.section	.text._Z16warp_scan_kernelI12hip_bfloat16Lj32ELj2EENSt9enable_ifIXsr10test_utilsE35device_test_enabled_for_warp_size_vIXT1_EEEvE4typeEPT_S5_S5_S4_,"axG",@progbits,_Z16warp_scan_kernelI12hip_bfloat16Lj32ELj2EENSt9enable_ifIXsr10test_utilsE35device_test_enabled_for_warp_size_vIXT1_EEEvE4typeEPT_S5_S5_S4_,comdat
.Lfunc_end251:
	.size	_Z16warp_scan_kernelI12hip_bfloat16Lj32ELj2EENSt9enable_ifIXsr10test_utilsE35device_test_enabled_for_warp_size_vIXT1_EEEvE4typeEPT_S5_S5_S4_, .Lfunc_end251-_Z16warp_scan_kernelI12hip_bfloat16Lj32ELj2EENSt9enable_ifIXsr10test_utilsE35device_test_enabled_for_warp_size_vIXT1_EEEvE4typeEPT_S5_S5_S4_
                                        ; -- End function
	.section	.AMDGPU.csdata,"",@progbits
; Kernel info:
; codeLenInByte = 616
; NumSgprs: 18
; NumVgprs: 8
; ScratchSize: 0
; MemoryBound: 0
; FloatMode: 240
; IeeeMode: 1
; LDSByteSize: 0 bytes/workgroup (compile time only)
; SGPRBlocks: 2
; VGPRBlocks: 0
; NumSGPRsForWavesPerEU: 18
; NumVGPRsForWavesPerEU: 8
; Occupancy: 16
; WaveLimiterHint : 0
; COMPUTE_PGM_RSRC2:SCRATCH_EN: 0
; COMPUTE_PGM_RSRC2:USER_SGPR: 15
; COMPUTE_PGM_RSRC2:TRAP_HANDLER: 0
; COMPUTE_PGM_RSRC2:TGID_X_EN: 1
; COMPUTE_PGM_RSRC2:TGID_Y_EN: 0
; COMPUTE_PGM_RSRC2:TGID_Z_EN: 0
; COMPUTE_PGM_RSRC2:TIDIG_COMP_CNT: 0
	.section	.text._Z16warp_scan_kernelI12hip_bfloat16Lj64ELj2EENSt9enable_ifIXsr10test_utilsE35device_test_enabled_for_warp_size_vIXT1_EEEvE4typeEPT_S5_S5_S4_,"axG",@progbits,_Z16warp_scan_kernelI12hip_bfloat16Lj64ELj2EENSt9enable_ifIXsr10test_utilsE35device_test_enabled_for_warp_size_vIXT1_EEEvE4typeEPT_S5_S5_S4_,comdat
	.protected	_Z16warp_scan_kernelI12hip_bfloat16Lj64ELj2EENSt9enable_ifIXsr10test_utilsE35device_test_enabled_for_warp_size_vIXT1_EEEvE4typeEPT_S5_S5_S4_ ; -- Begin function _Z16warp_scan_kernelI12hip_bfloat16Lj64ELj2EENSt9enable_ifIXsr10test_utilsE35device_test_enabled_for_warp_size_vIXT1_EEEvE4typeEPT_S5_S5_S4_
	.globl	_Z16warp_scan_kernelI12hip_bfloat16Lj64ELj2EENSt9enable_ifIXsr10test_utilsE35device_test_enabled_for_warp_size_vIXT1_EEEvE4typeEPT_S5_S5_S4_
	.p2align	8
	.type	_Z16warp_scan_kernelI12hip_bfloat16Lj64ELj2EENSt9enable_ifIXsr10test_utilsE35device_test_enabled_for_warp_size_vIXT1_EEEvE4typeEPT_S5_S5_S4_,@function
_Z16warp_scan_kernelI12hip_bfloat16Lj64ELj2EENSt9enable_ifIXsr10test_utilsE35device_test_enabled_for_warp_size_vIXT1_EEEvE4typeEPT_S5_S5_S4_: ; @_Z16warp_scan_kernelI12hip_bfloat16Lj64ELj2EENSt9enable_ifIXsr10test_utilsE35device_test_enabled_for_warp_size_vIXT1_EEEvE4typeEPT_S5_S5_S4_
; %bb.0:
	s_clause 0x1
	s_load_b32 s2, s[0:1], 0x2c
	s_load_b128 s[4:7], s[0:1], 0x0
	s_waitcnt lgkmcnt(0)
	s_and_b32 s2, s2, 0xffff
	s_delay_alu instid0(SALU_CYCLE_1) | instskip(SKIP_1) | instid1(VALU_DEP_1)
	v_mad_u64_u32 v[1:2], null, s15, s2, v[0:1]
	v_mov_b32_e32 v2, 0
	v_lshlrev_b64 v[0:1], 1, v[1:2]
	s_delay_alu instid0(VALU_DEP_1) | instskip(NEXT) | instid1(VALU_DEP_2)
	v_add_co_u32 v2, vcc_lo, s4, v0
	v_add_co_ci_u32_e32 v3, vcc_lo, s5, v1, vcc_lo
	global_load_u16 v2, v[2:3], off
	s_waitcnt vmcnt(0)
	v_and_b32_e32 v3, 0xffff, v2
	v_lshlrev_b32_e32 v5, 16, v2
	s_delay_alu instid0(VALU_DEP_2) | instskip(NEXT) | instid1(VALU_DEP_1)
	v_mov_b32_dpp v3, v3 row_shr:1 row_mask:0xf bank_mask:0xf
	v_lshlrev_b32_e32 v3, 16, v3
	s_delay_alu instid0(VALU_DEP_1) | instskip(NEXT) | instid1(VALU_DEP_1)
	v_add_f32_e32 v4, v5, v3
	v_and_b32_e32 v3, 0x7f800000, v4
	s_delay_alu instid0(VALU_DEP_1) | instskip(SKIP_1) | instid1(SALU_CYCLE_1)
	v_cmp_ne_u32_e32 vcc_lo, 0x7f800000, v3
                                        ; implicit-def: $vgpr3
	s_and_saveexec_b32 s2, vcc_lo
	s_xor_b32 s2, exec_lo, s2
; %bb.1:
	v_bfe_u32 v3, v4, 16, 1
	s_delay_alu instid0(VALU_DEP_1)
	v_add3_u32 v3, v4, v3, 0x7fff
                                        ; implicit-def: $vgpr4
; %bb.2:
	s_and_not1_saveexec_b32 s2, s2
; %bb.3:
	v_and_b32_e32 v3, 0xffff, v4
	v_or_b32_e32 v6, 0x10000, v4
	s_delay_alu instid0(VALU_DEP_2) | instskip(NEXT) | instid1(VALU_DEP_2)
	v_cmp_eq_u32_e32 vcc_lo, 0, v3
	v_cndmask_b32_e32 v3, v6, v4, vcc_lo
; %bb.4:
	s_or_b32 exec_lo, exec_lo, s2
	s_load_b32 s4, s[0:1], 0x18
	v_mbcnt_lo_u32_b32 v4, -1, 0
	s_waitcnt lgkmcnt(0)
	s_lshl_b32 s5, s4, 16
	v_and_b32_e32 v7, 0xffff0000, v3
	s_delay_alu instid0(VALU_DEP_2) | instskip(NEXT) | instid1(VALU_DEP_1)
	v_and_b32_e32 v6, 1, v4
	v_cmp_eq_u32_e32 vcc_lo, 0, v6
	s_delay_alu instid0(VALU_DEP_3) | instskip(NEXT) | instid1(VALU_DEP_1)
	v_cndmask_b32_e32 v5, v7, v5, vcc_lo
	v_add_f32_e32 v6, s5, v5
	s_delay_alu instid0(VALU_DEP_1) | instskip(NEXT) | instid1(VALU_DEP_1)
	v_and_b32_e32 v5, 0x7f800000, v6
	v_cmp_ne_u32_e64 s2, 0x7f800000, v5
                                        ; implicit-def: $vgpr5
	s_delay_alu instid0(VALU_DEP_1) | instskip(NEXT) | instid1(SALU_CYCLE_1)
	s_and_saveexec_b32 s3, s2
	s_xor_b32 s2, exec_lo, s3
; %bb.5:
	v_bfe_u32 v5, v6, 16, 1
	s_delay_alu instid0(VALU_DEP_1)
	v_add3_u32 v5, v6, v5, 0x7fff
                                        ; implicit-def: $vgpr6
; %bb.6:
	s_or_saveexec_b32 s8, s2
	s_load_b64 s[2:3], s[0:1], 0x10
	s_xor_b32 exec_lo, exec_lo, s8
; %bb.7:
	v_and_b32_e32 v5, 0xffff, v6
	v_or_b32_e32 v7, 0x10000, v6
	s_delay_alu instid0(VALU_DEP_2) | instskip(NEXT) | instid1(VALU_DEP_1)
	v_cmp_eq_u32_e64 s0, 0, v5
	v_cndmask_b32_e64 v5, v7, v6, s0
; %bb.8:
	s_or_b32 exec_lo, exec_lo, s8
	v_lshrrev_b32_e32 v3, 16, v3
	v_add_nc_u32_e32 v6, -1, v4
	s_delay_alu instid0(VALU_DEP_3) | instskip(NEXT) | instid1(VALU_DEP_3)
	v_lshrrev_b32_e32 v5, 16, v5
	v_cndmask_b32_e32 v3, v3, v2, vcc_lo
	s_delay_alu instid0(VALU_DEP_1) | instskip(SKIP_1) | instid1(VALU_DEP_1)
	v_lshlrev_b32_e32 v3, 16, v3
	v_and_b32_e32 v7, 30, v4
	v_cmp_lt_i32_e64 s0, v6, v7
	s_delay_alu instid0(VALU_DEP_1) | instskip(NEXT) | instid1(VALU_DEP_1)
	v_cndmask_b32_e64 v4, v6, v4, s0
	v_lshlrev_b32_e32 v4, 2, v4
	ds_bpermute_b32 v2, v4, v5
	v_add_f32_e32 v4, s5, v3
	s_delay_alu instid0(VALU_DEP_1) | instskip(NEXT) | instid1(VALU_DEP_1)
	v_and_b32_e32 v3, 0x7f800000, v4
	v_cmp_ne_u32_e64 s0, 0x7f800000, v3
                                        ; implicit-def: $vgpr3
	s_delay_alu instid0(VALU_DEP_1) | instskip(NEXT) | instid1(SALU_CYCLE_1)
	s_and_saveexec_b32 s1, s0
	s_xor_b32 s0, exec_lo, s1
; %bb.9:
	v_bfe_u32 v3, v4, 16, 1
	s_delay_alu instid0(VALU_DEP_1)
	v_add3_u32 v3, v4, v3, 0x7fff
                                        ; implicit-def: $vgpr4
; %bb.10:
	s_and_not1_saveexec_b32 s1, s0
; %bb.11:
	v_and_b32_e32 v3, 0xffff, v4
	v_or_b32_e32 v5, 0x10000, v4
	s_delay_alu instid0(VALU_DEP_2) | instskip(NEXT) | instid1(VALU_DEP_1)
	v_cmp_eq_u32_e64 s0, 0, v3
	v_cndmask_b32_e64 v3, v5, v4, s0
; %bb.12:
	s_or_b32 exec_lo, exec_lo, s1
	s_waitcnt lgkmcnt(0)
	v_cndmask_b32_e64 v2, v2, s4, vcc_lo
	v_add_co_u32 v4, vcc_lo, s6, v0
	v_add_co_ci_u32_e32 v5, vcc_lo, s7, v1, vcc_lo
	v_add_co_u32 v0, vcc_lo, s2, v0
	v_add_co_ci_u32_e32 v1, vcc_lo, s3, v1, vcc_lo
	global_store_d16_hi_b16 v[4:5], v3, off
	global_store_b16 v[0:1], v2, off
	s_nop 0
	s_sendmsg sendmsg(MSG_DEALLOC_VGPRS)
	s_endpgm
	.section	.rodata,"a",@progbits
	.p2align	6, 0x0
	.amdhsa_kernel _Z16warp_scan_kernelI12hip_bfloat16Lj64ELj2EENSt9enable_ifIXsr10test_utilsE35device_test_enabled_for_warp_size_vIXT1_EEEvE4typeEPT_S5_S5_S4_
		.amdhsa_group_segment_fixed_size 0
		.amdhsa_private_segment_fixed_size 0
		.amdhsa_kernarg_size 288
		.amdhsa_user_sgpr_count 15
		.amdhsa_user_sgpr_dispatch_ptr 0
		.amdhsa_user_sgpr_queue_ptr 0
		.amdhsa_user_sgpr_kernarg_segment_ptr 1
		.amdhsa_user_sgpr_dispatch_id 0
		.amdhsa_user_sgpr_private_segment_size 0
		.amdhsa_wavefront_size32 1
		.amdhsa_uses_dynamic_stack 0
		.amdhsa_enable_private_segment 0
		.amdhsa_system_sgpr_workgroup_id_x 1
		.amdhsa_system_sgpr_workgroup_id_y 0
		.amdhsa_system_sgpr_workgroup_id_z 0
		.amdhsa_system_sgpr_workgroup_info 0
		.amdhsa_system_vgpr_workitem_id 0
		.amdhsa_next_free_vgpr 8
		.amdhsa_next_free_sgpr 16
		.amdhsa_reserve_vcc 1
		.amdhsa_float_round_mode_32 0
		.amdhsa_float_round_mode_16_64 0
		.amdhsa_float_denorm_mode_32 3
		.amdhsa_float_denorm_mode_16_64 3
		.amdhsa_dx10_clamp 1
		.amdhsa_ieee_mode 1
		.amdhsa_fp16_overflow 0
		.amdhsa_workgroup_processor_mode 1
		.amdhsa_memory_ordered 1
		.amdhsa_forward_progress 0
		.amdhsa_shared_vgpr_count 0
		.amdhsa_exception_fp_ieee_invalid_op 0
		.amdhsa_exception_fp_denorm_src 0
		.amdhsa_exception_fp_ieee_div_zero 0
		.amdhsa_exception_fp_ieee_overflow 0
		.amdhsa_exception_fp_ieee_underflow 0
		.amdhsa_exception_fp_ieee_inexact 0
		.amdhsa_exception_int_div_zero 0
	.end_amdhsa_kernel
	.section	.text._Z16warp_scan_kernelI12hip_bfloat16Lj64ELj2EENSt9enable_ifIXsr10test_utilsE35device_test_enabled_for_warp_size_vIXT1_EEEvE4typeEPT_S5_S5_S4_,"axG",@progbits,_Z16warp_scan_kernelI12hip_bfloat16Lj64ELj2EENSt9enable_ifIXsr10test_utilsE35device_test_enabled_for_warp_size_vIXT1_EEEvE4typeEPT_S5_S5_S4_,comdat
.Lfunc_end252:
	.size	_Z16warp_scan_kernelI12hip_bfloat16Lj64ELj2EENSt9enable_ifIXsr10test_utilsE35device_test_enabled_for_warp_size_vIXT1_EEEvE4typeEPT_S5_S5_S4_, .Lfunc_end252-_Z16warp_scan_kernelI12hip_bfloat16Lj64ELj2EENSt9enable_ifIXsr10test_utilsE35device_test_enabled_for_warp_size_vIXT1_EEEvE4typeEPT_S5_S5_S4_
                                        ; -- End function
	.section	.AMDGPU.csdata,"",@progbits
; Kernel info:
; codeLenInByte = 616
; NumSgprs: 18
; NumVgprs: 8
; ScratchSize: 0
; MemoryBound: 0
; FloatMode: 240
; IeeeMode: 1
; LDSByteSize: 0 bytes/workgroup (compile time only)
; SGPRBlocks: 2
; VGPRBlocks: 0
; NumSGPRsForWavesPerEU: 18
; NumVGPRsForWavesPerEU: 8
; Occupancy: 16
; WaveLimiterHint : 0
; COMPUTE_PGM_RSRC2:SCRATCH_EN: 0
; COMPUTE_PGM_RSRC2:USER_SGPR: 15
; COMPUTE_PGM_RSRC2:TRAP_HANDLER: 0
; COMPUTE_PGM_RSRC2:TGID_X_EN: 1
; COMPUTE_PGM_RSRC2:TGID_Y_EN: 0
; COMPUTE_PGM_RSRC2:TGID_Z_EN: 0
; COMPUTE_PGM_RSRC2:TIDIG_COMP_CNT: 0
	.section	.text._Z16warp_scan_kernelI6__halfLj256ELj64EENSt9enable_ifIXntsr10test_utilsE35device_test_enabled_for_warp_size_vIXT1_EEEvE4typeEPT_S5_S5_S4_,"axG",@progbits,_Z16warp_scan_kernelI6__halfLj256ELj64EENSt9enable_ifIXntsr10test_utilsE35device_test_enabled_for_warp_size_vIXT1_EEEvE4typeEPT_S5_S5_S4_,comdat
	.protected	_Z16warp_scan_kernelI6__halfLj256ELj64EENSt9enable_ifIXntsr10test_utilsE35device_test_enabled_for_warp_size_vIXT1_EEEvE4typeEPT_S5_S5_S4_ ; -- Begin function _Z16warp_scan_kernelI6__halfLj256ELj64EENSt9enable_ifIXntsr10test_utilsE35device_test_enabled_for_warp_size_vIXT1_EEEvE4typeEPT_S5_S5_S4_
	.globl	_Z16warp_scan_kernelI6__halfLj256ELj64EENSt9enable_ifIXntsr10test_utilsE35device_test_enabled_for_warp_size_vIXT1_EEEvE4typeEPT_S5_S5_S4_
	.p2align	8
	.type	_Z16warp_scan_kernelI6__halfLj256ELj64EENSt9enable_ifIXntsr10test_utilsE35device_test_enabled_for_warp_size_vIXT1_EEEvE4typeEPT_S5_S5_S4_,@function
_Z16warp_scan_kernelI6__halfLj256ELj64EENSt9enable_ifIXntsr10test_utilsE35device_test_enabled_for_warp_size_vIXT1_EEEvE4typeEPT_S5_S5_S4_: ; @_Z16warp_scan_kernelI6__halfLj256ELj64EENSt9enable_ifIXntsr10test_utilsE35device_test_enabled_for_warp_size_vIXT1_EEEvE4typeEPT_S5_S5_S4_
; %bb.0:
	s_endpgm
	.section	.rodata,"a",@progbits
	.p2align	6, 0x0
	.amdhsa_kernel _Z16warp_scan_kernelI6__halfLj256ELj64EENSt9enable_ifIXntsr10test_utilsE35device_test_enabled_for_warp_size_vIXT1_EEEvE4typeEPT_S5_S5_S4_
		.amdhsa_group_segment_fixed_size 0
		.amdhsa_private_segment_fixed_size 0
		.amdhsa_kernarg_size 28
		.amdhsa_user_sgpr_count 15
		.amdhsa_user_sgpr_dispatch_ptr 0
		.amdhsa_user_sgpr_queue_ptr 0
		.amdhsa_user_sgpr_kernarg_segment_ptr 1
		.amdhsa_user_sgpr_dispatch_id 0
		.amdhsa_user_sgpr_private_segment_size 0
		.amdhsa_wavefront_size32 1
		.amdhsa_uses_dynamic_stack 0
		.amdhsa_enable_private_segment 0
		.amdhsa_system_sgpr_workgroup_id_x 1
		.amdhsa_system_sgpr_workgroup_id_y 0
		.amdhsa_system_sgpr_workgroup_id_z 0
		.amdhsa_system_sgpr_workgroup_info 0
		.amdhsa_system_vgpr_workitem_id 0
		.amdhsa_next_free_vgpr 1
		.amdhsa_next_free_sgpr 1
		.amdhsa_reserve_vcc 0
		.amdhsa_float_round_mode_32 0
		.amdhsa_float_round_mode_16_64 0
		.amdhsa_float_denorm_mode_32 3
		.amdhsa_float_denorm_mode_16_64 3
		.amdhsa_dx10_clamp 1
		.amdhsa_ieee_mode 1
		.amdhsa_fp16_overflow 0
		.amdhsa_workgroup_processor_mode 1
		.amdhsa_memory_ordered 1
		.amdhsa_forward_progress 0
		.amdhsa_shared_vgpr_count 0
		.amdhsa_exception_fp_ieee_invalid_op 0
		.amdhsa_exception_fp_denorm_src 0
		.amdhsa_exception_fp_ieee_div_zero 0
		.amdhsa_exception_fp_ieee_overflow 0
		.amdhsa_exception_fp_ieee_underflow 0
		.amdhsa_exception_fp_ieee_inexact 0
		.amdhsa_exception_int_div_zero 0
	.end_amdhsa_kernel
	.section	.text._Z16warp_scan_kernelI6__halfLj256ELj64EENSt9enable_ifIXntsr10test_utilsE35device_test_enabled_for_warp_size_vIXT1_EEEvE4typeEPT_S5_S5_S4_,"axG",@progbits,_Z16warp_scan_kernelI6__halfLj256ELj64EENSt9enable_ifIXntsr10test_utilsE35device_test_enabled_for_warp_size_vIXT1_EEEvE4typeEPT_S5_S5_S4_,comdat
.Lfunc_end253:
	.size	_Z16warp_scan_kernelI6__halfLj256ELj64EENSt9enable_ifIXntsr10test_utilsE35device_test_enabled_for_warp_size_vIXT1_EEEvE4typeEPT_S5_S5_S4_, .Lfunc_end253-_Z16warp_scan_kernelI6__halfLj256ELj64EENSt9enable_ifIXntsr10test_utilsE35device_test_enabled_for_warp_size_vIXT1_EEEvE4typeEPT_S5_S5_S4_
                                        ; -- End function
	.section	.AMDGPU.csdata,"",@progbits
; Kernel info:
; codeLenInByte = 4
; NumSgprs: 0
; NumVgprs: 0
; ScratchSize: 0
; MemoryBound: 0
; FloatMode: 240
; IeeeMode: 1
; LDSByteSize: 0 bytes/workgroup (compile time only)
; SGPRBlocks: 0
; VGPRBlocks: 0
; NumSGPRsForWavesPerEU: 1
; NumVGPRsForWavesPerEU: 1
; Occupancy: 16
; WaveLimiterHint : 0
; COMPUTE_PGM_RSRC2:SCRATCH_EN: 0
; COMPUTE_PGM_RSRC2:USER_SGPR: 15
; COMPUTE_PGM_RSRC2:TRAP_HANDLER: 0
; COMPUTE_PGM_RSRC2:TGID_X_EN: 1
; COMPUTE_PGM_RSRC2:TGID_Y_EN: 0
; COMPUTE_PGM_RSRC2:TGID_Z_EN: 0
; COMPUTE_PGM_RSRC2:TIDIG_COMP_CNT: 0
	.section	.text._Z16warp_scan_kernelI6__halfLj128ELj32EENSt9enable_ifIXsr10test_utilsE35device_test_enabled_for_warp_size_vIXT1_EEEvE4typeEPT_S5_S5_S4_,"axG",@progbits,_Z16warp_scan_kernelI6__halfLj128ELj32EENSt9enable_ifIXsr10test_utilsE35device_test_enabled_for_warp_size_vIXT1_EEEvE4typeEPT_S5_S5_S4_,comdat
	.protected	_Z16warp_scan_kernelI6__halfLj128ELj32EENSt9enable_ifIXsr10test_utilsE35device_test_enabled_for_warp_size_vIXT1_EEEvE4typeEPT_S5_S5_S4_ ; -- Begin function _Z16warp_scan_kernelI6__halfLj128ELj32EENSt9enable_ifIXsr10test_utilsE35device_test_enabled_for_warp_size_vIXT1_EEEvE4typeEPT_S5_S5_S4_
	.globl	_Z16warp_scan_kernelI6__halfLj128ELj32EENSt9enable_ifIXsr10test_utilsE35device_test_enabled_for_warp_size_vIXT1_EEEvE4typeEPT_S5_S5_S4_
	.p2align	8
	.type	_Z16warp_scan_kernelI6__halfLj128ELj32EENSt9enable_ifIXsr10test_utilsE35device_test_enabled_for_warp_size_vIXT1_EEEvE4typeEPT_S5_S5_S4_,@function
_Z16warp_scan_kernelI6__halfLj128ELj32EENSt9enable_ifIXsr10test_utilsE35device_test_enabled_for_warp_size_vIXT1_EEEvE4typeEPT_S5_S5_S4_: ; @_Z16warp_scan_kernelI6__halfLj128ELj32EENSt9enable_ifIXsr10test_utilsE35device_test_enabled_for_warp_size_vIXT1_EEEvE4typeEPT_S5_S5_S4_
; %bb.0:
	s_clause 0x1
	s_load_b32 s2, s[0:1], 0x2c
	s_load_b128 s[4:7], s[0:1], 0x0
	v_mbcnt_lo_u32_b32 v4, -1, 0
	s_delay_alu instid0(VALU_DEP_1) | instskip(SKIP_3) | instid1(SALU_CYCLE_1)
	v_add_nc_u32_e32 v6, -1, v4
	v_and_b32_e32 v5, 15, v4
	s_waitcnt lgkmcnt(0)
	s_and_b32 s2, s2, 0xffff
	v_mad_u64_u32 v[1:2], null, s15, s2, v[0:1]
	v_mov_b32_e32 v2, 0
	s_clause 0x1
	s_load_b64 s[2:3], s[0:1], 0x10
	s_load_b32 s0, s[0:1], 0x18
	s_delay_alu instid0(VALU_DEP_1) | instskip(NEXT) | instid1(VALU_DEP_1)
	v_lshlrev_b64 v[0:1], 1, v[1:2]
	v_add_co_u32 v2, vcc_lo, s4, v0
	s_delay_alu instid0(VALU_DEP_2) | instskip(SKIP_4) | instid1(VALU_DEP_1)
	v_add_co_ci_u32_e32 v3, vcc_lo, s5, v1, vcc_lo
	v_cmp_eq_u32_e32 vcc_lo, 0, v5
	global_load_u16 v2, v[2:3], off
	s_waitcnt vmcnt(0)
	v_and_b32_e32 v3, 0xffff, v2
	v_mov_b32_dpp v3, v3 row_shr:1 row_mask:0xf bank_mask:0xf
	s_delay_alu instid0(VALU_DEP_1) | instskip(NEXT) | instid1(VALU_DEP_1)
	v_add_f16_e32 v3, v2, v3
	v_cndmask_b32_e32 v2, v3, v2, vcc_lo
	v_cmp_lt_u32_e32 vcc_lo, 1, v5
	s_delay_alu instid0(VALU_DEP_2) | instskip(NEXT) | instid1(VALU_DEP_1)
	v_and_b32_e32 v3, 0xffff, v2
	v_mov_b32_dpp v3, v3 row_shr:2 row_mask:0xf bank_mask:0xf
	s_delay_alu instid0(VALU_DEP_1) | instskip(NEXT) | instid1(VALU_DEP_1)
	v_add_f16_e32 v3, v2, v3
	v_cndmask_b32_e32 v2, v2, v3, vcc_lo
	v_cmp_lt_u32_e32 vcc_lo, 3, v5
	s_delay_alu instid0(VALU_DEP_2) | instskip(NEXT) | instid1(VALU_DEP_1)
	v_and_b32_e32 v3, 0xffff, v2
	v_mov_b32_dpp v3, v3 row_shr:4 row_mask:0xf bank_mask:0xf
	s_delay_alu instid0(VALU_DEP_1) | instskip(NEXT) | instid1(VALU_DEP_1)
	v_add_f16_e32 v3, v2, v3
	v_cndmask_b32_e32 v2, v2, v3, vcc_lo
	v_cmp_lt_u32_e32 vcc_lo, 7, v5
	v_and_b32_e32 v5, 16, v4
	s_delay_alu instid0(VALU_DEP_3) | instskip(NEXT) | instid1(VALU_DEP_1)
	v_and_b32_e32 v3, 0xffff, v2
	v_mov_b32_dpp v3, v3 row_shr:8 row_mask:0xf bank_mask:0xf
	s_delay_alu instid0(VALU_DEP_1) | instskip(NEXT) | instid1(VALU_DEP_1)
	v_add_f16_e32 v3, v2, v3
	v_cndmask_b32_e32 v2, v2, v3, vcc_lo
	v_cmp_eq_u32_e32 vcc_lo, 0, v5
	s_delay_alu instid0(VALU_DEP_2) | instskip(SKIP_3) | instid1(VALU_DEP_1)
	v_and_b32_e32 v3, 0xffff, v2
	ds_swizzle_b32 v3, v3 offset:swizzle(BROADCAST,32,15)
	s_waitcnt lgkmcnt(0)
	v_add_f16_e32 v3, v2, v3
	v_cndmask_b32_e32 v2, v3, v2, vcc_lo
	v_cmp_gt_i32_e32 vcc_lo, 0, v6
	v_cndmask_b32_e32 v3, v6, v4, vcc_lo
	s_delay_alu instid0(VALU_DEP_3) | instskip(NEXT) | instid1(VALU_DEP_2)
	v_add_f16_e32 v5, s0, v2
	v_lshlrev_b32_e32 v2, 2, v3
	s_delay_alu instid0(VALU_DEP_2)
	v_and_b32_e32 v3, 0xffff, v5
	ds_bpermute_b32 v6, v2, v3
	v_add_co_u32 v2, vcc_lo, s6, v0
	v_add_co_ci_u32_e32 v3, vcc_lo, s7, v1, vcc_lo
	v_cmp_eq_u32_e32 vcc_lo, 0, v4
	s_waitcnt lgkmcnt(0)
	v_cndmask_b32_e64 v4, v6, s0, vcc_lo
	v_add_co_u32 v0, vcc_lo, s2, v0
	v_add_co_ci_u32_e32 v1, vcc_lo, s3, v1, vcc_lo
	global_store_b16 v[2:3], v5, off
	global_store_b16 v[0:1], v4, off
	s_nop 0
	s_sendmsg sendmsg(MSG_DEALLOC_VGPRS)
	s_endpgm
	.section	.rodata,"a",@progbits
	.p2align	6, 0x0
	.amdhsa_kernel _Z16warp_scan_kernelI6__halfLj128ELj32EENSt9enable_ifIXsr10test_utilsE35device_test_enabled_for_warp_size_vIXT1_EEEvE4typeEPT_S5_S5_S4_
		.amdhsa_group_segment_fixed_size 0
		.amdhsa_private_segment_fixed_size 0
		.amdhsa_kernarg_size 288
		.amdhsa_user_sgpr_count 15
		.amdhsa_user_sgpr_dispatch_ptr 0
		.amdhsa_user_sgpr_queue_ptr 0
		.amdhsa_user_sgpr_kernarg_segment_ptr 1
		.amdhsa_user_sgpr_dispatch_id 0
		.amdhsa_user_sgpr_private_segment_size 0
		.amdhsa_wavefront_size32 1
		.amdhsa_uses_dynamic_stack 0
		.amdhsa_enable_private_segment 0
		.amdhsa_system_sgpr_workgroup_id_x 1
		.amdhsa_system_sgpr_workgroup_id_y 0
		.amdhsa_system_sgpr_workgroup_id_z 0
		.amdhsa_system_sgpr_workgroup_info 0
		.amdhsa_system_vgpr_workitem_id 0
		.amdhsa_next_free_vgpr 7
		.amdhsa_next_free_sgpr 16
		.amdhsa_reserve_vcc 1
		.amdhsa_float_round_mode_32 0
		.amdhsa_float_round_mode_16_64 0
		.amdhsa_float_denorm_mode_32 3
		.amdhsa_float_denorm_mode_16_64 3
		.amdhsa_dx10_clamp 1
		.amdhsa_ieee_mode 1
		.amdhsa_fp16_overflow 0
		.amdhsa_workgroup_processor_mode 1
		.amdhsa_memory_ordered 1
		.amdhsa_forward_progress 0
		.amdhsa_shared_vgpr_count 0
		.amdhsa_exception_fp_ieee_invalid_op 0
		.amdhsa_exception_fp_denorm_src 0
		.amdhsa_exception_fp_ieee_div_zero 0
		.amdhsa_exception_fp_ieee_overflow 0
		.amdhsa_exception_fp_ieee_underflow 0
		.amdhsa_exception_fp_ieee_inexact 0
		.amdhsa_exception_int_div_zero 0
	.end_amdhsa_kernel
	.section	.text._Z16warp_scan_kernelI6__halfLj128ELj32EENSt9enable_ifIXsr10test_utilsE35device_test_enabled_for_warp_size_vIXT1_EEEvE4typeEPT_S5_S5_S4_,"axG",@progbits,_Z16warp_scan_kernelI6__halfLj128ELj32EENSt9enable_ifIXsr10test_utilsE35device_test_enabled_for_warp_size_vIXT1_EEEvE4typeEPT_S5_S5_S4_,comdat
.Lfunc_end254:
	.size	_Z16warp_scan_kernelI6__halfLj128ELj32EENSt9enable_ifIXsr10test_utilsE35device_test_enabled_for_warp_size_vIXT1_EEEvE4typeEPT_S5_S5_S4_, .Lfunc_end254-_Z16warp_scan_kernelI6__halfLj128ELj32EENSt9enable_ifIXsr10test_utilsE35device_test_enabled_for_warp_size_vIXT1_EEEvE4typeEPT_S5_S5_S4_
                                        ; -- End function
	.section	.AMDGPU.csdata,"",@progbits
; Kernel info:
; codeLenInByte = 412
; NumSgprs: 18
; NumVgprs: 7
; ScratchSize: 0
; MemoryBound: 0
; FloatMode: 240
; IeeeMode: 1
; LDSByteSize: 0 bytes/workgroup (compile time only)
; SGPRBlocks: 2
; VGPRBlocks: 0
; NumSGPRsForWavesPerEU: 18
; NumVGPRsForWavesPerEU: 7
; Occupancy: 16
; WaveLimiterHint : 0
; COMPUTE_PGM_RSRC2:SCRATCH_EN: 0
; COMPUTE_PGM_RSRC2:USER_SGPR: 15
; COMPUTE_PGM_RSRC2:TRAP_HANDLER: 0
; COMPUTE_PGM_RSRC2:TGID_X_EN: 1
; COMPUTE_PGM_RSRC2:TGID_Y_EN: 0
; COMPUTE_PGM_RSRC2:TGID_Z_EN: 0
; COMPUTE_PGM_RSRC2:TIDIG_COMP_CNT: 0
	.section	.text._Z16warp_scan_kernelI6__halfLj64ELj16EENSt9enable_ifIXsr10test_utilsE35device_test_enabled_for_warp_size_vIXT1_EEEvE4typeEPT_S5_S5_S4_,"axG",@progbits,_Z16warp_scan_kernelI6__halfLj64ELj16EENSt9enable_ifIXsr10test_utilsE35device_test_enabled_for_warp_size_vIXT1_EEEvE4typeEPT_S5_S5_S4_,comdat
	.protected	_Z16warp_scan_kernelI6__halfLj64ELj16EENSt9enable_ifIXsr10test_utilsE35device_test_enabled_for_warp_size_vIXT1_EEEvE4typeEPT_S5_S5_S4_ ; -- Begin function _Z16warp_scan_kernelI6__halfLj64ELj16EENSt9enable_ifIXsr10test_utilsE35device_test_enabled_for_warp_size_vIXT1_EEEvE4typeEPT_S5_S5_S4_
	.globl	_Z16warp_scan_kernelI6__halfLj64ELj16EENSt9enable_ifIXsr10test_utilsE35device_test_enabled_for_warp_size_vIXT1_EEEvE4typeEPT_S5_S5_S4_
	.p2align	8
	.type	_Z16warp_scan_kernelI6__halfLj64ELj16EENSt9enable_ifIXsr10test_utilsE35device_test_enabled_for_warp_size_vIXT1_EEEvE4typeEPT_S5_S5_S4_,@function
_Z16warp_scan_kernelI6__halfLj64ELj16EENSt9enable_ifIXsr10test_utilsE35device_test_enabled_for_warp_size_vIXT1_EEEvE4typeEPT_S5_S5_S4_: ; @_Z16warp_scan_kernelI6__halfLj64ELj16EENSt9enable_ifIXsr10test_utilsE35device_test_enabled_for_warp_size_vIXT1_EEEvE4typeEPT_S5_S5_S4_
; %bb.0:
	s_clause 0x1
	s_load_b32 s2, s[0:1], 0x2c
	s_load_b128 s[4:7], s[0:1], 0x0
	v_mbcnt_lo_u32_b32 v4, -1, 0
	s_clause 0x1
	s_load_b64 s[8:9], s[0:1], 0x10
	s_load_b32 s1, s[0:1], 0x18
	s_delay_alu instid0(VALU_DEP_1) | instskip(SKIP_2) | instid1(VALU_DEP_2)
	v_add_nc_u32_e32 v6, -1, v4
	v_and_b32_e32 v5, 15, v4
	v_and_b32_e32 v7, 16, v4
	v_cmp_lt_u32_e64 s0, 7, v5
	s_waitcnt lgkmcnt(0)
	s_and_b32 s2, s2, 0xffff
	s_delay_alu instid0(SALU_CYCLE_1) | instskip(SKIP_2) | instid1(VALU_DEP_2)
	v_mad_u64_u32 v[1:2], null, s15, s2, v[0:1]
	v_mov_b32_e32 v2, 0
	v_cmp_lt_u32_e64 s2, 1, v5
	v_lshlrev_b64 v[0:1], 1, v[1:2]
	s_delay_alu instid0(VALU_DEP_1) | instskip(NEXT) | instid1(VALU_DEP_2)
	v_add_co_u32 v2, vcc_lo, s4, v0
	v_add_co_ci_u32_e32 v3, vcc_lo, s5, v1, vcc_lo
	v_cmp_eq_u32_e32 vcc_lo, 0, v5
	global_load_u16 v2, v[2:3], off
	s_waitcnt vmcnt(0)
	v_and_b32_e32 v3, 0xffff, v2
	s_delay_alu instid0(VALU_DEP_1) | instskip(NEXT) | instid1(VALU_DEP_1)
	v_mov_b32_dpp v3, v3 row_shr:1 row_mask:0xf bank_mask:0xf
	v_add_f16_e32 v3, v2, v3
	s_delay_alu instid0(VALU_DEP_1) | instskip(NEXT) | instid1(VALU_DEP_1)
	v_cndmask_b32_e32 v2, v3, v2, vcc_lo
	v_and_b32_e32 v3, 0xffff, v2
	s_delay_alu instid0(VALU_DEP_1) | instskip(NEXT) | instid1(VALU_DEP_1)
	v_mov_b32_dpp v3, v3 row_shr:2 row_mask:0xf bank_mask:0xf
	v_add_f16_e32 v3, v2, v3
	s_delay_alu instid0(VALU_DEP_1) | instskip(SKIP_1) | instid1(VALU_DEP_2)
	v_cndmask_b32_e64 v2, v2, v3, s2
	v_cmp_lt_u32_e64 s2, 3, v5
	v_and_b32_e32 v3, 0xffff, v2
	s_delay_alu instid0(VALU_DEP_1) | instskip(NEXT) | instid1(VALU_DEP_1)
	v_mov_b32_dpp v3, v3 row_shr:4 row_mask:0xf bank_mask:0xf
	v_add_f16_e32 v3, v2, v3
	s_delay_alu instid0(VALU_DEP_1) | instskip(NEXT) | instid1(VALU_DEP_1)
	v_cndmask_b32_e64 v2, v2, v3, s2
	v_and_b32_e32 v3, 0xffff, v2
	s_delay_alu instid0(VALU_DEP_1) | instskip(NEXT) | instid1(VALU_DEP_1)
	v_mov_b32_dpp v3, v3 row_shr:8 row_mask:0xf bank_mask:0xf
	v_add_f16_e32 v3, v2, v3
	s_delay_alu instid0(VALU_DEP_1) | instskip(SKIP_1) | instid1(VALU_DEP_1)
	v_cndmask_b32_e64 v2, v2, v3, s0
	v_cmp_lt_i32_e64 s0, v6, v7
	v_cndmask_b32_e64 v3, v6, v4, s0
	s_delay_alu instid0(VALU_DEP_3) | instskip(NEXT) | instid1(VALU_DEP_2)
	v_add_f16_e32 v4, s1, v2
	v_lshlrev_b32_e32 v2, 2, v3
	s_delay_alu instid0(VALU_DEP_2) | instskip(SKIP_2) | instid1(VALU_DEP_1)
	v_and_b32_e32 v3, 0xffff, v4
	ds_bpermute_b32 v5, v2, v3
	v_add_co_u32 v2, s0, s6, v0
	v_add_co_ci_u32_e64 v3, s0, s7, v1, s0
	s_waitcnt lgkmcnt(0)
	v_cndmask_b32_e64 v5, v5, s1, vcc_lo
	v_add_co_u32 v0, vcc_lo, s8, v0
	v_add_co_ci_u32_e32 v1, vcc_lo, s9, v1, vcc_lo
	global_store_b16 v[2:3], v4, off
	global_store_b16 v[0:1], v5, off
	s_nop 0
	s_sendmsg sendmsg(MSG_DEALLOC_VGPRS)
	s_endpgm
	.section	.rodata,"a",@progbits
	.p2align	6, 0x0
	.amdhsa_kernel _Z16warp_scan_kernelI6__halfLj64ELj16EENSt9enable_ifIXsr10test_utilsE35device_test_enabled_for_warp_size_vIXT1_EEEvE4typeEPT_S5_S5_S4_
		.amdhsa_group_segment_fixed_size 0
		.amdhsa_private_segment_fixed_size 0
		.amdhsa_kernarg_size 288
		.amdhsa_user_sgpr_count 15
		.amdhsa_user_sgpr_dispatch_ptr 0
		.amdhsa_user_sgpr_queue_ptr 0
		.amdhsa_user_sgpr_kernarg_segment_ptr 1
		.amdhsa_user_sgpr_dispatch_id 0
		.amdhsa_user_sgpr_private_segment_size 0
		.amdhsa_wavefront_size32 1
		.amdhsa_uses_dynamic_stack 0
		.amdhsa_enable_private_segment 0
		.amdhsa_system_sgpr_workgroup_id_x 1
		.amdhsa_system_sgpr_workgroup_id_y 0
		.amdhsa_system_sgpr_workgroup_id_z 0
		.amdhsa_system_sgpr_workgroup_info 0
		.amdhsa_system_vgpr_workitem_id 0
		.amdhsa_next_free_vgpr 8
		.amdhsa_next_free_sgpr 16
		.amdhsa_reserve_vcc 1
		.amdhsa_float_round_mode_32 0
		.amdhsa_float_round_mode_16_64 0
		.amdhsa_float_denorm_mode_32 3
		.amdhsa_float_denorm_mode_16_64 3
		.amdhsa_dx10_clamp 1
		.amdhsa_ieee_mode 1
		.amdhsa_fp16_overflow 0
		.amdhsa_workgroup_processor_mode 1
		.amdhsa_memory_ordered 1
		.amdhsa_forward_progress 0
		.amdhsa_shared_vgpr_count 0
		.amdhsa_exception_fp_ieee_invalid_op 0
		.amdhsa_exception_fp_denorm_src 0
		.amdhsa_exception_fp_ieee_div_zero 0
		.amdhsa_exception_fp_ieee_overflow 0
		.amdhsa_exception_fp_ieee_underflow 0
		.amdhsa_exception_fp_ieee_inexact 0
		.amdhsa_exception_int_div_zero 0
	.end_amdhsa_kernel
	.section	.text._Z16warp_scan_kernelI6__halfLj64ELj16EENSt9enable_ifIXsr10test_utilsE35device_test_enabled_for_warp_size_vIXT1_EEEvE4typeEPT_S5_S5_S4_,"axG",@progbits,_Z16warp_scan_kernelI6__halfLj64ELj16EENSt9enable_ifIXsr10test_utilsE35device_test_enabled_for_warp_size_vIXT1_EEEvE4typeEPT_S5_S5_S4_,comdat
.Lfunc_end255:
	.size	_Z16warp_scan_kernelI6__halfLj64ELj16EENSt9enable_ifIXsr10test_utilsE35device_test_enabled_for_warp_size_vIXT1_EEEvE4typeEPT_S5_S5_S4_, .Lfunc_end255-_Z16warp_scan_kernelI6__halfLj64ELj16EENSt9enable_ifIXsr10test_utilsE35device_test_enabled_for_warp_size_vIXT1_EEEvE4typeEPT_S5_S5_S4_
                                        ; -- End function
	.section	.AMDGPU.csdata,"",@progbits
; Kernel info:
; codeLenInByte = 412
; NumSgprs: 18
; NumVgprs: 8
; ScratchSize: 0
; MemoryBound: 0
; FloatMode: 240
; IeeeMode: 1
; LDSByteSize: 0 bytes/workgroup (compile time only)
; SGPRBlocks: 2
; VGPRBlocks: 0
; NumSGPRsForWavesPerEU: 18
; NumVGPRsForWavesPerEU: 8
; Occupancy: 16
; WaveLimiterHint : 0
; COMPUTE_PGM_RSRC2:SCRATCH_EN: 0
; COMPUTE_PGM_RSRC2:USER_SGPR: 15
; COMPUTE_PGM_RSRC2:TRAP_HANDLER: 0
; COMPUTE_PGM_RSRC2:TGID_X_EN: 1
; COMPUTE_PGM_RSRC2:TGID_Y_EN: 0
; COMPUTE_PGM_RSRC2:TGID_Z_EN: 0
; COMPUTE_PGM_RSRC2:TIDIG_COMP_CNT: 0
	.section	.text._Z16warp_scan_kernelI6__halfLj32ELj8EENSt9enable_ifIXsr10test_utilsE35device_test_enabled_for_warp_size_vIXT1_EEEvE4typeEPT_S5_S5_S4_,"axG",@progbits,_Z16warp_scan_kernelI6__halfLj32ELj8EENSt9enable_ifIXsr10test_utilsE35device_test_enabled_for_warp_size_vIXT1_EEEvE4typeEPT_S5_S5_S4_,comdat
	.protected	_Z16warp_scan_kernelI6__halfLj32ELj8EENSt9enable_ifIXsr10test_utilsE35device_test_enabled_for_warp_size_vIXT1_EEEvE4typeEPT_S5_S5_S4_ ; -- Begin function _Z16warp_scan_kernelI6__halfLj32ELj8EENSt9enable_ifIXsr10test_utilsE35device_test_enabled_for_warp_size_vIXT1_EEEvE4typeEPT_S5_S5_S4_
	.globl	_Z16warp_scan_kernelI6__halfLj32ELj8EENSt9enable_ifIXsr10test_utilsE35device_test_enabled_for_warp_size_vIXT1_EEEvE4typeEPT_S5_S5_S4_
	.p2align	8
	.type	_Z16warp_scan_kernelI6__halfLj32ELj8EENSt9enable_ifIXsr10test_utilsE35device_test_enabled_for_warp_size_vIXT1_EEEvE4typeEPT_S5_S5_S4_,@function
_Z16warp_scan_kernelI6__halfLj32ELj8EENSt9enable_ifIXsr10test_utilsE35device_test_enabled_for_warp_size_vIXT1_EEEvE4typeEPT_S5_S5_S4_: ; @_Z16warp_scan_kernelI6__halfLj32ELj8EENSt9enable_ifIXsr10test_utilsE35device_test_enabled_for_warp_size_vIXT1_EEEvE4typeEPT_S5_S5_S4_
; %bb.0:
	s_clause 0x1
	s_load_b32 s2, s[0:1], 0x2c
	s_load_b128 s[4:7], s[0:1], 0x0
	v_mbcnt_lo_u32_b32 v4, -1, 0
	s_clause 0x1
	s_load_b64 s[8:9], s[0:1], 0x10
	s_load_b32 s1, s[0:1], 0x18
	s_delay_alu instid0(VALU_DEP_1) | instskip(SKIP_2) | instid1(VALU_DEP_2)
	v_add_nc_u32_e32 v6, -1, v4
	v_and_b32_e32 v5, 7, v4
	v_and_b32_e32 v7, 24, v4
	v_cmp_lt_u32_e64 s0, 3, v5
	s_waitcnt lgkmcnt(0)
	s_and_b32 s2, s2, 0xffff
	s_delay_alu instid0(SALU_CYCLE_1) | instskip(SKIP_2) | instid1(VALU_DEP_2)
	v_mad_u64_u32 v[1:2], null, s15, s2, v[0:1]
	v_mov_b32_e32 v2, 0
	v_cmp_lt_u32_e64 s2, 1, v5
	v_lshlrev_b64 v[0:1], 1, v[1:2]
	s_delay_alu instid0(VALU_DEP_1) | instskip(NEXT) | instid1(VALU_DEP_2)
	v_add_co_u32 v2, vcc_lo, s4, v0
	v_add_co_ci_u32_e32 v3, vcc_lo, s5, v1, vcc_lo
	v_cmp_eq_u32_e32 vcc_lo, 0, v5
	global_load_u16 v2, v[2:3], off
	s_waitcnt vmcnt(0)
	v_and_b32_e32 v3, 0xffff, v2
	s_delay_alu instid0(VALU_DEP_1) | instskip(NEXT) | instid1(VALU_DEP_1)
	v_mov_b32_dpp v3, v3 row_shr:1 row_mask:0xf bank_mask:0xf
	v_add_f16_e32 v3, v2, v3
	s_delay_alu instid0(VALU_DEP_1) | instskip(NEXT) | instid1(VALU_DEP_1)
	v_cndmask_b32_e32 v2, v3, v2, vcc_lo
	v_and_b32_e32 v3, 0xffff, v2
	s_delay_alu instid0(VALU_DEP_1) | instskip(NEXT) | instid1(VALU_DEP_1)
	v_mov_b32_dpp v3, v3 row_shr:2 row_mask:0xf bank_mask:0xf
	v_add_f16_e32 v3, v2, v3
	s_delay_alu instid0(VALU_DEP_1) | instskip(NEXT) | instid1(VALU_DEP_1)
	v_cndmask_b32_e64 v2, v2, v3, s2
	v_and_b32_e32 v3, 0xffff, v2
	s_delay_alu instid0(VALU_DEP_1) | instskip(NEXT) | instid1(VALU_DEP_1)
	v_mov_b32_dpp v3, v3 row_shr:4 row_mask:0xf bank_mask:0xf
	v_add_f16_e32 v3, v2, v3
	s_delay_alu instid0(VALU_DEP_1) | instskip(SKIP_1) | instid1(VALU_DEP_1)
	v_cndmask_b32_e64 v2, v2, v3, s0
	v_cmp_lt_i32_e64 s0, v6, v7
	v_cndmask_b32_e64 v3, v6, v4, s0
	s_delay_alu instid0(VALU_DEP_3) | instskip(NEXT) | instid1(VALU_DEP_2)
	v_add_f16_e32 v4, s1, v2
	v_lshlrev_b32_e32 v2, 2, v3
	s_delay_alu instid0(VALU_DEP_2) | instskip(SKIP_2) | instid1(VALU_DEP_1)
	v_and_b32_e32 v3, 0xffff, v4
	ds_bpermute_b32 v5, v2, v3
	v_add_co_u32 v2, s0, s6, v0
	v_add_co_ci_u32_e64 v3, s0, s7, v1, s0
	s_waitcnt lgkmcnt(0)
	v_cndmask_b32_e64 v5, v5, s1, vcc_lo
	v_add_co_u32 v0, vcc_lo, s8, v0
	v_add_co_ci_u32_e32 v1, vcc_lo, s9, v1, vcc_lo
	global_store_b16 v[2:3], v4, off
	global_store_b16 v[0:1], v5, off
	s_nop 0
	s_sendmsg sendmsg(MSG_DEALLOC_VGPRS)
	s_endpgm
	.section	.rodata,"a",@progbits
	.p2align	6, 0x0
	.amdhsa_kernel _Z16warp_scan_kernelI6__halfLj32ELj8EENSt9enable_ifIXsr10test_utilsE35device_test_enabled_for_warp_size_vIXT1_EEEvE4typeEPT_S5_S5_S4_
		.amdhsa_group_segment_fixed_size 0
		.amdhsa_private_segment_fixed_size 0
		.amdhsa_kernarg_size 288
		.amdhsa_user_sgpr_count 15
		.amdhsa_user_sgpr_dispatch_ptr 0
		.amdhsa_user_sgpr_queue_ptr 0
		.amdhsa_user_sgpr_kernarg_segment_ptr 1
		.amdhsa_user_sgpr_dispatch_id 0
		.amdhsa_user_sgpr_private_segment_size 0
		.amdhsa_wavefront_size32 1
		.amdhsa_uses_dynamic_stack 0
		.amdhsa_enable_private_segment 0
		.amdhsa_system_sgpr_workgroup_id_x 1
		.amdhsa_system_sgpr_workgroup_id_y 0
		.amdhsa_system_sgpr_workgroup_id_z 0
		.amdhsa_system_sgpr_workgroup_info 0
		.amdhsa_system_vgpr_workitem_id 0
		.amdhsa_next_free_vgpr 8
		.amdhsa_next_free_sgpr 16
		.amdhsa_reserve_vcc 1
		.amdhsa_float_round_mode_32 0
		.amdhsa_float_round_mode_16_64 0
		.amdhsa_float_denorm_mode_32 3
		.amdhsa_float_denorm_mode_16_64 3
		.amdhsa_dx10_clamp 1
		.amdhsa_ieee_mode 1
		.amdhsa_fp16_overflow 0
		.amdhsa_workgroup_processor_mode 1
		.amdhsa_memory_ordered 1
		.amdhsa_forward_progress 0
		.amdhsa_shared_vgpr_count 0
		.amdhsa_exception_fp_ieee_invalid_op 0
		.amdhsa_exception_fp_denorm_src 0
		.amdhsa_exception_fp_ieee_div_zero 0
		.amdhsa_exception_fp_ieee_overflow 0
		.amdhsa_exception_fp_ieee_underflow 0
		.amdhsa_exception_fp_ieee_inexact 0
		.amdhsa_exception_int_div_zero 0
	.end_amdhsa_kernel
	.section	.text._Z16warp_scan_kernelI6__halfLj32ELj8EENSt9enable_ifIXsr10test_utilsE35device_test_enabled_for_warp_size_vIXT1_EEEvE4typeEPT_S5_S5_S4_,"axG",@progbits,_Z16warp_scan_kernelI6__halfLj32ELj8EENSt9enable_ifIXsr10test_utilsE35device_test_enabled_for_warp_size_vIXT1_EEEvE4typeEPT_S5_S5_S4_,comdat
.Lfunc_end256:
	.size	_Z16warp_scan_kernelI6__halfLj32ELj8EENSt9enable_ifIXsr10test_utilsE35device_test_enabled_for_warp_size_vIXT1_EEEvE4typeEPT_S5_S5_S4_, .Lfunc_end256-_Z16warp_scan_kernelI6__halfLj32ELj8EENSt9enable_ifIXsr10test_utilsE35device_test_enabled_for_warp_size_vIXT1_EEEvE4typeEPT_S5_S5_S4_
                                        ; -- End function
	.section	.AMDGPU.csdata,"",@progbits
; Kernel info:
; codeLenInByte = 368
; NumSgprs: 18
; NumVgprs: 8
; ScratchSize: 0
; MemoryBound: 0
; FloatMode: 240
; IeeeMode: 1
; LDSByteSize: 0 bytes/workgroup (compile time only)
; SGPRBlocks: 2
; VGPRBlocks: 0
; NumSGPRsForWavesPerEU: 18
; NumVGPRsForWavesPerEU: 8
; Occupancy: 16
; WaveLimiterHint : 0
; COMPUTE_PGM_RSRC2:SCRATCH_EN: 0
; COMPUTE_PGM_RSRC2:USER_SGPR: 15
; COMPUTE_PGM_RSRC2:TRAP_HANDLER: 0
; COMPUTE_PGM_RSRC2:TGID_X_EN: 1
; COMPUTE_PGM_RSRC2:TGID_Y_EN: 0
; COMPUTE_PGM_RSRC2:TGID_Z_EN: 0
; COMPUTE_PGM_RSRC2:TIDIG_COMP_CNT: 0
	.section	.text._Z16warp_scan_kernelI6__halfLj64ELj8EENSt9enable_ifIXsr10test_utilsE35device_test_enabled_for_warp_size_vIXT1_EEEvE4typeEPT_S5_S5_S4_,"axG",@progbits,_Z16warp_scan_kernelI6__halfLj64ELj8EENSt9enable_ifIXsr10test_utilsE35device_test_enabled_for_warp_size_vIXT1_EEEvE4typeEPT_S5_S5_S4_,comdat
	.protected	_Z16warp_scan_kernelI6__halfLj64ELj8EENSt9enable_ifIXsr10test_utilsE35device_test_enabled_for_warp_size_vIXT1_EEEvE4typeEPT_S5_S5_S4_ ; -- Begin function _Z16warp_scan_kernelI6__halfLj64ELj8EENSt9enable_ifIXsr10test_utilsE35device_test_enabled_for_warp_size_vIXT1_EEEvE4typeEPT_S5_S5_S4_
	.globl	_Z16warp_scan_kernelI6__halfLj64ELj8EENSt9enable_ifIXsr10test_utilsE35device_test_enabled_for_warp_size_vIXT1_EEEvE4typeEPT_S5_S5_S4_
	.p2align	8
	.type	_Z16warp_scan_kernelI6__halfLj64ELj8EENSt9enable_ifIXsr10test_utilsE35device_test_enabled_for_warp_size_vIXT1_EEEvE4typeEPT_S5_S5_S4_,@function
_Z16warp_scan_kernelI6__halfLj64ELj8EENSt9enable_ifIXsr10test_utilsE35device_test_enabled_for_warp_size_vIXT1_EEEvE4typeEPT_S5_S5_S4_: ; @_Z16warp_scan_kernelI6__halfLj64ELj8EENSt9enable_ifIXsr10test_utilsE35device_test_enabled_for_warp_size_vIXT1_EEEvE4typeEPT_S5_S5_S4_
; %bb.0:
	s_clause 0x1
	s_load_b32 s2, s[0:1], 0x2c
	s_load_b128 s[4:7], s[0:1], 0x0
	v_mbcnt_lo_u32_b32 v4, -1, 0
	s_clause 0x1
	s_load_b64 s[8:9], s[0:1], 0x10
	s_load_b32 s1, s[0:1], 0x18
	s_delay_alu instid0(VALU_DEP_1) | instskip(SKIP_2) | instid1(VALU_DEP_2)
	v_add_nc_u32_e32 v6, -1, v4
	v_and_b32_e32 v5, 7, v4
	v_and_b32_e32 v7, 24, v4
	v_cmp_lt_u32_e64 s0, 3, v5
	s_waitcnt lgkmcnt(0)
	s_and_b32 s2, s2, 0xffff
	s_delay_alu instid0(SALU_CYCLE_1) | instskip(SKIP_2) | instid1(VALU_DEP_2)
	v_mad_u64_u32 v[1:2], null, s15, s2, v[0:1]
	v_mov_b32_e32 v2, 0
	v_cmp_lt_u32_e64 s2, 1, v5
	v_lshlrev_b64 v[0:1], 1, v[1:2]
	s_delay_alu instid0(VALU_DEP_1) | instskip(NEXT) | instid1(VALU_DEP_2)
	v_add_co_u32 v2, vcc_lo, s4, v0
	v_add_co_ci_u32_e32 v3, vcc_lo, s5, v1, vcc_lo
	v_cmp_eq_u32_e32 vcc_lo, 0, v5
	global_load_u16 v2, v[2:3], off
	s_waitcnt vmcnt(0)
	v_and_b32_e32 v3, 0xffff, v2
	s_delay_alu instid0(VALU_DEP_1) | instskip(NEXT) | instid1(VALU_DEP_1)
	v_mov_b32_dpp v3, v3 row_shr:1 row_mask:0xf bank_mask:0xf
	v_add_f16_e32 v3, v2, v3
	s_delay_alu instid0(VALU_DEP_1) | instskip(NEXT) | instid1(VALU_DEP_1)
	v_cndmask_b32_e32 v2, v3, v2, vcc_lo
	v_and_b32_e32 v3, 0xffff, v2
	s_delay_alu instid0(VALU_DEP_1) | instskip(NEXT) | instid1(VALU_DEP_1)
	v_mov_b32_dpp v3, v3 row_shr:2 row_mask:0xf bank_mask:0xf
	v_add_f16_e32 v3, v2, v3
	s_delay_alu instid0(VALU_DEP_1) | instskip(NEXT) | instid1(VALU_DEP_1)
	v_cndmask_b32_e64 v2, v2, v3, s2
	v_and_b32_e32 v3, 0xffff, v2
	s_delay_alu instid0(VALU_DEP_1) | instskip(NEXT) | instid1(VALU_DEP_1)
	v_mov_b32_dpp v3, v3 row_shr:4 row_mask:0xf bank_mask:0xf
	v_add_f16_e32 v3, v2, v3
	s_delay_alu instid0(VALU_DEP_1) | instskip(SKIP_1) | instid1(VALU_DEP_1)
	v_cndmask_b32_e64 v2, v2, v3, s0
	v_cmp_lt_i32_e64 s0, v6, v7
	v_cndmask_b32_e64 v3, v6, v4, s0
	s_delay_alu instid0(VALU_DEP_3) | instskip(NEXT) | instid1(VALU_DEP_2)
	v_add_f16_e32 v4, s1, v2
	v_lshlrev_b32_e32 v2, 2, v3
	s_delay_alu instid0(VALU_DEP_2) | instskip(SKIP_2) | instid1(VALU_DEP_1)
	v_and_b32_e32 v3, 0xffff, v4
	ds_bpermute_b32 v5, v2, v3
	v_add_co_u32 v2, s0, s6, v0
	v_add_co_ci_u32_e64 v3, s0, s7, v1, s0
	s_waitcnt lgkmcnt(0)
	v_cndmask_b32_e64 v5, v5, s1, vcc_lo
	v_add_co_u32 v0, vcc_lo, s8, v0
	v_add_co_ci_u32_e32 v1, vcc_lo, s9, v1, vcc_lo
	global_store_b16 v[2:3], v4, off
	global_store_b16 v[0:1], v5, off
	s_nop 0
	s_sendmsg sendmsg(MSG_DEALLOC_VGPRS)
	s_endpgm
	.section	.rodata,"a",@progbits
	.p2align	6, 0x0
	.amdhsa_kernel _Z16warp_scan_kernelI6__halfLj64ELj8EENSt9enable_ifIXsr10test_utilsE35device_test_enabled_for_warp_size_vIXT1_EEEvE4typeEPT_S5_S5_S4_
		.amdhsa_group_segment_fixed_size 0
		.amdhsa_private_segment_fixed_size 0
		.amdhsa_kernarg_size 288
		.amdhsa_user_sgpr_count 15
		.amdhsa_user_sgpr_dispatch_ptr 0
		.amdhsa_user_sgpr_queue_ptr 0
		.amdhsa_user_sgpr_kernarg_segment_ptr 1
		.amdhsa_user_sgpr_dispatch_id 0
		.amdhsa_user_sgpr_private_segment_size 0
		.amdhsa_wavefront_size32 1
		.amdhsa_uses_dynamic_stack 0
		.amdhsa_enable_private_segment 0
		.amdhsa_system_sgpr_workgroup_id_x 1
		.amdhsa_system_sgpr_workgroup_id_y 0
		.amdhsa_system_sgpr_workgroup_id_z 0
		.amdhsa_system_sgpr_workgroup_info 0
		.amdhsa_system_vgpr_workitem_id 0
		.amdhsa_next_free_vgpr 8
		.amdhsa_next_free_sgpr 16
		.amdhsa_reserve_vcc 1
		.amdhsa_float_round_mode_32 0
		.amdhsa_float_round_mode_16_64 0
		.amdhsa_float_denorm_mode_32 3
		.amdhsa_float_denorm_mode_16_64 3
		.amdhsa_dx10_clamp 1
		.amdhsa_ieee_mode 1
		.amdhsa_fp16_overflow 0
		.amdhsa_workgroup_processor_mode 1
		.amdhsa_memory_ordered 1
		.amdhsa_forward_progress 0
		.amdhsa_shared_vgpr_count 0
		.amdhsa_exception_fp_ieee_invalid_op 0
		.amdhsa_exception_fp_denorm_src 0
		.amdhsa_exception_fp_ieee_div_zero 0
		.amdhsa_exception_fp_ieee_overflow 0
		.amdhsa_exception_fp_ieee_underflow 0
		.amdhsa_exception_fp_ieee_inexact 0
		.amdhsa_exception_int_div_zero 0
	.end_amdhsa_kernel
	.section	.text._Z16warp_scan_kernelI6__halfLj64ELj8EENSt9enable_ifIXsr10test_utilsE35device_test_enabled_for_warp_size_vIXT1_EEEvE4typeEPT_S5_S5_S4_,"axG",@progbits,_Z16warp_scan_kernelI6__halfLj64ELj8EENSt9enable_ifIXsr10test_utilsE35device_test_enabled_for_warp_size_vIXT1_EEEvE4typeEPT_S5_S5_S4_,comdat
.Lfunc_end257:
	.size	_Z16warp_scan_kernelI6__halfLj64ELj8EENSt9enable_ifIXsr10test_utilsE35device_test_enabled_for_warp_size_vIXT1_EEEvE4typeEPT_S5_S5_S4_, .Lfunc_end257-_Z16warp_scan_kernelI6__halfLj64ELj8EENSt9enable_ifIXsr10test_utilsE35device_test_enabled_for_warp_size_vIXT1_EEEvE4typeEPT_S5_S5_S4_
                                        ; -- End function
	.section	.AMDGPU.csdata,"",@progbits
; Kernel info:
; codeLenInByte = 368
; NumSgprs: 18
; NumVgprs: 8
; ScratchSize: 0
; MemoryBound: 0
; FloatMode: 240
; IeeeMode: 1
; LDSByteSize: 0 bytes/workgroup (compile time only)
; SGPRBlocks: 2
; VGPRBlocks: 0
; NumSGPRsForWavesPerEU: 18
; NumVGPRsForWavesPerEU: 8
; Occupancy: 16
; WaveLimiterHint : 0
; COMPUTE_PGM_RSRC2:SCRATCH_EN: 0
; COMPUTE_PGM_RSRC2:USER_SGPR: 15
; COMPUTE_PGM_RSRC2:TRAP_HANDLER: 0
; COMPUTE_PGM_RSRC2:TGID_X_EN: 1
; COMPUTE_PGM_RSRC2:TGID_Y_EN: 0
; COMPUTE_PGM_RSRC2:TGID_Z_EN: 0
; COMPUTE_PGM_RSRC2:TIDIG_COMP_CNT: 0
	.section	.text._Z16warp_scan_kernelI6__halfLj32ELj4EENSt9enable_ifIXsr10test_utilsE35device_test_enabled_for_warp_size_vIXT1_EEEvE4typeEPT_S5_S5_S4_,"axG",@progbits,_Z16warp_scan_kernelI6__halfLj32ELj4EENSt9enable_ifIXsr10test_utilsE35device_test_enabled_for_warp_size_vIXT1_EEEvE4typeEPT_S5_S5_S4_,comdat
	.protected	_Z16warp_scan_kernelI6__halfLj32ELj4EENSt9enable_ifIXsr10test_utilsE35device_test_enabled_for_warp_size_vIXT1_EEEvE4typeEPT_S5_S5_S4_ ; -- Begin function _Z16warp_scan_kernelI6__halfLj32ELj4EENSt9enable_ifIXsr10test_utilsE35device_test_enabled_for_warp_size_vIXT1_EEEvE4typeEPT_S5_S5_S4_
	.globl	_Z16warp_scan_kernelI6__halfLj32ELj4EENSt9enable_ifIXsr10test_utilsE35device_test_enabled_for_warp_size_vIXT1_EEEvE4typeEPT_S5_S5_S4_
	.p2align	8
	.type	_Z16warp_scan_kernelI6__halfLj32ELj4EENSt9enable_ifIXsr10test_utilsE35device_test_enabled_for_warp_size_vIXT1_EEEvE4typeEPT_S5_S5_S4_,@function
_Z16warp_scan_kernelI6__halfLj32ELj4EENSt9enable_ifIXsr10test_utilsE35device_test_enabled_for_warp_size_vIXT1_EEEvE4typeEPT_S5_S5_S4_: ; @_Z16warp_scan_kernelI6__halfLj32ELj4EENSt9enable_ifIXsr10test_utilsE35device_test_enabled_for_warp_size_vIXT1_EEEvE4typeEPT_S5_S5_S4_
; %bb.0:
	s_clause 0x1
	s_load_b32 s2, s[0:1], 0x2c
	s_load_b128 s[4:7], s[0:1], 0x0
	v_mbcnt_lo_u32_b32 v4, -1, 0
	s_delay_alu instid0(VALU_DEP_1) | instskip(SKIP_4) | instid1(SALU_CYCLE_1)
	v_add_nc_u32_e32 v6, -1, v4
	v_and_b32_e32 v5, 3, v4
	v_and_b32_e32 v7, 28, v4
	s_waitcnt lgkmcnt(0)
	s_and_b32 s2, s2, 0xffff
	v_mad_u64_u32 v[1:2], null, s15, s2, v[0:1]
	v_mov_b32_e32 v2, 0
	s_clause 0x1
	s_load_b64 s[2:3], s[0:1], 0x10
	s_load_b32 s1, s[0:1], 0x18
	v_cmp_lt_u32_e64 s0, 1, v5
	s_delay_alu instid0(VALU_DEP_3) | instskip(NEXT) | instid1(VALU_DEP_1)
	v_lshlrev_b64 v[0:1], 1, v[1:2]
	v_add_co_u32 v2, vcc_lo, s4, v0
	s_delay_alu instid0(VALU_DEP_2) | instskip(SKIP_4) | instid1(VALU_DEP_1)
	v_add_co_ci_u32_e32 v3, vcc_lo, s5, v1, vcc_lo
	v_cmp_eq_u32_e32 vcc_lo, 0, v5
	global_load_u16 v2, v[2:3], off
	s_waitcnt vmcnt(0)
	v_and_b32_e32 v3, 0xffff, v2
	v_mov_b32_dpp v3, v3 row_shr:1 row_mask:0xf bank_mask:0xf
	s_delay_alu instid0(VALU_DEP_1) | instskip(NEXT) | instid1(VALU_DEP_1)
	v_add_f16_e32 v3, v2, v3
	v_cndmask_b32_e32 v2, v3, v2, vcc_lo
	s_delay_alu instid0(VALU_DEP_1) | instskip(NEXT) | instid1(VALU_DEP_1)
	v_and_b32_e32 v3, 0xffff, v2
	v_mov_b32_dpp v3, v3 row_shr:2 row_mask:0xf bank_mask:0xf
	s_delay_alu instid0(VALU_DEP_1) | instskip(NEXT) | instid1(VALU_DEP_1)
	v_add_f16_e32 v3, v2, v3
	v_cndmask_b32_e64 v2, v2, v3, s0
	v_cmp_lt_i32_e64 s0, v6, v7
	s_delay_alu instid0(VALU_DEP_1) | instskip(SKIP_1) | instid1(VALU_DEP_3)
	v_cndmask_b32_e64 v3, v6, v4, s0
	s_waitcnt lgkmcnt(0)
	v_add_f16_e32 v4, s1, v2
	s_delay_alu instid0(VALU_DEP_2) | instskip(NEXT) | instid1(VALU_DEP_2)
	v_lshlrev_b32_e32 v2, 2, v3
	v_and_b32_e32 v3, 0xffff, v4
	ds_bpermute_b32 v5, v2, v3
	v_add_co_u32 v2, s0, s6, v0
	s_delay_alu instid0(VALU_DEP_1)
	v_add_co_ci_u32_e64 v3, s0, s7, v1, s0
	s_waitcnt lgkmcnt(0)
	v_cndmask_b32_e64 v5, v5, s1, vcc_lo
	v_add_co_u32 v0, vcc_lo, s2, v0
	v_add_co_ci_u32_e32 v1, vcc_lo, s3, v1, vcc_lo
	global_store_b16 v[2:3], v4, off
	global_store_b16 v[0:1], v5, off
	s_nop 0
	s_sendmsg sendmsg(MSG_DEALLOC_VGPRS)
	s_endpgm
	.section	.rodata,"a",@progbits
	.p2align	6, 0x0
	.amdhsa_kernel _Z16warp_scan_kernelI6__halfLj32ELj4EENSt9enable_ifIXsr10test_utilsE35device_test_enabled_for_warp_size_vIXT1_EEEvE4typeEPT_S5_S5_S4_
		.amdhsa_group_segment_fixed_size 0
		.amdhsa_private_segment_fixed_size 0
		.amdhsa_kernarg_size 288
		.amdhsa_user_sgpr_count 15
		.amdhsa_user_sgpr_dispatch_ptr 0
		.amdhsa_user_sgpr_queue_ptr 0
		.amdhsa_user_sgpr_kernarg_segment_ptr 1
		.amdhsa_user_sgpr_dispatch_id 0
		.amdhsa_user_sgpr_private_segment_size 0
		.amdhsa_wavefront_size32 1
		.amdhsa_uses_dynamic_stack 0
		.amdhsa_enable_private_segment 0
		.amdhsa_system_sgpr_workgroup_id_x 1
		.amdhsa_system_sgpr_workgroup_id_y 0
		.amdhsa_system_sgpr_workgroup_id_z 0
		.amdhsa_system_sgpr_workgroup_info 0
		.amdhsa_system_vgpr_workitem_id 0
		.amdhsa_next_free_vgpr 8
		.amdhsa_next_free_sgpr 16
		.amdhsa_reserve_vcc 1
		.amdhsa_float_round_mode_32 0
		.amdhsa_float_round_mode_16_64 0
		.amdhsa_float_denorm_mode_32 3
		.amdhsa_float_denorm_mode_16_64 3
		.amdhsa_dx10_clamp 1
		.amdhsa_ieee_mode 1
		.amdhsa_fp16_overflow 0
		.amdhsa_workgroup_processor_mode 1
		.amdhsa_memory_ordered 1
		.amdhsa_forward_progress 0
		.amdhsa_shared_vgpr_count 0
		.amdhsa_exception_fp_ieee_invalid_op 0
		.amdhsa_exception_fp_denorm_src 0
		.amdhsa_exception_fp_ieee_div_zero 0
		.amdhsa_exception_fp_ieee_overflow 0
		.amdhsa_exception_fp_ieee_underflow 0
		.amdhsa_exception_fp_ieee_inexact 0
		.amdhsa_exception_int_div_zero 0
	.end_amdhsa_kernel
	.section	.text._Z16warp_scan_kernelI6__halfLj32ELj4EENSt9enable_ifIXsr10test_utilsE35device_test_enabled_for_warp_size_vIXT1_EEEvE4typeEPT_S5_S5_S4_,"axG",@progbits,_Z16warp_scan_kernelI6__halfLj32ELj4EENSt9enable_ifIXsr10test_utilsE35device_test_enabled_for_warp_size_vIXT1_EEEvE4typeEPT_S5_S5_S4_,comdat
.Lfunc_end258:
	.size	_Z16warp_scan_kernelI6__halfLj32ELj4EENSt9enable_ifIXsr10test_utilsE35device_test_enabled_for_warp_size_vIXT1_EEEvE4typeEPT_S5_S5_S4_, .Lfunc_end258-_Z16warp_scan_kernelI6__halfLj32ELj4EENSt9enable_ifIXsr10test_utilsE35device_test_enabled_for_warp_size_vIXT1_EEEvE4typeEPT_S5_S5_S4_
                                        ; -- End function
	.section	.AMDGPU.csdata,"",@progbits
; Kernel info:
; codeLenInByte = 328
; NumSgprs: 18
; NumVgprs: 8
; ScratchSize: 0
; MemoryBound: 0
; FloatMode: 240
; IeeeMode: 1
; LDSByteSize: 0 bytes/workgroup (compile time only)
; SGPRBlocks: 2
; VGPRBlocks: 0
; NumSGPRsForWavesPerEU: 18
; NumVGPRsForWavesPerEU: 8
; Occupancy: 16
; WaveLimiterHint : 0
; COMPUTE_PGM_RSRC2:SCRATCH_EN: 0
; COMPUTE_PGM_RSRC2:USER_SGPR: 15
; COMPUTE_PGM_RSRC2:TRAP_HANDLER: 0
; COMPUTE_PGM_RSRC2:TGID_X_EN: 1
; COMPUTE_PGM_RSRC2:TGID_Y_EN: 0
; COMPUTE_PGM_RSRC2:TGID_Z_EN: 0
; COMPUTE_PGM_RSRC2:TIDIG_COMP_CNT: 0
	.section	.text._Z16warp_scan_kernelI6__halfLj64ELj4EENSt9enable_ifIXsr10test_utilsE35device_test_enabled_for_warp_size_vIXT1_EEEvE4typeEPT_S5_S5_S4_,"axG",@progbits,_Z16warp_scan_kernelI6__halfLj64ELj4EENSt9enable_ifIXsr10test_utilsE35device_test_enabled_for_warp_size_vIXT1_EEEvE4typeEPT_S5_S5_S4_,comdat
	.protected	_Z16warp_scan_kernelI6__halfLj64ELj4EENSt9enable_ifIXsr10test_utilsE35device_test_enabled_for_warp_size_vIXT1_EEEvE4typeEPT_S5_S5_S4_ ; -- Begin function _Z16warp_scan_kernelI6__halfLj64ELj4EENSt9enable_ifIXsr10test_utilsE35device_test_enabled_for_warp_size_vIXT1_EEEvE4typeEPT_S5_S5_S4_
	.globl	_Z16warp_scan_kernelI6__halfLj64ELj4EENSt9enable_ifIXsr10test_utilsE35device_test_enabled_for_warp_size_vIXT1_EEEvE4typeEPT_S5_S5_S4_
	.p2align	8
	.type	_Z16warp_scan_kernelI6__halfLj64ELj4EENSt9enable_ifIXsr10test_utilsE35device_test_enabled_for_warp_size_vIXT1_EEEvE4typeEPT_S5_S5_S4_,@function
_Z16warp_scan_kernelI6__halfLj64ELj4EENSt9enable_ifIXsr10test_utilsE35device_test_enabled_for_warp_size_vIXT1_EEEvE4typeEPT_S5_S5_S4_: ; @_Z16warp_scan_kernelI6__halfLj64ELj4EENSt9enable_ifIXsr10test_utilsE35device_test_enabled_for_warp_size_vIXT1_EEEvE4typeEPT_S5_S5_S4_
; %bb.0:
	s_clause 0x1
	s_load_b32 s2, s[0:1], 0x2c
	s_load_b128 s[4:7], s[0:1], 0x0
	v_mbcnt_lo_u32_b32 v4, -1, 0
	s_delay_alu instid0(VALU_DEP_1) | instskip(SKIP_4) | instid1(SALU_CYCLE_1)
	v_add_nc_u32_e32 v6, -1, v4
	v_and_b32_e32 v5, 3, v4
	v_and_b32_e32 v7, 28, v4
	s_waitcnt lgkmcnt(0)
	s_and_b32 s2, s2, 0xffff
	v_mad_u64_u32 v[1:2], null, s15, s2, v[0:1]
	v_mov_b32_e32 v2, 0
	s_clause 0x1
	s_load_b64 s[2:3], s[0:1], 0x10
	s_load_b32 s1, s[0:1], 0x18
	v_cmp_lt_u32_e64 s0, 1, v5
	s_delay_alu instid0(VALU_DEP_3) | instskip(NEXT) | instid1(VALU_DEP_1)
	v_lshlrev_b64 v[0:1], 1, v[1:2]
	v_add_co_u32 v2, vcc_lo, s4, v0
	s_delay_alu instid0(VALU_DEP_2) | instskip(SKIP_4) | instid1(VALU_DEP_1)
	v_add_co_ci_u32_e32 v3, vcc_lo, s5, v1, vcc_lo
	v_cmp_eq_u32_e32 vcc_lo, 0, v5
	global_load_u16 v2, v[2:3], off
	s_waitcnt vmcnt(0)
	v_and_b32_e32 v3, 0xffff, v2
	v_mov_b32_dpp v3, v3 row_shr:1 row_mask:0xf bank_mask:0xf
	s_delay_alu instid0(VALU_DEP_1) | instskip(NEXT) | instid1(VALU_DEP_1)
	v_add_f16_e32 v3, v2, v3
	v_cndmask_b32_e32 v2, v3, v2, vcc_lo
	s_delay_alu instid0(VALU_DEP_1) | instskip(NEXT) | instid1(VALU_DEP_1)
	v_and_b32_e32 v3, 0xffff, v2
	v_mov_b32_dpp v3, v3 row_shr:2 row_mask:0xf bank_mask:0xf
	s_delay_alu instid0(VALU_DEP_1) | instskip(NEXT) | instid1(VALU_DEP_1)
	v_add_f16_e32 v3, v2, v3
	v_cndmask_b32_e64 v2, v2, v3, s0
	v_cmp_lt_i32_e64 s0, v6, v7
	s_delay_alu instid0(VALU_DEP_1) | instskip(SKIP_1) | instid1(VALU_DEP_3)
	v_cndmask_b32_e64 v3, v6, v4, s0
	s_waitcnt lgkmcnt(0)
	v_add_f16_e32 v4, s1, v2
	s_delay_alu instid0(VALU_DEP_2) | instskip(NEXT) | instid1(VALU_DEP_2)
	v_lshlrev_b32_e32 v2, 2, v3
	v_and_b32_e32 v3, 0xffff, v4
	ds_bpermute_b32 v5, v2, v3
	v_add_co_u32 v2, s0, s6, v0
	s_delay_alu instid0(VALU_DEP_1)
	v_add_co_ci_u32_e64 v3, s0, s7, v1, s0
	s_waitcnt lgkmcnt(0)
	v_cndmask_b32_e64 v5, v5, s1, vcc_lo
	v_add_co_u32 v0, vcc_lo, s2, v0
	v_add_co_ci_u32_e32 v1, vcc_lo, s3, v1, vcc_lo
	global_store_b16 v[2:3], v4, off
	global_store_b16 v[0:1], v5, off
	s_nop 0
	s_sendmsg sendmsg(MSG_DEALLOC_VGPRS)
	s_endpgm
	.section	.rodata,"a",@progbits
	.p2align	6, 0x0
	.amdhsa_kernel _Z16warp_scan_kernelI6__halfLj64ELj4EENSt9enable_ifIXsr10test_utilsE35device_test_enabled_for_warp_size_vIXT1_EEEvE4typeEPT_S5_S5_S4_
		.amdhsa_group_segment_fixed_size 0
		.amdhsa_private_segment_fixed_size 0
		.amdhsa_kernarg_size 288
		.amdhsa_user_sgpr_count 15
		.amdhsa_user_sgpr_dispatch_ptr 0
		.amdhsa_user_sgpr_queue_ptr 0
		.amdhsa_user_sgpr_kernarg_segment_ptr 1
		.amdhsa_user_sgpr_dispatch_id 0
		.amdhsa_user_sgpr_private_segment_size 0
		.amdhsa_wavefront_size32 1
		.amdhsa_uses_dynamic_stack 0
		.amdhsa_enable_private_segment 0
		.amdhsa_system_sgpr_workgroup_id_x 1
		.amdhsa_system_sgpr_workgroup_id_y 0
		.amdhsa_system_sgpr_workgroup_id_z 0
		.amdhsa_system_sgpr_workgroup_info 0
		.amdhsa_system_vgpr_workitem_id 0
		.amdhsa_next_free_vgpr 8
		.amdhsa_next_free_sgpr 16
		.amdhsa_reserve_vcc 1
		.amdhsa_float_round_mode_32 0
		.amdhsa_float_round_mode_16_64 0
		.amdhsa_float_denorm_mode_32 3
		.amdhsa_float_denorm_mode_16_64 3
		.amdhsa_dx10_clamp 1
		.amdhsa_ieee_mode 1
		.amdhsa_fp16_overflow 0
		.amdhsa_workgroup_processor_mode 1
		.amdhsa_memory_ordered 1
		.amdhsa_forward_progress 0
		.amdhsa_shared_vgpr_count 0
		.amdhsa_exception_fp_ieee_invalid_op 0
		.amdhsa_exception_fp_denorm_src 0
		.amdhsa_exception_fp_ieee_div_zero 0
		.amdhsa_exception_fp_ieee_overflow 0
		.amdhsa_exception_fp_ieee_underflow 0
		.amdhsa_exception_fp_ieee_inexact 0
		.amdhsa_exception_int_div_zero 0
	.end_amdhsa_kernel
	.section	.text._Z16warp_scan_kernelI6__halfLj64ELj4EENSt9enable_ifIXsr10test_utilsE35device_test_enabled_for_warp_size_vIXT1_EEEvE4typeEPT_S5_S5_S4_,"axG",@progbits,_Z16warp_scan_kernelI6__halfLj64ELj4EENSt9enable_ifIXsr10test_utilsE35device_test_enabled_for_warp_size_vIXT1_EEEvE4typeEPT_S5_S5_S4_,comdat
.Lfunc_end259:
	.size	_Z16warp_scan_kernelI6__halfLj64ELj4EENSt9enable_ifIXsr10test_utilsE35device_test_enabled_for_warp_size_vIXT1_EEEvE4typeEPT_S5_S5_S4_, .Lfunc_end259-_Z16warp_scan_kernelI6__halfLj64ELj4EENSt9enable_ifIXsr10test_utilsE35device_test_enabled_for_warp_size_vIXT1_EEEvE4typeEPT_S5_S5_S4_
                                        ; -- End function
	.section	.AMDGPU.csdata,"",@progbits
; Kernel info:
; codeLenInByte = 328
; NumSgprs: 18
; NumVgprs: 8
; ScratchSize: 0
; MemoryBound: 0
; FloatMode: 240
; IeeeMode: 1
; LDSByteSize: 0 bytes/workgroup (compile time only)
; SGPRBlocks: 2
; VGPRBlocks: 0
; NumSGPRsForWavesPerEU: 18
; NumVGPRsForWavesPerEU: 8
; Occupancy: 16
; WaveLimiterHint : 0
; COMPUTE_PGM_RSRC2:SCRATCH_EN: 0
; COMPUTE_PGM_RSRC2:USER_SGPR: 15
; COMPUTE_PGM_RSRC2:TRAP_HANDLER: 0
; COMPUTE_PGM_RSRC2:TGID_X_EN: 1
; COMPUTE_PGM_RSRC2:TGID_Y_EN: 0
; COMPUTE_PGM_RSRC2:TGID_Z_EN: 0
; COMPUTE_PGM_RSRC2:TIDIG_COMP_CNT: 0
	.section	.text._Z16warp_scan_kernelI6__halfLj32ELj2EENSt9enable_ifIXsr10test_utilsE35device_test_enabled_for_warp_size_vIXT1_EEEvE4typeEPT_S5_S5_S4_,"axG",@progbits,_Z16warp_scan_kernelI6__halfLj32ELj2EENSt9enable_ifIXsr10test_utilsE35device_test_enabled_for_warp_size_vIXT1_EEEvE4typeEPT_S5_S5_S4_,comdat
	.protected	_Z16warp_scan_kernelI6__halfLj32ELj2EENSt9enable_ifIXsr10test_utilsE35device_test_enabled_for_warp_size_vIXT1_EEEvE4typeEPT_S5_S5_S4_ ; -- Begin function _Z16warp_scan_kernelI6__halfLj32ELj2EENSt9enable_ifIXsr10test_utilsE35device_test_enabled_for_warp_size_vIXT1_EEEvE4typeEPT_S5_S5_S4_
	.globl	_Z16warp_scan_kernelI6__halfLj32ELj2EENSt9enable_ifIXsr10test_utilsE35device_test_enabled_for_warp_size_vIXT1_EEEvE4typeEPT_S5_S5_S4_
	.p2align	8
	.type	_Z16warp_scan_kernelI6__halfLj32ELj2EENSt9enable_ifIXsr10test_utilsE35device_test_enabled_for_warp_size_vIXT1_EEEvE4typeEPT_S5_S5_S4_,@function
_Z16warp_scan_kernelI6__halfLj32ELj2EENSt9enable_ifIXsr10test_utilsE35device_test_enabled_for_warp_size_vIXT1_EEEvE4typeEPT_S5_S5_S4_: ; @_Z16warp_scan_kernelI6__halfLj32ELj2EENSt9enable_ifIXsr10test_utilsE35device_test_enabled_for_warp_size_vIXT1_EEEvE4typeEPT_S5_S5_S4_
; %bb.0:
	s_clause 0x1
	s_load_b32 s2, s[0:1], 0x2c
	s_load_b128 s[4:7], s[0:1], 0x0
	v_mbcnt_lo_u32_b32 v4, -1, 0
	s_delay_alu instid0(VALU_DEP_1) | instskip(SKIP_3) | instid1(SALU_CYCLE_1)
	v_add_nc_u32_e32 v6, -1, v4
	v_and_b32_e32 v5, 1, v4
	s_waitcnt lgkmcnt(0)
	s_and_b32 s2, s2, 0xffff
	v_mad_u64_u32 v[1:2], null, s15, s2, v[0:1]
	v_mov_b32_e32 v2, 0
	s_clause 0x1
	s_load_b64 s[2:3], s[0:1], 0x10
	s_load_b32 s1, s[0:1], 0x18
	s_delay_alu instid0(VALU_DEP_1) | instskip(NEXT) | instid1(VALU_DEP_1)
	v_lshlrev_b64 v[0:1], 1, v[1:2]
	v_add_co_u32 v2, vcc_lo, s4, v0
	s_delay_alu instid0(VALU_DEP_2) | instskip(SKIP_4) | instid1(VALU_DEP_1)
	v_add_co_ci_u32_e32 v3, vcc_lo, s5, v1, vcc_lo
	v_cmp_eq_u32_e32 vcc_lo, 0, v5
	global_load_u16 v2, v[2:3], off
	s_waitcnt vmcnt(0)
	v_and_b32_e32 v3, 0xffff, v2
	v_mov_b32_dpp v3, v3 row_shr:1 row_mask:0xf bank_mask:0xf
	s_delay_alu instid0(VALU_DEP_1) | instskip(NEXT) | instid1(VALU_DEP_1)
	v_add_f16_e32 v3, v2, v3
	v_dual_cndmask_b32 v2, v3, v2 :: v_dual_and_b32 v7, 30, v4
	s_delay_alu instid0(VALU_DEP_1) | instskip(NEXT) | instid1(VALU_DEP_1)
	v_cmp_lt_i32_e64 s0, v6, v7
	v_cndmask_b32_e64 v3, v6, v4, s0
	s_waitcnt lgkmcnt(0)
	s_delay_alu instid0(VALU_DEP_3) | instskip(NEXT) | instid1(VALU_DEP_2)
	v_add_f16_e32 v4, s1, v2
	v_lshlrev_b32_e32 v2, 2, v3
	s_delay_alu instid0(VALU_DEP_2) | instskip(SKIP_2) | instid1(VALU_DEP_1)
	v_and_b32_e32 v3, 0xffff, v4
	ds_bpermute_b32 v5, v2, v3
	v_add_co_u32 v2, s0, s6, v0
	v_add_co_ci_u32_e64 v3, s0, s7, v1, s0
	s_waitcnt lgkmcnt(0)
	v_cndmask_b32_e64 v5, v5, s1, vcc_lo
	v_add_co_u32 v0, vcc_lo, s2, v0
	v_add_co_ci_u32_e32 v1, vcc_lo, s3, v1, vcc_lo
	global_store_b16 v[2:3], v4, off
	global_store_b16 v[0:1], v5, off
	s_nop 0
	s_sendmsg sendmsg(MSG_DEALLOC_VGPRS)
	s_endpgm
	.section	.rodata,"a",@progbits
	.p2align	6, 0x0
	.amdhsa_kernel _Z16warp_scan_kernelI6__halfLj32ELj2EENSt9enable_ifIXsr10test_utilsE35device_test_enabled_for_warp_size_vIXT1_EEEvE4typeEPT_S5_S5_S4_
		.amdhsa_group_segment_fixed_size 0
		.amdhsa_private_segment_fixed_size 0
		.amdhsa_kernarg_size 288
		.amdhsa_user_sgpr_count 15
		.amdhsa_user_sgpr_dispatch_ptr 0
		.amdhsa_user_sgpr_queue_ptr 0
		.amdhsa_user_sgpr_kernarg_segment_ptr 1
		.amdhsa_user_sgpr_dispatch_id 0
		.amdhsa_user_sgpr_private_segment_size 0
		.amdhsa_wavefront_size32 1
		.amdhsa_uses_dynamic_stack 0
		.amdhsa_enable_private_segment 0
		.amdhsa_system_sgpr_workgroup_id_x 1
		.amdhsa_system_sgpr_workgroup_id_y 0
		.amdhsa_system_sgpr_workgroup_id_z 0
		.amdhsa_system_sgpr_workgroup_info 0
		.amdhsa_system_vgpr_workitem_id 0
		.amdhsa_next_free_vgpr 8
		.amdhsa_next_free_sgpr 16
		.amdhsa_reserve_vcc 1
		.amdhsa_float_round_mode_32 0
		.amdhsa_float_round_mode_16_64 0
		.amdhsa_float_denorm_mode_32 3
		.amdhsa_float_denorm_mode_16_64 3
		.amdhsa_dx10_clamp 1
		.amdhsa_ieee_mode 1
		.amdhsa_fp16_overflow 0
		.amdhsa_workgroup_processor_mode 1
		.amdhsa_memory_ordered 1
		.amdhsa_forward_progress 0
		.amdhsa_shared_vgpr_count 0
		.amdhsa_exception_fp_ieee_invalid_op 0
		.amdhsa_exception_fp_denorm_src 0
		.amdhsa_exception_fp_ieee_div_zero 0
		.amdhsa_exception_fp_ieee_overflow 0
		.amdhsa_exception_fp_ieee_underflow 0
		.amdhsa_exception_fp_ieee_inexact 0
		.amdhsa_exception_int_div_zero 0
	.end_amdhsa_kernel
	.section	.text._Z16warp_scan_kernelI6__halfLj32ELj2EENSt9enable_ifIXsr10test_utilsE35device_test_enabled_for_warp_size_vIXT1_EEEvE4typeEPT_S5_S5_S4_,"axG",@progbits,_Z16warp_scan_kernelI6__halfLj32ELj2EENSt9enable_ifIXsr10test_utilsE35device_test_enabled_for_warp_size_vIXT1_EEEvE4typeEPT_S5_S5_S4_,comdat
.Lfunc_end260:
	.size	_Z16warp_scan_kernelI6__halfLj32ELj2EENSt9enable_ifIXsr10test_utilsE35device_test_enabled_for_warp_size_vIXT1_EEEvE4typeEPT_S5_S5_S4_, .Lfunc_end260-_Z16warp_scan_kernelI6__halfLj32ELj2EENSt9enable_ifIXsr10test_utilsE35device_test_enabled_for_warp_size_vIXT1_EEEvE4typeEPT_S5_S5_S4_
                                        ; -- End function
	.section	.AMDGPU.csdata,"",@progbits
; Kernel info:
; codeLenInByte = 284
; NumSgprs: 18
; NumVgprs: 8
; ScratchSize: 0
; MemoryBound: 0
; FloatMode: 240
; IeeeMode: 1
; LDSByteSize: 0 bytes/workgroup (compile time only)
; SGPRBlocks: 2
; VGPRBlocks: 0
; NumSGPRsForWavesPerEU: 18
; NumVGPRsForWavesPerEU: 8
; Occupancy: 16
; WaveLimiterHint : 0
; COMPUTE_PGM_RSRC2:SCRATCH_EN: 0
; COMPUTE_PGM_RSRC2:USER_SGPR: 15
; COMPUTE_PGM_RSRC2:TRAP_HANDLER: 0
; COMPUTE_PGM_RSRC2:TGID_X_EN: 1
; COMPUTE_PGM_RSRC2:TGID_Y_EN: 0
; COMPUTE_PGM_RSRC2:TGID_Z_EN: 0
; COMPUTE_PGM_RSRC2:TIDIG_COMP_CNT: 0
	.section	.text._Z16warp_scan_kernelI6__halfLj64ELj2EENSt9enable_ifIXsr10test_utilsE35device_test_enabled_for_warp_size_vIXT1_EEEvE4typeEPT_S5_S5_S4_,"axG",@progbits,_Z16warp_scan_kernelI6__halfLj64ELj2EENSt9enable_ifIXsr10test_utilsE35device_test_enabled_for_warp_size_vIXT1_EEEvE4typeEPT_S5_S5_S4_,comdat
	.protected	_Z16warp_scan_kernelI6__halfLj64ELj2EENSt9enable_ifIXsr10test_utilsE35device_test_enabled_for_warp_size_vIXT1_EEEvE4typeEPT_S5_S5_S4_ ; -- Begin function _Z16warp_scan_kernelI6__halfLj64ELj2EENSt9enable_ifIXsr10test_utilsE35device_test_enabled_for_warp_size_vIXT1_EEEvE4typeEPT_S5_S5_S4_
	.globl	_Z16warp_scan_kernelI6__halfLj64ELj2EENSt9enable_ifIXsr10test_utilsE35device_test_enabled_for_warp_size_vIXT1_EEEvE4typeEPT_S5_S5_S4_
	.p2align	8
	.type	_Z16warp_scan_kernelI6__halfLj64ELj2EENSt9enable_ifIXsr10test_utilsE35device_test_enabled_for_warp_size_vIXT1_EEEvE4typeEPT_S5_S5_S4_,@function
_Z16warp_scan_kernelI6__halfLj64ELj2EENSt9enable_ifIXsr10test_utilsE35device_test_enabled_for_warp_size_vIXT1_EEEvE4typeEPT_S5_S5_S4_: ; @_Z16warp_scan_kernelI6__halfLj64ELj2EENSt9enable_ifIXsr10test_utilsE35device_test_enabled_for_warp_size_vIXT1_EEEvE4typeEPT_S5_S5_S4_
; %bb.0:
	s_clause 0x1
	s_load_b32 s2, s[0:1], 0x2c
	s_load_b128 s[4:7], s[0:1], 0x0
	v_mbcnt_lo_u32_b32 v4, -1, 0
	s_delay_alu instid0(VALU_DEP_1) | instskip(SKIP_3) | instid1(SALU_CYCLE_1)
	v_add_nc_u32_e32 v6, -1, v4
	v_and_b32_e32 v5, 1, v4
	s_waitcnt lgkmcnt(0)
	s_and_b32 s2, s2, 0xffff
	v_mad_u64_u32 v[1:2], null, s15, s2, v[0:1]
	v_mov_b32_e32 v2, 0
	s_clause 0x1
	s_load_b64 s[2:3], s[0:1], 0x10
	s_load_b32 s1, s[0:1], 0x18
	s_delay_alu instid0(VALU_DEP_1) | instskip(NEXT) | instid1(VALU_DEP_1)
	v_lshlrev_b64 v[0:1], 1, v[1:2]
	v_add_co_u32 v2, vcc_lo, s4, v0
	s_delay_alu instid0(VALU_DEP_2) | instskip(SKIP_4) | instid1(VALU_DEP_1)
	v_add_co_ci_u32_e32 v3, vcc_lo, s5, v1, vcc_lo
	v_cmp_eq_u32_e32 vcc_lo, 0, v5
	global_load_u16 v2, v[2:3], off
	s_waitcnt vmcnt(0)
	v_and_b32_e32 v3, 0xffff, v2
	v_mov_b32_dpp v3, v3 row_shr:1 row_mask:0xf bank_mask:0xf
	s_delay_alu instid0(VALU_DEP_1) | instskip(NEXT) | instid1(VALU_DEP_1)
	v_add_f16_e32 v3, v2, v3
	v_dual_cndmask_b32 v2, v3, v2 :: v_dual_and_b32 v7, 30, v4
	s_delay_alu instid0(VALU_DEP_1) | instskip(NEXT) | instid1(VALU_DEP_1)
	v_cmp_lt_i32_e64 s0, v6, v7
	v_cndmask_b32_e64 v3, v6, v4, s0
	s_waitcnt lgkmcnt(0)
	s_delay_alu instid0(VALU_DEP_3) | instskip(NEXT) | instid1(VALU_DEP_2)
	v_add_f16_e32 v4, s1, v2
	v_lshlrev_b32_e32 v2, 2, v3
	s_delay_alu instid0(VALU_DEP_2) | instskip(SKIP_2) | instid1(VALU_DEP_1)
	v_and_b32_e32 v3, 0xffff, v4
	ds_bpermute_b32 v5, v2, v3
	v_add_co_u32 v2, s0, s6, v0
	v_add_co_ci_u32_e64 v3, s0, s7, v1, s0
	s_waitcnt lgkmcnt(0)
	v_cndmask_b32_e64 v5, v5, s1, vcc_lo
	v_add_co_u32 v0, vcc_lo, s2, v0
	v_add_co_ci_u32_e32 v1, vcc_lo, s3, v1, vcc_lo
	global_store_b16 v[2:3], v4, off
	global_store_b16 v[0:1], v5, off
	s_nop 0
	s_sendmsg sendmsg(MSG_DEALLOC_VGPRS)
	s_endpgm
	.section	.rodata,"a",@progbits
	.p2align	6, 0x0
	.amdhsa_kernel _Z16warp_scan_kernelI6__halfLj64ELj2EENSt9enable_ifIXsr10test_utilsE35device_test_enabled_for_warp_size_vIXT1_EEEvE4typeEPT_S5_S5_S4_
		.amdhsa_group_segment_fixed_size 0
		.amdhsa_private_segment_fixed_size 0
		.amdhsa_kernarg_size 288
		.amdhsa_user_sgpr_count 15
		.amdhsa_user_sgpr_dispatch_ptr 0
		.amdhsa_user_sgpr_queue_ptr 0
		.amdhsa_user_sgpr_kernarg_segment_ptr 1
		.amdhsa_user_sgpr_dispatch_id 0
		.amdhsa_user_sgpr_private_segment_size 0
		.amdhsa_wavefront_size32 1
		.amdhsa_uses_dynamic_stack 0
		.amdhsa_enable_private_segment 0
		.amdhsa_system_sgpr_workgroup_id_x 1
		.amdhsa_system_sgpr_workgroup_id_y 0
		.amdhsa_system_sgpr_workgroup_id_z 0
		.amdhsa_system_sgpr_workgroup_info 0
		.amdhsa_system_vgpr_workitem_id 0
		.amdhsa_next_free_vgpr 8
		.amdhsa_next_free_sgpr 16
		.amdhsa_reserve_vcc 1
		.amdhsa_float_round_mode_32 0
		.amdhsa_float_round_mode_16_64 0
		.amdhsa_float_denorm_mode_32 3
		.amdhsa_float_denorm_mode_16_64 3
		.amdhsa_dx10_clamp 1
		.amdhsa_ieee_mode 1
		.amdhsa_fp16_overflow 0
		.amdhsa_workgroup_processor_mode 1
		.amdhsa_memory_ordered 1
		.amdhsa_forward_progress 0
		.amdhsa_shared_vgpr_count 0
		.amdhsa_exception_fp_ieee_invalid_op 0
		.amdhsa_exception_fp_denorm_src 0
		.amdhsa_exception_fp_ieee_div_zero 0
		.amdhsa_exception_fp_ieee_overflow 0
		.amdhsa_exception_fp_ieee_underflow 0
		.amdhsa_exception_fp_ieee_inexact 0
		.amdhsa_exception_int_div_zero 0
	.end_amdhsa_kernel
	.section	.text._Z16warp_scan_kernelI6__halfLj64ELj2EENSt9enable_ifIXsr10test_utilsE35device_test_enabled_for_warp_size_vIXT1_EEEvE4typeEPT_S5_S5_S4_,"axG",@progbits,_Z16warp_scan_kernelI6__halfLj64ELj2EENSt9enable_ifIXsr10test_utilsE35device_test_enabled_for_warp_size_vIXT1_EEEvE4typeEPT_S5_S5_S4_,comdat
.Lfunc_end261:
	.size	_Z16warp_scan_kernelI6__halfLj64ELj2EENSt9enable_ifIXsr10test_utilsE35device_test_enabled_for_warp_size_vIXT1_EEEvE4typeEPT_S5_S5_S4_, .Lfunc_end261-_Z16warp_scan_kernelI6__halfLj64ELj2EENSt9enable_ifIXsr10test_utilsE35device_test_enabled_for_warp_size_vIXT1_EEEvE4typeEPT_S5_S5_S4_
                                        ; -- End function
	.section	.AMDGPU.csdata,"",@progbits
; Kernel info:
; codeLenInByte = 284
; NumSgprs: 18
; NumVgprs: 8
; ScratchSize: 0
; MemoryBound: 0
; FloatMode: 240
; IeeeMode: 1
; LDSByteSize: 0 bytes/workgroup (compile time only)
; SGPRBlocks: 2
; VGPRBlocks: 0
; NumSGPRsForWavesPerEU: 18
; NumVGPRsForWavesPerEU: 8
; Occupancy: 16
; WaveLimiterHint : 0
; COMPUTE_PGM_RSRC2:SCRATCH_EN: 0
; COMPUTE_PGM_RSRC2:USER_SGPR: 15
; COMPUTE_PGM_RSRC2:TRAP_HANDLER: 0
; COMPUTE_PGM_RSRC2:TGID_X_EN: 1
; COMPUTE_PGM_RSRC2:TGID_Y_EN: 0
; COMPUTE_PGM_RSRC2:TGID_Z_EN: 0
; COMPUTE_PGM_RSRC2:TIDIG_COMP_CNT: 0
	.section	.text._Z16warp_scan_kernelIfLj256ELj64EENSt9enable_ifIXntsr10test_utilsE35device_test_enabled_for_warp_size_vIXT1_EEEvE4typeEPT_S4_S4_S3_,"axG",@progbits,_Z16warp_scan_kernelIfLj256ELj64EENSt9enable_ifIXntsr10test_utilsE35device_test_enabled_for_warp_size_vIXT1_EEEvE4typeEPT_S4_S4_S3_,comdat
	.protected	_Z16warp_scan_kernelIfLj256ELj64EENSt9enable_ifIXntsr10test_utilsE35device_test_enabled_for_warp_size_vIXT1_EEEvE4typeEPT_S4_S4_S3_ ; -- Begin function _Z16warp_scan_kernelIfLj256ELj64EENSt9enable_ifIXntsr10test_utilsE35device_test_enabled_for_warp_size_vIXT1_EEEvE4typeEPT_S4_S4_S3_
	.globl	_Z16warp_scan_kernelIfLj256ELj64EENSt9enable_ifIXntsr10test_utilsE35device_test_enabled_for_warp_size_vIXT1_EEEvE4typeEPT_S4_S4_S3_
	.p2align	8
	.type	_Z16warp_scan_kernelIfLj256ELj64EENSt9enable_ifIXntsr10test_utilsE35device_test_enabled_for_warp_size_vIXT1_EEEvE4typeEPT_S4_S4_S3_,@function
_Z16warp_scan_kernelIfLj256ELj64EENSt9enable_ifIXntsr10test_utilsE35device_test_enabled_for_warp_size_vIXT1_EEEvE4typeEPT_S4_S4_S3_: ; @_Z16warp_scan_kernelIfLj256ELj64EENSt9enable_ifIXntsr10test_utilsE35device_test_enabled_for_warp_size_vIXT1_EEEvE4typeEPT_S4_S4_S3_
; %bb.0:
	s_endpgm
	.section	.rodata,"a",@progbits
	.p2align	6, 0x0
	.amdhsa_kernel _Z16warp_scan_kernelIfLj256ELj64EENSt9enable_ifIXntsr10test_utilsE35device_test_enabled_for_warp_size_vIXT1_EEEvE4typeEPT_S4_S4_S3_
		.amdhsa_group_segment_fixed_size 0
		.amdhsa_private_segment_fixed_size 0
		.amdhsa_kernarg_size 28
		.amdhsa_user_sgpr_count 15
		.amdhsa_user_sgpr_dispatch_ptr 0
		.amdhsa_user_sgpr_queue_ptr 0
		.amdhsa_user_sgpr_kernarg_segment_ptr 1
		.amdhsa_user_sgpr_dispatch_id 0
		.amdhsa_user_sgpr_private_segment_size 0
		.amdhsa_wavefront_size32 1
		.amdhsa_uses_dynamic_stack 0
		.amdhsa_enable_private_segment 0
		.amdhsa_system_sgpr_workgroup_id_x 1
		.amdhsa_system_sgpr_workgroup_id_y 0
		.amdhsa_system_sgpr_workgroup_id_z 0
		.amdhsa_system_sgpr_workgroup_info 0
		.amdhsa_system_vgpr_workitem_id 0
		.amdhsa_next_free_vgpr 1
		.amdhsa_next_free_sgpr 1
		.amdhsa_reserve_vcc 0
		.amdhsa_float_round_mode_32 0
		.amdhsa_float_round_mode_16_64 0
		.amdhsa_float_denorm_mode_32 3
		.amdhsa_float_denorm_mode_16_64 3
		.amdhsa_dx10_clamp 1
		.amdhsa_ieee_mode 1
		.amdhsa_fp16_overflow 0
		.amdhsa_workgroup_processor_mode 1
		.amdhsa_memory_ordered 1
		.amdhsa_forward_progress 0
		.amdhsa_shared_vgpr_count 0
		.amdhsa_exception_fp_ieee_invalid_op 0
		.amdhsa_exception_fp_denorm_src 0
		.amdhsa_exception_fp_ieee_div_zero 0
		.amdhsa_exception_fp_ieee_overflow 0
		.amdhsa_exception_fp_ieee_underflow 0
		.amdhsa_exception_fp_ieee_inexact 0
		.amdhsa_exception_int_div_zero 0
	.end_amdhsa_kernel
	.section	.text._Z16warp_scan_kernelIfLj256ELj64EENSt9enable_ifIXntsr10test_utilsE35device_test_enabled_for_warp_size_vIXT1_EEEvE4typeEPT_S4_S4_S3_,"axG",@progbits,_Z16warp_scan_kernelIfLj256ELj64EENSt9enable_ifIXntsr10test_utilsE35device_test_enabled_for_warp_size_vIXT1_EEEvE4typeEPT_S4_S4_S3_,comdat
.Lfunc_end262:
	.size	_Z16warp_scan_kernelIfLj256ELj64EENSt9enable_ifIXntsr10test_utilsE35device_test_enabled_for_warp_size_vIXT1_EEEvE4typeEPT_S4_S4_S3_, .Lfunc_end262-_Z16warp_scan_kernelIfLj256ELj64EENSt9enable_ifIXntsr10test_utilsE35device_test_enabled_for_warp_size_vIXT1_EEEvE4typeEPT_S4_S4_S3_
                                        ; -- End function
	.section	.AMDGPU.csdata,"",@progbits
; Kernel info:
; codeLenInByte = 4
; NumSgprs: 0
; NumVgprs: 0
; ScratchSize: 0
; MemoryBound: 0
; FloatMode: 240
; IeeeMode: 1
; LDSByteSize: 0 bytes/workgroup (compile time only)
; SGPRBlocks: 0
; VGPRBlocks: 0
; NumSGPRsForWavesPerEU: 1
; NumVGPRsForWavesPerEU: 1
; Occupancy: 16
; WaveLimiterHint : 0
; COMPUTE_PGM_RSRC2:SCRATCH_EN: 0
; COMPUTE_PGM_RSRC2:USER_SGPR: 15
; COMPUTE_PGM_RSRC2:TRAP_HANDLER: 0
; COMPUTE_PGM_RSRC2:TGID_X_EN: 1
; COMPUTE_PGM_RSRC2:TGID_Y_EN: 0
; COMPUTE_PGM_RSRC2:TGID_Z_EN: 0
; COMPUTE_PGM_RSRC2:TIDIG_COMP_CNT: 0
	.section	.text._Z16warp_scan_kernelIfLj128ELj32EENSt9enable_ifIXsr10test_utilsE35device_test_enabled_for_warp_size_vIXT1_EEEvE4typeEPT_S4_S4_S3_,"axG",@progbits,_Z16warp_scan_kernelIfLj128ELj32EENSt9enable_ifIXsr10test_utilsE35device_test_enabled_for_warp_size_vIXT1_EEEvE4typeEPT_S4_S4_S3_,comdat
	.protected	_Z16warp_scan_kernelIfLj128ELj32EENSt9enable_ifIXsr10test_utilsE35device_test_enabled_for_warp_size_vIXT1_EEEvE4typeEPT_S4_S4_S3_ ; -- Begin function _Z16warp_scan_kernelIfLj128ELj32EENSt9enable_ifIXsr10test_utilsE35device_test_enabled_for_warp_size_vIXT1_EEEvE4typeEPT_S4_S4_S3_
	.globl	_Z16warp_scan_kernelIfLj128ELj32EENSt9enable_ifIXsr10test_utilsE35device_test_enabled_for_warp_size_vIXT1_EEEvE4typeEPT_S4_S4_S3_
	.p2align	8
	.type	_Z16warp_scan_kernelIfLj128ELj32EENSt9enable_ifIXsr10test_utilsE35device_test_enabled_for_warp_size_vIXT1_EEEvE4typeEPT_S4_S4_S3_,@function
_Z16warp_scan_kernelIfLj128ELj32EENSt9enable_ifIXsr10test_utilsE35device_test_enabled_for_warp_size_vIXT1_EEEvE4typeEPT_S4_S4_S3_: ; @_Z16warp_scan_kernelIfLj128ELj32EENSt9enable_ifIXsr10test_utilsE35device_test_enabled_for_warp_size_vIXT1_EEEvE4typeEPT_S4_S4_S3_
; %bb.0:
	s_clause 0x1
	s_load_b32 s2, s[0:1], 0x2c
	s_load_b128 s[4:7], s[0:1], 0x0
	v_mbcnt_lo_u32_b32 v4, -1, 0
	s_delay_alu instid0(VALU_DEP_1) | instskip(SKIP_3) | instid1(SALU_CYCLE_1)
	v_and_b32_e32 v5, 15, v4
	v_and_b32_e32 v6, 16, v4
	s_waitcnt lgkmcnt(0)
	s_and_b32 s2, s2, 0xffff
	v_mad_u64_u32 v[1:2], null, s15, s2, v[0:1]
	v_mov_b32_e32 v2, 0
	s_clause 0x1
	s_load_b64 s[2:3], s[0:1], 0x10
	s_load_b32 s0, s[0:1], 0x18
	s_delay_alu instid0(VALU_DEP_1) | instskip(NEXT) | instid1(VALU_DEP_1)
	v_lshlrev_b64 v[0:1], 2, v[1:2]
	v_add_co_u32 v2, vcc_lo, s4, v0
	s_delay_alu instid0(VALU_DEP_2) | instskip(SKIP_4) | instid1(VALU_DEP_1)
	v_add_co_ci_u32_e32 v3, vcc_lo, s5, v1, vcc_lo
	v_cmp_eq_u32_e32 vcc_lo, 0, v5
	global_load_b32 v2, v[2:3], off
	s_waitcnt vmcnt(0)
	v_mov_b32_dpp v3, v2 row_shr:1 row_mask:0xf bank_mask:0xf
	v_add_f32_e32 v3, v2, v3
	s_delay_alu instid0(VALU_DEP_1) | instskip(SKIP_1) | instid1(VALU_DEP_2)
	v_cndmask_b32_e32 v2, v3, v2, vcc_lo
	v_cmp_lt_u32_e32 vcc_lo, 1, v5
	v_mov_b32_dpp v3, v2 row_shr:2 row_mask:0xf bank_mask:0xf
	s_delay_alu instid0(VALU_DEP_1) | instskip(NEXT) | instid1(VALU_DEP_1)
	v_add_f32_e32 v3, v2, v3
	v_cndmask_b32_e32 v2, v2, v3, vcc_lo
	v_cmp_lt_u32_e32 vcc_lo, 3, v5
	s_delay_alu instid0(VALU_DEP_2) | instskip(NEXT) | instid1(VALU_DEP_1)
	v_mov_b32_dpp v3, v2 row_shr:4 row_mask:0xf bank_mask:0xf
	v_add_f32_e32 v3, v2, v3
	s_delay_alu instid0(VALU_DEP_1) | instskip(SKIP_2) | instid1(VALU_DEP_3)
	v_cndmask_b32_e32 v2, v2, v3, vcc_lo
	v_cmp_lt_u32_e32 vcc_lo, 7, v5
	v_add_nc_u32_e32 v5, -1, v4
	v_mov_b32_dpp v3, v2 row_shr:8 row_mask:0xf bank_mask:0xf
	s_delay_alu instid0(VALU_DEP_1) | instskip(NEXT) | instid1(VALU_DEP_1)
	v_add_f32_e32 v3, v2, v3
	v_cndmask_b32_e32 v2, v2, v3, vcc_lo
	s_delay_alu instid0(VALU_DEP_4)
	v_cmp_gt_i32_e32 vcc_lo, 0, v5
	ds_swizzle_b32 v3, v2 offset:swizzle(BROADCAST,32,15)
	v_cndmask_b32_e32 v5, v5, v4, vcc_lo
	v_cmp_eq_u32_e32 vcc_lo, 0, v6
	s_waitcnt lgkmcnt(0)
	v_add_f32_e32 v3, v2, v3
	s_delay_alu instid0(VALU_DEP_1) | instskip(NEXT) | instid1(VALU_DEP_1)
	v_dual_cndmask_b32 v2, v3, v2 :: v_dual_lshlrev_b32 v3, 2, v5
	v_add_f32_e32 v5, s0, v2
	v_add_co_u32 v2, vcc_lo, s6, v0
	ds_bpermute_b32 v6, v3, v5
	v_add_co_ci_u32_e32 v3, vcc_lo, s7, v1, vcc_lo
	v_cmp_eq_u32_e32 vcc_lo, 0, v4
	s_waitcnt lgkmcnt(0)
	v_cndmask_b32_e64 v4, v6, s0, vcc_lo
	v_add_co_u32 v0, vcc_lo, s2, v0
	v_add_co_ci_u32_e32 v1, vcc_lo, s3, v1, vcc_lo
	global_store_b32 v[2:3], v5, off
	global_store_b32 v[0:1], v4, off
	s_nop 0
	s_sendmsg sendmsg(MSG_DEALLOC_VGPRS)
	s_endpgm
	.section	.rodata,"a",@progbits
	.p2align	6, 0x0
	.amdhsa_kernel _Z16warp_scan_kernelIfLj128ELj32EENSt9enable_ifIXsr10test_utilsE35device_test_enabled_for_warp_size_vIXT1_EEEvE4typeEPT_S4_S4_S3_
		.amdhsa_group_segment_fixed_size 0
		.amdhsa_private_segment_fixed_size 0
		.amdhsa_kernarg_size 288
		.amdhsa_user_sgpr_count 15
		.amdhsa_user_sgpr_dispatch_ptr 0
		.amdhsa_user_sgpr_queue_ptr 0
		.amdhsa_user_sgpr_kernarg_segment_ptr 1
		.amdhsa_user_sgpr_dispatch_id 0
		.amdhsa_user_sgpr_private_segment_size 0
		.amdhsa_wavefront_size32 1
		.amdhsa_uses_dynamic_stack 0
		.amdhsa_enable_private_segment 0
		.amdhsa_system_sgpr_workgroup_id_x 1
		.amdhsa_system_sgpr_workgroup_id_y 0
		.amdhsa_system_sgpr_workgroup_id_z 0
		.amdhsa_system_sgpr_workgroup_info 0
		.amdhsa_system_vgpr_workitem_id 0
		.amdhsa_next_free_vgpr 7
		.amdhsa_next_free_sgpr 16
		.amdhsa_reserve_vcc 1
		.amdhsa_float_round_mode_32 0
		.amdhsa_float_round_mode_16_64 0
		.amdhsa_float_denorm_mode_32 3
		.amdhsa_float_denorm_mode_16_64 3
		.amdhsa_dx10_clamp 1
		.amdhsa_ieee_mode 1
		.amdhsa_fp16_overflow 0
		.amdhsa_workgroup_processor_mode 1
		.amdhsa_memory_ordered 1
		.amdhsa_forward_progress 0
		.amdhsa_shared_vgpr_count 0
		.amdhsa_exception_fp_ieee_invalid_op 0
		.amdhsa_exception_fp_denorm_src 0
		.amdhsa_exception_fp_ieee_div_zero 0
		.amdhsa_exception_fp_ieee_overflow 0
		.amdhsa_exception_fp_ieee_underflow 0
		.amdhsa_exception_fp_ieee_inexact 0
		.amdhsa_exception_int_div_zero 0
	.end_amdhsa_kernel
	.section	.text._Z16warp_scan_kernelIfLj128ELj32EENSt9enable_ifIXsr10test_utilsE35device_test_enabled_for_warp_size_vIXT1_EEEvE4typeEPT_S4_S4_S3_,"axG",@progbits,_Z16warp_scan_kernelIfLj128ELj32EENSt9enable_ifIXsr10test_utilsE35device_test_enabled_for_warp_size_vIXT1_EEEvE4typeEPT_S4_S4_S3_,comdat
.Lfunc_end263:
	.size	_Z16warp_scan_kernelIfLj128ELj32EENSt9enable_ifIXsr10test_utilsE35device_test_enabled_for_warp_size_vIXT1_EEEvE4typeEPT_S4_S4_S3_, .Lfunc_end263-_Z16warp_scan_kernelIfLj128ELj32EENSt9enable_ifIXsr10test_utilsE35device_test_enabled_for_warp_size_vIXT1_EEEvE4typeEPT_S4_S4_S3_
                                        ; -- End function
	.section	.AMDGPU.csdata,"",@progbits
; Kernel info:
; codeLenInByte = 352
; NumSgprs: 18
; NumVgprs: 7
; ScratchSize: 0
; MemoryBound: 0
; FloatMode: 240
; IeeeMode: 1
; LDSByteSize: 0 bytes/workgroup (compile time only)
; SGPRBlocks: 2
; VGPRBlocks: 0
; NumSGPRsForWavesPerEU: 18
; NumVGPRsForWavesPerEU: 7
; Occupancy: 16
; WaveLimiterHint : 0
; COMPUTE_PGM_RSRC2:SCRATCH_EN: 0
; COMPUTE_PGM_RSRC2:USER_SGPR: 15
; COMPUTE_PGM_RSRC2:TRAP_HANDLER: 0
; COMPUTE_PGM_RSRC2:TGID_X_EN: 1
; COMPUTE_PGM_RSRC2:TGID_Y_EN: 0
; COMPUTE_PGM_RSRC2:TGID_Z_EN: 0
; COMPUTE_PGM_RSRC2:TIDIG_COMP_CNT: 0
	.section	.text._Z16warp_scan_kernelIfLj64ELj16EENSt9enable_ifIXsr10test_utilsE35device_test_enabled_for_warp_size_vIXT1_EEEvE4typeEPT_S4_S4_S3_,"axG",@progbits,_Z16warp_scan_kernelIfLj64ELj16EENSt9enable_ifIXsr10test_utilsE35device_test_enabled_for_warp_size_vIXT1_EEEvE4typeEPT_S4_S4_S3_,comdat
	.protected	_Z16warp_scan_kernelIfLj64ELj16EENSt9enable_ifIXsr10test_utilsE35device_test_enabled_for_warp_size_vIXT1_EEEvE4typeEPT_S4_S4_S3_ ; -- Begin function _Z16warp_scan_kernelIfLj64ELj16EENSt9enable_ifIXsr10test_utilsE35device_test_enabled_for_warp_size_vIXT1_EEEvE4typeEPT_S4_S4_S3_
	.globl	_Z16warp_scan_kernelIfLj64ELj16EENSt9enable_ifIXsr10test_utilsE35device_test_enabled_for_warp_size_vIXT1_EEEvE4typeEPT_S4_S4_S3_
	.p2align	8
	.type	_Z16warp_scan_kernelIfLj64ELj16EENSt9enable_ifIXsr10test_utilsE35device_test_enabled_for_warp_size_vIXT1_EEEvE4typeEPT_S4_S4_S3_,@function
_Z16warp_scan_kernelIfLj64ELj16EENSt9enable_ifIXsr10test_utilsE35device_test_enabled_for_warp_size_vIXT1_EEEvE4typeEPT_S4_S4_S3_: ; @_Z16warp_scan_kernelIfLj64ELj16EENSt9enable_ifIXsr10test_utilsE35device_test_enabled_for_warp_size_vIXT1_EEEvE4typeEPT_S4_S4_S3_
; %bb.0:
	s_clause 0x3
	s_load_b32 s2, s[0:1], 0x2c
	s_load_b128 s[4:7], s[0:1], 0x0
	s_load_b64 s[8:9], s[0:1], 0x10
	s_load_b32 s1, s[0:1], 0x18
	s_waitcnt lgkmcnt(0)
	s_and_b32 s2, s2, 0xffff
	s_delay_alu instid0(SALU_CYCLE_1) | instskip(SKIP_1) | instid1(VALU_DEP_1)
	v_mad_u64_u32 v[1:2], null, s15, s2, v[0:1]
	v_mov_b32_e32 v2, 0
	v_lshlrev_b64 v[0:1], 2, v[1:2]
	s_delay_alu instid0(VALU_DEP_1) | instskip(NEXT) | instid1(VALU_DEP_2)
	v_add_co_u32 v2, vcc_lo, s4, v0
	v_add_co_ci_u32_e32 v3, vcc_lo, s5, v1, vcc_lo
	global_load_b32 v2, v[2:3], off
	v_mbcnt_lo_u32_b32 v3, -1, 0
	s_delay_alu instid0(VALU_DEP_1) | instskip(SKIP_2) | instid1(VALU_DEP_3)
	v_and_b32_e32 v5, 15, v3
	v_add_nc_u32_e32 v6, -1, v3
	v_and_b32_e32 v7, 16, v3
	v_cmp_eq_u32_e32 vcc_lo, 0, v5
	v_cmp_lt_u32_e64 s2, 1, v5
	v_cmp_lt_u32_e64 s0, 3, v5
	s_waitcnt vmcnt(0)
	v_mov_b32_dpp v4, v2 row_shr:1 row_mask:0xf bank_mask:0xf
	s_delay_alu instid0(VALU_DEP_1) | instskip(NEXT) | instid1(VALU_DEP_1)
	v_add_f32_e32 v4, v2, v4
	v_cndmask_b32_e32 v2, v4, v2, vcc_lo
	s_delay_alu instid0(VALU_DEP_1) | instskip(NEXT) | instid1(VALU_DEP_1)
	v_mov_b32_dpp v4, v2 row_shr:2 row_mask:0xf bank_mask:0xf
	v_add_f32_e32 v4, v2, v4
	s_delay_alu instid0(VALU_DEP_1) | instskip(NEXT) | instid1(VALU_DEP_1)
	v_cndmask_b32_e64 v2, v2, v4, s2
	v_mov_b32_dpp v4, v2 row_shr:4 row_mask:0xf bank_mask:0xf
	s_delay_alu instid0(VALU_DEP_1) | instskip(NEXT) | instid1(VALU_DEP_1)
	v_add_f32_e32 v4, v2, v4
	v_cndmask_b32_e64 v2, v2, v4, s0
	v_cmp_lt_i32_e64 s0, v6, v7
	s_delay_alu instid0(VALU_DEP_2) | instskip(NEXT) | instid1(VALU_DEP_2)
	v_mov_b32_dpp v4, v2 row_shr:8 row_mask:0xf bank_mask:0xf
	v_cndmask_b32_e64 v3, v6, v3, s0
	v_cmp_lt_u32_e64 s0, 7, v5
	s_delay_alu instid0(VALU_DEP_2) | instskip(NEXT) | instid1(VALU_DEP_1)
	v_dual_add_f32 v4, v2, v4 :: v_dual_lshlrev_b32 v3, 2, v3
	v_cndmask_b32_e64 v2, v2, v4, s0
	s_delay_alu instid0(VALU_DEP_1)
	v_add_f32_e32 v4, s1, v2
	v_add_co_u32 v2, s0, s6, v0
	ds_bpermute_b32 v5, v3, v4
	v_add_co_ci_u32_e64 v3, s0, s7, v1, s0
	s_waitcnt lgkmcnt(0)
	v_cndmask_b32_e64 v5, v5, s1, vcc_lo
	v_add_co_u32 v0, vcc_lo, s8, v0
	v_add_co_ci_u32_e32 v1, vcc_lo, s9, v1, vcc_lo
	global_store_b32 v[2:3], v4, off
	global_store_b32 v[0:1], v5, off
	s_nop 0
	s_sendmsg sendmsg(MSG_DEALLOC_VGPRS)
	s_endpgm
	.section	.rodata,"a",@progbits
	.p2align	6, 0x0
	.amdhsa_kernel _Z16warp_scan_kernelIfLj64ELj16EENSt9enable_ifIXsr10test_utilsE35device_test_enabled_for_warp_size_vIXT1_EEEvE4typeEPT_S4_S4_S3_
		.amdhsa_group_segment_fixed_size 0
		.amdhsa_private_segment_fixed_size 0
		.amdhsa_kernarg_size 288
		.amdhsa_user_sgpr_count 15
		.amdhsa_user_sgpr_dispatch_ptr 0
		.amdhsa_user_sgpr_queue_ptr 0
		.amdhsa_user_sgpr_kernarg_segment_ptr 1
		.amdhsa_user_sgpr_dispatch_id 0
		.amdhsa_user_sgpr_private_segment_size 0
		.amdhsa_wavefront_size32 1
		.amdhsa_uses_dynamic_stack 0
		.amdhsa_enable_private_segment 0
		.amdhsa_system_sgpr_workgroup_id_x 1
		.amdhsa_system_sgpr_workgroup_id_y 0
		.amdhsa_system_sgpr_workgroup_id_z 0
		.amdhsa_system_sgpr_workgroup_info 0
		.amdhsa_system_vgpr_workitem_id 0
		.amdhsa_next_free_vgpr 8
		.amdhsa_next_free_sgpr 16
		.amdhsa_reserve_vcc 1
		.amdhsa_float_round_mode_32 0
		.amdhsa_float_round_mode_16_64 0
		.amdhsa_float_denorm_mode_32 3
		.amdhsa_float_denorm_mode_16_64 3
		.amdhsa_dx10_clamp 1
		.amdhsa_ieee_mode 1
		.amdhsa_fp16_overflow 0
		.amdhsa_workgroup_processor_mode 1
		.amdhsa_memory_ordered 1
		.amdhsa_forward_progress 0
		.amdhsa_shared_vgpr_count 0
		.amdhsa_exception_fp_ieee_invalid_op 0
		.amdhsa_exception_fp_denorm_src 0
		.amdhsa_exception_fp_ieee_div_zero 0
		.amdhsa_exception_fp_ieee_overflow 0
		.amdhsa_exception_fp_ieee_underflow 0
		.amdhsa_exception_fp_ieee_inexact 0
		.amdhsa_exception_int_div_zero 0
	.end_amdhsa_kernel
	.section	.text._Z16warp_scan_kernelIfLj64ELj16EENSt9enable_ifIXsr10test_utilsE35device_test_enabled_for_warp_size_vIXT1_EEEvE4typeEPT_S4_S4_S3_,"axG",@progbits,_Z16warp_scan_kernelIfLj64ELj16EENSt9enable_ifIXsr10test_utilsE35device_test_enabled_for_warp_size_vIXT1_EEEvE4typeEPT_S4_S4_S3_,comdat
.Lfunc_end264:
	.size	_Z16warp_scan_kernelIfLj64ELj16EENSt9enable_ifIXsr10test_utilsE35device_test_enabled_for_warp_size_vIXT1_EEEvE4typeEPT_S4_S4_S3_, .Lfunc_end264-_Z16warp_scan_kernelIfLj64ELj16EENSt9enable_ifIXsr10test_utilsE35device_test_enabled_for_warp_size_vIXT1_EEEvE4typeEPT_S4_S4_S3_
                                        ; -- End function
	.section	.AMDGPU.csdata,"",@progbits
; Kernel info:
; codeLenInByte = 356
; NumSgprs: 18
; NumVgprs: 8
; ScratchSize: 0
; MemoryBound: 0
; FloatMode: 240
; IeeeMode: 1
; LDSByteSize: 0 bytes/workgroup (compile time only)
; SGPRBlocks: 2
; VGPRBlocks: 0
; NumSGPRsForWavesPerEU: 18
; NumVGPRsForWavesPerEU: 8
; Occupancy: 16
; WaveLimiterHint : 0
; COMPUTE_PGM_RSRC2:SCRATCH_EN: 0
; COMPUTE_PGM_RSRC2:USER_SGPR: 15
; COMPUTE_PGM_RSRC2:TRAP_HANDLER: 0
; COMPUTE_PGM_RSRC2:TGID_X_EN: 1
; COMPUTE_PGM_RSRC2:TGID_Y_EN: 0
; COMPUTE_PGM_RSRC2:TGID_Z_EN: 0
; COMPUTE_PGM_RSRC2:TIDIG_COMP_CNT: 0
	.section	.text._Z16warp_scan_kernelIfLj32ELj8EENSt9enable_ifIXsr10test_utilsE35device_test_enabled_for_warp_size_vIXT1_EEEvE4typeEPT_S4_S4_S3_,"axG",@progbits,_Z16warp_scan_kernelIfLj32ELj8EENSt9enable_ifIXsr10test_utilsE35device_test_enabled_for_warp_size_vIXT1_EEEvE4typeEPT_S4_S4_S3_,comdat
	.protected	_Z16warp_scan_kernelIfLj32ELj8EENSt9enable_ifIXsr10test_utilsE35device_test_enabled_for_warp_size_vIXT1_EEEvE4typeEPT_S4_S4_S3_ ; -- Begin function _Z16warp_scan_kernelIfLj32ELj8EENSt9enable_ifIXsr10test_utilsE35device_test_enabled_for_warp_size_vIXT1_EEEvE4typeEPT_S4_S4_S3_
	.globl	_Z16warp_scan_kernelIfLj32ELj8EENSt9enable_ifIXsr10test_utilsE35device_test_enabled_for_warp_size_vIXT1_EEEvE4typeEPT_S4_S4_S3_
	.p2align	8
	.type	_Z16warp_scan_kernelIfLj32ELj8EENSt9enable_ifIXsr10test_utilsE35device_test_enabled_for_warp_size_vIXT1_EEEvE4typeEPT_S4_S4_S3_,@function
_Z16warp_scan_kernelIfLj32ELj8EENSt9enable_ifIXsr10test_utilsE35device_test_enabled_for_warp_size_vIXT1_EEEvE4typeEPT_S4_S4_S3_: ; @_Z16warp_scan_kernelIfLj32ELj8EENSt9enable_ifIXsr10test_utilsE35device_test_enabled_for_warp_size_vIXT1_EEEvE4typeEPT_S4_S4_S3_
; %bb.0:
	s_clause 0x1
	s_load_b32 s2, s[0:1], 0x2c
	s_load_b128 s[4:7], s[0:1], 0x0
	s_waitcnt lgkmcnt(0)
	s_and_b32 s2, s2, 0xffff
	s_delay_alu instid0(SALU_CYCLE_1) | instskip(SKIP_4) | instid1(VALU_DEP_1)
	v_mad_u64_u32 v[1:2], null, s15, s2, v[0:1]
	v_mov_b32_e32 v2, 0
	s_clause 0x1
	s_load_b64 s[2:3], s[0:1], 0x10
	s_load_b32 s1, s[0:1], 0x18
	v_lshlrev_b64 v[0:1], 2, v[1:2]
	s_delay_alu instid0(VALU_DEP_1) | instskip(NEXT) | instid1(VALU_DEP_2)
	v_add_co_u32 v2, vcc_lo, s4, v0
	v_add_co_ci_u32_e32 v3, vcc_lo, s5, v1, vcc_lo
	global_load_b32 v2, v[2:3], off
	v_mbcnt_lo_u32_b32 v3, -1, 0
	s_delay_alu instid0(VALU_DEP_1) | instskip(SKIP_2) | instid1(VALU_DEP_3)
	v_and_b32_e32 v5, 7, v3
	v_add_nc_u32_e32 v6, -1, v3
	v_and_b32_e32 v7, 24, v3
	v_cmp_eq_u32_e32 vcc_lo, 0, v5
	v_cmp_lt_u32_e64 s0, 1, v5
	s_waitcnt vmcnt(0)
	v_mov_b32_dpp v4, v2 row_shr:1 row_mask:0xf bank_mask:0xf
	s_delay_alu instid0(VALU_DEP_1) | instskip(NEXT) | instid1(VALU_DEP_1)
	v_add_f32_e32 v4, v2, v4
	v_cndmask_b32_e32 v2, v4, v2, vcc_lo
	s_delay_alu instid0(VALU_DEP_1) | instskip(NEXT) | instid1(VALU_DEP_1)
	v_mov_b32_dpp v4, v2 row_shr:2 row_mask:0xf bank_mask:0xf
	v_add_f32_e32 v4, v2, v4
	s_delay_alu instid0(VALU_DEP_1) | instskip(SKIP_1) | instid1(VALU_DEP_2)
	v_cndmask_b32_e64 v2, v2, v4, s0
	v_cmp_lt_i32_e64 s0, v6, v7
	v_mov_b32_dpp v4, v2 row_shr:4 row_mask:0xf bank_mask:0xf
	s_delay_alu instid0(VALU_DEP_2) | instskip(SKIP_1) | instid1(VALU_DEP_2)
	v_cndmask_b32_e64 v3, v6, v3, s0
	v_cmp_lt_u32_e64 s0, 3, v5
	v_dual_add_f32 v4, v2, v4 :: v_dual_lshlrev_b32 v3, 2, v3
	s_delay_alu instid0(VALU_DEP_1) | instskip(SKIP_1) | instid1(VALU_DEP_1)
	v_cndmask_b32_e64 v2, v2, v4, s0
	s_waitcnt lgkmcnt(0)
	v_add_f32_e32 v4, s1, v2
	v_add_co_u32 v2, s0, s6, v0
	ds_bpermute_b32 v5, v3, v4
	v_add_co_ci_u32_e64 v3, s0, s7, v1, s0
	s_waitcnt lgkmcnt(0)
	v_cndmask_b32_e64 v5, v5, s1, vcc_lo
	v_add_co_u32 v0, vcc_lo, s2, v0
	v_add_co_ci_u32_e32 v1, vcc_lo, s3, v1, vcc_lo
	global_store_b32 v[2:3], v4, off
	global_store_b32 v[0:1], v5, off
	s_nop 0
	s_sendmsg sendmsg(MSG_DEALLOC_VGPRS)
	s_endpgm
	.section	.rodata,"a",@progbits
	.p2align	6, 0x0
	.amdhsa_kernel _Z16warp_scan_kernelIfLj32ELj8EENSt9enable_ifIXsr10test_utilsE35device_test_enabled_for_warp_size_vIXT1_EEEvE4typeEPT_S4_S4_S3_
		.amdhsa_group_segment_fixed_size 0
		.amdhsa_private_segment_fixed_size 0
		.amdhsa_kernarg_size 288
		.amdhsa_user_sgpr_count 15
		.amdhsa_user_sgpr_dispatch_ptr 0
		.amdhsa_user_sgpr_queue_ptr 0
		.amdhsa_user_sgpr_kernarg_segment_ptr 1
		.amdhsa_user_sgpr_dispatch_id 0
		.amdhsa_user_sgpr_private_segment_size 0
		.amdhsa_wavefront_size32 1
		.amdhsa_uses_dynamic_stack 0
		.amdhsa_enable_private_segment 0
		.amdhsa_system_sgpr_workgroup_id_x 1
		.amdhsa_system_sgpr_workgroup_id_y 0
		.amdhsa_system_sgpr_workgroup_id_z 0
		.amdhsa_system_sgpr_workgroup_info 0
		.amdhsa_system_vgpr_workitem_id 0
		.amdhsa_next_free_vgpr 8
		.amdhsa_next_free_sgpr 16
		.amdhsa_reserve_vcc 1
		.amdhsa_float_round_mode_32 0
		.amdhsa_float_round_mode_16_64 0
		.amdhsa_float_denorm_mode_32 3
		.amdhsa_float_denorm_mode_16_64 3
		.amdhsa_dx10_clamp 1
		.amdhsa_ieee_mode 1
		.amdhsa_fp16_overflow 0
		.amdhsa_workgroup_processor_mode 1
		.amdhsa_memory_ordered 1
		.amdhsa_forward_progress 0
		.amdhsa_shared_vgpr_count 0
		.amdhsa_exception_fp_ieee_invalid_op 0
		.amdhsa_exception_fp_denorm_src 0
		.amdhsa_exception_fp_ieee_div_zero 0
		.amdhsa_exception_fp_ieee_overflow 0
		.amdhsa_exception_fp_ieee_underflow 0
		.amdhsa_exception_fp_ieee_inexact 0
		.amdhsa_exception_int_div_zero 0
	.end_amdhsa_kernel
	.section	.text._Z16warp_scan_kernelIfLj32ELj8EENSt9enable_ifIXsr10test_utilsE35device_test_enabled_for_warp_size_vIXT1_EEEvE4typeEPT_S4_S4_S3_,"axG",@progbits,_Z16warp_scan_kernelIfLj32ELj8EENSt9enable_ifIXsr10test_utilsE35device_test_enabled_for_warp_size_vIXT1_EEEvE4typeEPT_S4_S4_S3_,comdat
.Lfunc_end265:
	.size	_Z16warp_scan_kernelIfLj32ELj8EENSt9enable_ifIXsr10test_utilsE35device_test_enabled_for_warp_size_vIXT1_EEEvE4typeEPT_S4_S4_S3_, .Lfunc_end265-_Z16warp_scan_kernelIfLj32ELj8EENSt9enable_ifIXsr10test_utilsE35device_test_enabled_for_warp_size_vIXT1_EEEvE4typeEPT_S4_S4_S3_
                                        ; -- End function
	.section	.AMDGPU.csdata,"",@progbits
; Kernel info:
; codeLenInByte = 328
; NumSgprs: 18
; NumVgprs: 8
; ScratchSize: 0
; MemoryBound: 0
; FloatMode: 240
; IeeeMode: 1
; LDSByteSize: 0 bytes/workgroup (compile time only)
; SGPRBlocks: 2
; VGPRBlocks: 0
; NumSGPRsForWavesPerEU: 18
; NumVGPRsForWavesPerEU: 8
; Occupancy: 16
; WaveLimiterHint : 0
; COMPUTE_PGM_RSRC2:SCRATCH_EN: 0
; COMPUTE_PGM_RSRC2:USER_SGPR: 15
; COMPUTE_PGM_RSRC2:TRAP_HANDLER: 0
; COMPUTE_PGM_RSRC2:TGID_X_EN: 1
; COMPUTE_PGM_RSRC2:TGID_Y_EN: 0
; COMPUTE_PGM_RSRC2:TGID_Z_EN: 0
; COMPUTE_PGM_RSRC2:TIDIG_COMP_CNT: 0
	.section	.text._Z16warp_scan_kernelIfLj64ELj8EENSt9enable_ifIXsr10test_utilsE35device_test_enabled_for_warp_size_vIXT1_EEEvE4typeEPT_S4_S4_S3_,"axG",@progbits,_Z16warp_scan_kernelIfLj64ELj8EENSt9enable_ifIXsr10test_utilsE35device_test_enabled_for_warp_size_vIXT1_EEEvE4typeEPT_S4_S4_S3_,comdat
	.protected	_Z16warp_scan_kernelIfLj64ELj8EENSt9enable_ifIXsr10test_utilsE35device_test_enabled_for_warp_size_vIXT1_EEEvE4typeEPT_S4_S4_S3_ ; -- Begin function _Z16warp_scan_kernelIfLj64ELj8EENSt9enable_ifIXsr10test_utilsE35device_test_enabled_for_warp_size_vIXT1_EEEvE4typeEPT_S4_S4_S3_
	.globl	_Z16warp_scan_kernelIfLj64ELj8EENSt9enable_ifIXsr10test_utilsE35device_test_enabled_for_warp_size_vIXT1_EEEvE4typeEPT_S4_S4_S3_
	.p2align	8
	.type	_Z16warp_scan_kernelIfLj64ELj8EENSt9enable_ifIXsr10test_utilsE35device_test_enabled_for_warp_size_vIXT1_EEEvE4typeEPT_S4_S4_S3_,@function
_Z16warp_scan_kernelIfLj64ELj8EENSt9enable_ifIXsr10test_utilsE35device_test_enabled_for_warp_size_vIXT1_EEEvE4typeEPT_S4_S4_S3_: ; @_Z16warp_scan_kernelIfLj64ELj8EENSt9enable_ifIXsr10test_utilsE35device_test_enabled_for_warp_size_vIXT1_EEEvE4typeEPT_S4_S4_S3_
; %bb.0:
	s_clause 0x1
	s_load_b32 s2, s[0:1], 0x2c
	s_load_b128 s[4:7], s[0:1], 0x0
	s_waitcnt lgkmcnt(0)
	s_and_b32 s2, s2, 0xffff
	s_delay_alu instid0(SALU_CYCLE_1) | instskip(SKIP_4) | instid1(VALU_DEP_1)
	v_mad_u64_u32 v[1:2], null, s15, s2, v[0:1]
	v_mov_b32_e32 v2, 0
	s_clause 0x1
	s_load_b64 s[2:3], s[0:1], 0x10
	s_load_b32 s1, s[0:1], 0x18
	v_lshlrev_b64 v[0:1], 2, v[1:2]
	s_delay_alu instid0(VALU_DEP_1) | instskip(NEXT) | instid1(VALU_DEP_2)
	v_add_co_u32 v2, vcc_lo, s4, v0
	v_add_co_ci_u32_e32 v3, vcc_lo, s5, v1, vcc_lo
	global_load_b32 v2, v[2:3], off
	v_mbcnt_lo_u32_b32 v3, -1, 0
	s_delay_alu instid0(VALU_DEP_1) | instskip(SKIP_2) | instid1(VALU_DEP_3)
	v_and_b32_e32 v5, 7, v3
	v_add_nc_u32_e32 v6, -1, v3
	v_and_b32_e32 v7, 24, v3
	v_cmp_eq_u32_e32 vcc_lo, 0, v5
	v_cmp_lt_u32_e64 s0, 1, v5
	s_waitcnt vmcnt(0)
	v_mov_b32_dpp v4, v2 row_shr:1 row_mask:0xf bank_mask:0xf
	s_delay_alu instid0(VALU_DEP_1) | instskip(NEXT) | instid1(VALU_DEP_1)
	v_add_f32_e32 v4, v2, v4
	v_cndmask_b32_e32 v2, v4, v2, vcc_lo
	s_delay_alu instid0(VALU_DEP_1) | instskip(NEXT) | instid1(VALU_DEP_1)
	v_mov_b32_dpp v4, v2 row_shr:2 row_mask:0xf bank_mask:0xf
	v_add_f32_e32 v4, v2, v4
	s_delay_alu instid0(VALU_DEP_1) | instskip(SKIP_1) | instid1(VALU_DEP_2)
	v_cndmask_b32_e64 v2, v2, v4, s0
	v_cmp_lt_i32_e64 s0, v6, v7
	v_mov_b32_dpp v4, v2 row_shr:4 row_mask:0xf bank_mask:0xf
	s_delay_alu instid0(VALU_DEP_2) | instskip(SKIP_1) | instid1(VALU_DEP_2)
	v_cndmask_b32_e64 v3, v6, v3, s0
	v_cmp_lt_u32_e64 s0, 3, v5
	v_dual_add_f32 v4, v2, v4 :: v_dual_lshlrev_b32 v3, 2, v3
	s_delay_alu instid0(VALU_DEP_1) | instskip(SKIP_1) | instid1(VALU_DEP_1)
	v_cndmask_b32_e64 v2, v2, v4, s0
	s_waitcnt lgkmcnt(0)
	v_add_f32_e32 v4, s1, v2
	v_add_co_u32 v2, s0, s6, v0
	ds_bpermute_b32 v5, v3, v4
	v_add_co_ci_u32_e64 v3, s0, s7, v1, s0
	s_waitcnt lgkmcnt(0)
	v_cndmask_b32_e64 v5, v5, s1, vcc_lo
	v_add_co_u32 v0, vcc_lo, s2, v0
	v_add_co_ci_u32_e32 v1, vcc_lo, s3, v1, vcc_lo
	global_store_b32 v[2:3], v4, off
	global_store_b32 v[0:1], v5, off
	s_nop 0
	s_sendmsg sendmsg(MSG_DEALLOC_VGPRS)
	s_endpgm
	.section	.rodata,"a",@progbits
	.p2align	6, 0x0
	.amdhsa_kernel _Z16warp_scan_kernelIfLj64ELj8EENSt9enable_ifIXsr10test_utilsE35device_test_enabled_for_warp_size_vIXT1_EEEvE4typeEPT_S4_S4_S3_
		.amdhsa_group_segment_fixed_size 0
		.amdhsa_private_segment_fixed_size 0
		.amdhsa_kernarg_size 288
		.amdhsa_user_sgpr_count 15
		.amdhsa_user_sgpr_dispatch_ptr 0
		.amdhsa_user_sgpr_queue_ptr 0
		.amdhsa_user_sgpr_kernarg_segment_ptr 1
		.amdhsa_user_sgpr_dispatch_id 0
		.amdhsa_user_sgpr_private_segment_size 0
		.amdhsa_wavefront_size32 1
		.amdhsa_uses_dynamic_stack 0
		.amdhsa_enable_private_segment 0
		.amdhsa_system_sgpr_workgroup_id_x 1
		.amdhsa_system_sgpr_workgroup_id_y 0
		.amdhsa_system_sgpr_workgroup_id_z 0
		.amdhsa_system_sgpr_workgroup_info 0
		.amdhsa_system_vgpr_workitem_id 0
		.amdhsa_next_free_vgpr 8
		.amdhsa_next_free_sgpr 16
		.amdhsa_reserve_vcc 1
		.amdhsa_float_round_mode_32 0
		.amdhsa_float_round_mode_16_64 0
		.amdhsa_float_denorm_mode_32 3
		.amdhsa_float_denorm_mode_16_64 3
		.amdhsa_dx10_clamp 1
		.amdhsa_ieee_mode 1
		.amdhsa_fp16_overflow 0
		.amdhsa_workgroup_processor_mode 1
		.amdhsa_memory_ordered 1
		.amdhsa_forward_progress 0
		.amdhsa_shared_vgpr_count 0
		.amdhsa_exception_fp_ieee_invalid_op 0
		.amdhsa_exception_fp_denorm_src 0
		.amdhsa_exception_fp_ieee_div_zero 0
		.amdhsa_exception_fp_ieee_overflow 0
		.amdhsa_exception_fp_ieee_underflow 0
		.amdhsa_exception_fp_ieee_inexact 0
		.amdhsa_exception_int_div_zero 0
	.end_amdhsa_kernel
	.section	.text._Z16warp_scan_kernelIfLj64ELj8EENSt9enable_ifIXsr10test_utilsE35device_test_enabled_for_warp_size_vIXT1_EEEvE4typeEPT_S4_S4_S3_,"axG",@progbits,_Z16warp_scan_kernelIfLj64ELj8EENSt9enable_ifIXsr10test_utilsE35device_test_enabled_for_warp_size_vIXT1_EEEvE4typeEPT_S4_S4_S3_,comdat
.Lfunc_end266:
	.size	_Z16warp_scan_kernelIfLj64ELj8EENSt9enable_ifIXsr10test_utilsE35device_test_enabled_for_warp_size_vIXT1_EEEvE4typeEPT_S4_S4_S3_, .Lfunc_end266-_Z16warp_scan_kernelIfLj64ELj8EENSt9enable_ifIXsr10test_utilsE35device_test_enabled_for_warp_size_vIXT1_EEEvE4typeEPT_S4_S4_S3_
                                        ; -- End function
	.section	.AMDGPU.csdata,"",@progbits
; Kernel info:
; codeLenInByte = 328
; NumSgprs: 18
; NumVgprs: 8
; ScratchSize: 0
; MemoryBound: 0
; FloatMode: 240
; IeeeMode: 1
; LDSByteSize: 0 bytes/workgroup (compile time only)
; SGPRBlocks: 2
; VGPRBlocks: 0
; NumSGPRsForWavesPerEU: 18
; NumVGPRsForWavesPerEU: 8
; Occupancy: 16
; WaveLimiterHint : 0
; COMPUTE_PGM_RSRC2:SCRATCH_EN: 0
; COMPUTE_PGM_RSRC2:USER_SGPR: 15
; COMPUTE_PGM_RSRC2:TRAP_HANDLER: 0
; COMPUTE_PGM_RSRC2:TGID_X_EN: 1
; COMPUTE_PGM_RSRC2:TGID_Y_EN: 0
; COMPUTE_PGM_RSRC2:TGID_Z_EN: 0
; COMPUTE_PGM_RSRC2:TIDIG_COMP_CNT: 0
	.section	.text._Z16warp_scan_kernelIfLj32ELj4EENSt9enable_ifIXsr10test_utilsE35device_test_enabled_for_warp_size_vIXT1_EEEvE4typeEPT_S4_S4_S3_,"axG",@progbits,_Z16warp_scan_kernelIfLj32ELj4EENSt9enable_ifIXsr10test_utilsE35device_test_enabled_for_warp_size_vIXT1_EEEvE4typeEPT_S4_S4_S3_,comdat
	.protected	_Z16warp_scan_kernelIfLj32ELj4EENSt9enable_ifIXsr10test_utilsE35device_test_enabled_for_warp_size_vIXT1_EEEvE4typeEPT_S4_S4_S3_ ; -- Begin function _Z16warp_scan_kernelIfLj32ELj4EENSt9enable_ifIXsr10test_utilsE35device_test_enabled_for_warp_size_vIXT1_EEEvE4typeEPT_S4_S4_S3_
	.globl	_Z16warp_scan_kernelIfLj32ELj4EENSt9enable_ifIXsr10test_utilsE35device_test_enabled_for_warp_size_vIXT1_EEEvE4typeEPT_S4_S4_S3_
	.p2align	8
	.type	_Z16warp_scan_kernelIfLj32ELj4EENSt9enable_ifIXsr10test_utilsE35device_test_enabled_for_warp_size_vIXT1_EEEvE4typeEPT_S4_S4_S3_,@function
_Z16warp_scan_kernelIfLj32ELj4EENSt9enable_ifIXsr10test_utilsE35device_test_enabled_for_warp_size_vIXT1_EEEvE4typeEPT_S4_S4_S3_: ; @_Z16warp_scan_kernelIfLj32ELj4EENSt9enable_ifIXsr10test_utilsE35device_test_enabled_for_warp_size_vIXT1_EEEvE4typeEPT_S4_S4_S3_
; %bb.0:
	s_clause 0x1
	s_load_b32 s2, s[0:1], 0x2c
	s_load_b128 s[4:7], s[0:1], 0x0
	s_waitcnt lgkmcnt(0)
	s_and_b32 s2, s2, 0xffff
	s_delay_alu instid0(SALU_CYCLE_1) | instskip(SKIP_4) | instid1(VALU_DEP_1)
	v_mad_u64_u32 v[1:2], null, s15, s2, v[0:1]
	v_mov_b32_e32 v2, 0
	s_clause 0x1
	s_load_b64 s[2:3], s[0:1], 0x10
	s_load_b32 s1, s[0:1], 0x18
	v_lshlrev_b64 v[0:1], 2, v[1:2]
	s_delay_alu instid0(VALU_DEP_1) | instskip(NEXT) | instid1(VALU_DEP_2)
	v_add_co_u32 v2, vcc_lo, s4, v0
	v_add_co_ci_u32_e32 v3, vcc_lo, s5, v1, vcc_lo
	global_load_b32 v2, v[2:3], off
	v_mbcnt_lo_u32_b32 v3, -1, 0
	s_delay_alu instid0(VALU_DEP_1) | instskip(SKIP_2) | instid1(VALU_DEP_3)
	v_and_b32_e32 v5, 3, v3
	v_add_nc_u32_e32 v6, -1, v3
	v_and_b32_e32 v7, 28, v3
	v_cmp_eq_u32_e32 vcc_lo, 0, v5
	s_delay_alu instid0(VALU_DEP_2) | instskip(NEXT) | instid1(VALU_DEP_1)
	v_cmp_lt_i32_e64 s0, v6, v7
	v_cndmask_b32_e64 v3, v6, v3, s0
	v_cmp_lt_u32_e64 s0, 1, v5
	s_delay_alu instid0(VALU_DEP_2) | instskip(SKIP_2) | instid1(VALU_DEP_1)
	v_lshlrev_b32_e32 v3, 2, v3
	s_waitcnt vmcnt(0)
	v_mov_b32_dpp v4, v2 row_shr:1 row_mask:0xf bank_mask:0xf
	v_add_f32_e32 v4, v2, v4
	s_delay_alu instid0(VALU_DEP_1) | instskip(NEXT) | instid1(VALU_DEP_1)
	v_cndmask_b32_e32 v2, v4, v2, vcc_lo
	v_mov_b32_dpp v4, v2 row_shr:2 row_mask:0xf bank_mask:0xf
	s_delay_alu instid0(VALU_DEP_1) | instskip(NEXT) | instid1(VALU_DEP_1)
	v_add_f32_e32 v4, v2, v4
	v_cndmask_b32_e64 v2, v2, v4, s0
	s_waitcnt lgkmcnt(0)
	s_delay_alu instid0(VALU_DEP_1)
	v_add_f32_e32 v4, s1, v2
	v_add_co_u32 v2, s0, s6, v0
	ds_bpermute_b32 v5, v3, v4
	v_add_co_ci_u32_e64 v3, s0, s7, v1, s0
	s_waitcnt lgkmcnt(0)
	v_cndmask_b32_e64 v5, v5, s1, vcc_lo
	v_add_co_u32 v0, vcc_lo, s2, v0
	v_add_co_ci_u32_e32 v1, vcc_lo, s3, v1, vcc_lo
	global_store_b32 v[2:3], v4, off
	global_store_b32 v[0:1], v5, off
	s_nop 0
	s_sendmsg sendmsg(MSG_DEALLOC_VGPRS)
	s_endpgm
	.section	.rodata,"a",@progbits
	.p2align	6, 0x0
	.amdhsa_kernel _Z16warp_scan_kernelIfLj32ELj4EENSt9enable_ifIXsr10test_utilsE35device_test_enabled_for_warp_size_vIXT1_EEEvE4typeEPT_S4_S4_S3_
		.amdhsa_group_segment_fixed_size 0
		.amdhsa_private_segment_fixed_size 0
		.amdhsa_kernarg_size 288
		.amdhsa_user_sgpr_count 15
		.amdhsa_user_sgpr_dispatch_ptr 0
		.amdhsa_user_sgpr_queue_ptr 0
		.amdhsa_user_sgpr_kernarg_segment_ptr 1
		.amdhsa_user_sgpr_dispatch_id 0
		.amdhsa_user_sgpr_private_segment_size 0
		.amdhsa_wavefront_size32 1
		.amdhsa_uses_dynamic_stack 0
		.amdhsa_enable_private_segment 0
		.amdhsa_system_sgpr_workgroup_id_x 1
		.amdhsa_system_sgpr_workgroup_id_y 0
		.amdhsa_system_sgpr_workgroup_id_z 0
		.amdhsa_system_sgpr_workgroup_info 0
		.amdhsa_system_vgpr_workitem_id 0
		.amdhsa_next_free_vgpr 8
		.amdhsa_next_free_sgpr 16
		.amdhsa_reserve_vcc 1
		.amdhsa_float_round_mode_32 0
		.amdhsa_float_round_mode_16_64 0
		.amdhsa_float_denorm_mode_32 3
		.amdhsa_float_denorm_mode_16_64 3
		.amdhsa_dx10_clamp 1
		.amdhsa_ieee_mode 1
		.amdhsa_fp16_overflow 0
		.amdhsa_workgroup_processor_mode 1
		.amdhsa_memory_ordered 1
		.amdhsa_forward_progress 0
		.amdhsa_shared_vgpr_count 0
		.amdhsa_exception_fp_ieee_invalid_op 0
		.amdhsa_exception_fp_denorm_src 0
		.amdhsa_exception_fp_ieee_div_zero 0
		.amdhsa_exception_fp_ieee_overflow 0
		.amdhsa_exception_fp_ieee_underflow 0
		.amdhsa_exception_fp_ieee_inexact 0
		.amdhsa_exception_int_div_zero 0
	.end_amdhsa_kernel
	.section	.text._Z16warp_scan_kernelIfLj32ELj4EENSt9enable_ifIXsr10test_utilsE35device_test_enabled_for_warp_size_vIXT1_EEEvE4typeEPT_S4_S4_S3_,"axG",@progbits,_Z16warp_scan_kernelIfLj32ELj4EENSt9enable_ifIXsr10test_utilsE35device_test_enabled_for_warp_size_vIXT1_EEEvE4typeEPT_S4_S4_S3_,comdat
.Lfunc_end267:
	.size	_Z16warp_scan_kernelIfLj32ELj4EENSt9enable_ifIXsr10test_utilsE35device_test_enabled_for_warp_size_vIXT1_EEEvE4typeEPT_S4_S4_S3_, .Lfunc_end267-_Z16warp_scan_kernelIfLj32ELj4EENSt9enable_ifIXsr10test_utilsE35device_test_enabled_for_warp_size_vIXT1_EEEvE4typeEPT_S4_S4_S3_
                                        ; -- End function
	.section	.AMDGPU.csdata,"",@progbits
; Kernel info:
; codeLenInByte = 300
; NumSgprs: 18
; NumVgprs: 8
; ScratchSize: 0
; MemoryBound: 0
; FloatMode: 240
; IeeeMode: 1
; LDSByteSize: 0 bytes/workgroup (compile time only)
; SGPRBlocks: 2
; VGPRBlocks: 0
; NumSGPRsForWavesPerEU: 18
; NumVGPRsForWavesPerEU: 8
; Occupancy: 16
; WaveLimiterHint : 0
; COMPUTE_PGM_RSRC2:SCRATCH_EN: 0
; COMPUTE_PGM_RSRC2:USER_SGPR: 15
; COMPUTE_PGM_RSRC2:TRAP_HANDLER: 0
; COMPUTE_PGM_RSRC2:TGID_X_EN: 1
; COMPUTE_PGM_RSRC2:TGID_Y_EN: 0
; COMPUTE_PGM_RSRC2:TGID_Z_EN: 0
; COMPUTE_PGM_RSRC2:TIDIG_COMP_CNT: 0
	.section	.text._Z16warp_scan_kernelIfLj64ELj4EENSt9enable_ifIXsr10test_utilsE35device_test_enabled_for_warp_size_vIXT1_EEEvE4typeEPT_S4_S4_S3_,"axG",@progbits,_Z16warp_scan_kernelIfLj64ELj4EENSt9enable_ifIXsr10test_utilsE35device_test_enabled_for_warp_size_vIXT1_EEEvE4typeEPT_S4_S4_S3_,comdat
	.protected	_Z16warp_scan_kernelIfLj64ELj4EENSt9enable_ifIXsr10test_utilsE35device_test_enabled_for_warp_size_vIXT1_EEEvE4typeEPT_S4_S4_S3_ ; -- Begin function _Z16warp_scan_kernelIfLj64ELj4EENSt9enable_ifIXsr10test_utilsE35device_test_enabled_for_warp_size_vIXT1_EEEvE4typeEPT_S4_S4_S3_
	.globl	_Z16warp_scan_kernelIfLj64ELj4EENSt9enable_ifIXsr10test_utilsE35device_test_enabled_for_warp_size_vIXT1_EEEvE4typeEPT_S4_S4_S3_
	.p2align	8
	.type	_Z16warp_scan_kernelIfLj64ELj4EENSt9enable_ifIXsr10test_utilsE35device_test_enabled_for_warp_size_vIXT1_EEEvE4typeEPT_S4_S4_S3_,@function
_Z16warp_scan_kernelIfLj64ELj4EENSt9enable_ifIXsr10test_utilsE35device_test_enabled_for_warp_size_vIXT1_EEEvE4typeEPT_S4_S4_S3_: ; @_Z16warp_scan_kernelIfLj64ELj4EENSt9enable_ifIXsr10test_utilsE35device_test_enabled_for_warp_size_vIXT1_EEEvE4typeEPT_S4_S4_S3_
; %bb.0:
	s_clause 0x1
	s_load_b32 s2, s[0:1], 0x2c
	s_load_b128 s[4:7], s[0:1], 0x0
	s_waitcnt lgkmcnt(0)
	s_and_b32 s2, s2, 0xffff
	s_delay_alu instid0(SALU_CYCLE_1) | instskip(SKIP_4) | instid1(VALU_DEP_1)
	v_mad_u64_u32 v[1:2], null, s15, s2, v[0:1]
	v_mov_b32_e32 v2, 0
	s_clause 0x1
	s_load_b64 s[2:3], s[0:1], 0x10
	s_load_b32 s1, s[0:1], 0x18
	v_lshlrev_b64 v[0:1], 2, v[1:2]
	s_delay_alu instid0(VALU_DEP_1) | instskip(NEXT) | instid1(VALU_DEP_2)
	v_add_co_u32 v2, vcc_lo, s4, v0
	v_add_co_ci_u32_e32 v3, vcc_lo, s5, v1, vcc_lo
	global_load_b32 v2, v[2:3], off
	v_mbcnt_lo_u32_b32 v3, -1, 0
	s_delay_alu instid0(VALU_DEP_1) | instskip(SKIP_2) | instid1(VALU_DEP_3)
	v_and_b32_e32 v5, 3, v3
	v_add_nc_u32_e32 v6, -1, v3
	v_and_b32_e32 v7, 28, v3
	v_cmp_eq_u32_e32 vcc_lo, 0, v5
	s_delay_alu instid0(VALU_DEP_2) | instskip(NEXT) | instid1(VALU_DEP_1)
	v_cmp_lt_i32_e64 s0, v6, v7
	v_cndmask_b32_e64 v3, v6, v3, s0
	v_cmp_lt_u32_e64 s0, 1, v5
	s_delay_alu instid0(VALU_DEP_2) | instskip(SKIP_2) | instid1(VALU_DEP_1)
	v_lshlrev_b32_e32 v3, 2, v3
	s_waitcnt vmcnt(0)
	v_mov_b32_dpp v4, v2 row_shr:1 row_mask:0xf bank_mask:0xf
	v_add_f32_e32 v4, v2, v4
	s_delay_alu instid0(VALU_DEP_1) | instskip(NEXT) | instid1(VALU_DEP_1)
	v_cndmask_b32_e32 v2, v4, v2, vcc_lo
	v_mov_b32_dpp v4, v2 row_shr:2 row_mask:0xf bank_mask:0xf
	s_delay_alu instid0(VALU_DEP_1) | instskip(NEXT) | instid1(VALU_DEP_1)
	v_add_f32_e32 v4, v2, v4
	v_cndmask_b32_e64 v2, v2, v4, s0
	s_waitcnt lgkmcnt(0)
	s_delay_alu instid0(VALU_DEP_1)
	v_add_f32_e32 v4, s1, v2
	v_add_co_u32 v2, s0, s6, v0
	ds_bpermute_b32 v5, v3, v4
	v_add_co_ci_u32_e64 v3, s0, s7, v1, s0
	s_waitcnt lgkmcnt(0)
	v_cndmask_b32_e64 v5, v5, s1, vcc_lo
	v_add_co_u32 v0, vcc_lo, s2, v0
	v_add_co_ci_u32_e32 v1, vcc_lo, s3, v1, vcc_lo
	global_store_b32 v[2:3], v4, off
	global_store_b32 v[0:1], v5, off
	s_nop 0
	s_sendmsg sendmsg(MSG_DEALLOC_VGPRS)
	s_endpgm
	.section	.rodata,"a",@progbits
	.p2align	6, 0x0
	.amdhsa_kernel _Z16warp_scan_kernelIfLj64ELj4EENSt9enable_ifIXsr10test_utilsE35device_test_enabled_for_warp_size_vIXT1_EEEvE4typeEPT_S4_S4_S3_
		.amdhsa_group_segment_fixed_size 0
		.amdhsa_private_segment_fixed_size 0
		.amdhsa_kernarg_size 288
		.amdhsa_user_sgpr_count 15
		.amdhsa_user_sgpr_dispatch_ptr 0
		.amdhsa_user_sgpr_queue_ptr 0
		.amdhsa_user_sgpr_kernarg_segment_ptr 1
		.amdhsa_user_sgpr_dispatch_id 0
		.amdhsa_user_sgpr_private_segment_size 0
		.amdhsa_wavefront_size32 1
		.amdhsa_uses_dynamic_stack 0
		.amdhsa_enable_private_segment 0
		.amdhsa_system_sgpr_workgroup_id_x 1
		.amdhsa_system_sgpr_workgroup_id_y 0
		.amdhsa_system_sgpr_workgroup_id_z 0
		.amdhsa_system_sgpr_workgroup_info 0
		.amdhsa_system_vgpr_workitem_id 0
		.amdhsa_next_free_vgpr 8
		.amdhsa_next_free_sgpr 16
		.amdhsa_reserve_vcc 1
		.amdhsa_float_round_mode_32 0
		.amdhsa_float_round_mode_16_64 0
		.amdhsa_float_denorm_mode_32 3
		.amdhsa_float_denorm_mode_16_64 3
		.amdhsa_dx10_clamp 1
		.amdhsa_ieee_mode 1
		.amdhsa_fp16_overflow 0
		.amdhsa_workgroup_processor_mode 1
		.amdhsa_memory_ordered 1
		.amdhsa_forward_progress 0
		.amdhsa_shared_vgpr_count 0
		.amdhsa_exception_fp_ieee_invalid_op 0
		.amdhsa_exception_fp_denorm_src 0
		.amdhsa_exception_fp_ieee_div_zero 0
		.amdhsa_exception_fp_ieee_overflow 0
		.amdhsa_exception_fp_ieee_underflow 0
		.amdhsa_exception_fp_ieee_inexact 0
		.amdhsa_exception_int_div_zero 0
	.end_amdhsa_kernel
	.section	.text._Z16warp_scan_kernelIfLj64ELj4EENSt9enable_ifIXsr10test_utilsE35device_test_enabled_for_warp_size_vIXT1_EEEvE4typeEPT_S4_S4_S3_,"axG",@progbits,_Z16warp_scan_kernelIfLj64ELj4EENSt9enable_ifIXsr10test_utilsE35device_test_enabled_for_warp_size_vIXT1_EEEvE4typeEPT_S4_S4_S3_,comdat
.Lfunc_end268:
	.size	_Z16warp_scan_kernelIfLj64ELj4EENSt9enable_ifIXsr10test_utilsE35device_test_enabled_for_warp_size_vIXT1_EEEvE4typeEPT_S4_S4_S3_, .Lfunc_end268-_Z16warp_scan_kernelIfLj64ELj4EENSt9enable_ifIXsr10test_utilsE35device_test_enabled_for_warp_size_vIXT1_EEEvE4typeEPT_S4_S4_S3_
                                        ; -- End function
	.section	.AMDGPU.csdata,"",@progbits
; Kernel info:
; codeLenInByte = 300
; NumSgprs: 18
; NumVgprs: 8
; ScratchSize: 0
; MemoryBound: 0
; FloatMode: 240
; IeeeMode: 1
; LDSByteSize: 0 bytes/workgroup (compile time only)
; SGPRBlocks: 2
; VGPRBlocks: 0
; NumSGPRsForWavesPerEU: 18
; NumVGPRsForWavesPerEU: 8
; Occupancy: 16
; WaveLimiterHint : 0
; COMPUTE_PGM_RSRC2:SCRATCH_EN: 0
; COMPUTE_PGM_RSRC2:USER_SGPR: 15
; COMPUTE_PGM_RSRC2:TRAP_HANDLER: 0
; COMPUTE_PGM_RSRC2:TGID_X_EN: 1
; COMPUTE_PGM_RSRC2:TGID_Y_EN: 0
; COMPUTE_PGM_RSRC2:TGID_Z_EN: 0
; COMPUTE_PGM_RSRC2:TIDIG_COMP_CNT: 0
	.section	.text._Z16warp_scan_kernelIfLj32ELj2EENSt9enable_ifIXsr10test_utilsE35device_test_enabled_for_warp_size_vIXT1_EEEvE4typeEPT_S4_S4_S3_,"axG",@progbits,_Z16warp_scan_kernelIfLj32ELj2EENSt9enable_ifIXsr10test_utilsE35device_test_enabled_for_warp_size_vIXT1_EEEvE4typeEPT_S4_S4_S3_,comdat
	.protected	_Z16warp_scan_kernelIfLj32ELj2EENSt9enable_ifIXsr10test_utilsE35device_test_enabled_for_warp_size_vIXT1_EEEvE4typeEPT_S4_S4_S3_ ; -- Begin function _Z16warp_scan_kernelIfLj32ELj2EENSt9enable_ifIXsr10test_utilsE35device_test_enabled_for_warp_size_vIXT1_EEEvE4typeEPT_S4_S4_S3_
	.globl	_Z16warp_scan_kernelIfLj32ELj2EENSt9enable_ifIXsr10test_utilsE35device_test_enabled_for_warp_size_vIXT1_EEEvE4typeEPT_S4_S4_S3_
	.p2align	8
	.type	_Z16warp_scan_kernelIfLj32ELj2EENSt9enable_ifIXsr10test_utilsE35device_test_enabled_for_warp_size_vIXT1_EEEvE4typeEPT_S4_S4_S3_,@function
_Z16warp_scan_kernelIfLj32ELj2EENSt9enable_ifIXsr10test_utilsE35device_test_enabled_for_warp_size_vIXT1_EEEvE4typeEPT_S4_S4_S3_: ; @_Z16warp_scan_kernelIfLj32ELj2EENSt9enable_ifIXsr10test_utilsE35device_test_enabled_for_warp_size_vIXT1_EEEvE4typeEPT_S4_S4_S3_
; %bb.0:
	s_clause 0x1
	s_load_b32 s2, s[0:1], 0x2c
	s_load_b128 s[4:7], s[0:1], 0x0
	s_waitcnt lgkmcnt(0)
	s_and_b32 s2, s2, 0xffff
	s_delay_alu instid0(SALU_CYCLE_1) | instskip(SKIP_4) | instid1(VALU_DEP_1)
	v_mad_u64_u32 v[1:2], null, s15, s2, v[0:1]
	v_mov_b32_e32 v2, 0
	s_clause 0x1
	s_load_b64 s[2:3], s[0:1], 0x10
	s_load_b32 s1, s[0:1], 0x18
	v_lshlrev_b64 v[0:1], 2, v[1:2]
	s_delay_alu instid0(VALU_DEP_1) | instskip(NEXT) | instid1(VALU_DEP_2)
	v_add_co_u32 v2, vcc_lo, s4, v0
	v_add_co_ci_u32_e32 v3, vcc_lo, s5, v1, vcc_lo
	global_load_b32 v2, v[2:3], off
	v_mbcnt_lo_u32_b32 v3, -1, 0
	s_delay_alu instid0(VALU_DEP_1) | instskip(SKIP_1) | instid1(VALU_DEP_1)
	v_add_nc_u32_e32 v5, -1, v3
	v_and_b32_e32 v6, 30, v3
	v_cmp_lt_i32_e32 vcc_lo, v5, v6
	s_waitcnt vmcnt(0)
	v_mov_b32_dpp v4, v2 row_shr:1 row_mask:0xf bank_mask:0xf
	s_delay_alu instid0(VALU_DEP_1) | instskip(SKIP_1) | instid1(VALU_DEP_2)
	v_dual_add_f32 v4, v2, v4 :: v_dual_and_b32 v7, 1, v3
	v_cndmask_b32_e32 v3, v5, v3, vcc_lo
	v_cmp_eq_u32_e32 vcc_lo, 0, v7
	s_delay_alu instid0(VALU_DEP_2) | instskip(SKIP_1) | instid1(VALU_DEP_1)
	v_dual_cndmask_b32 v2, v4, v2 :: v_dual_lshlrev_b32 v3, 2, v3
	s_waitcnt lgkmcnt(0)
	v_add_f32_e32 v4, s1, v2
	v_add_co_u32 v2, s0, s6, v0
	ds_bpermute_b32 v5, v3, v4
	v_add_co_ci_u32_e64 v3, s0, s7, v1, s0
	s_waitcnt lgkmcnt(0)
	v_cndmask_b32_e64 v5, v5, s1, vcc_lo
	v_add_co_u32 v0, vcc_lo, s2, v0
	v_add_co_ci_u32_e32 v1, vcc_lo, s3, v1, vcc_lo
	global_store_b32 v[2:3], v4, off
	global_store_b32 v[0:1], v5, off
	s_nop 0
	s_sendmsg sendmsg(MSG_DEALLOC_VGPRS)
	s_endpgm
	.section	.rodata,"a",@progbits
	.p2align	6, 0x0
	.amdhsa_kernel _Z16warp_scan_kernelIfLj32ELj2EENSt9enable_ifIXsr10test_utilsE35device_test_enabled_for_warp_size_vIXT1_EEEvE4typeEPT_S4_S4_S3_
		.amdhsa_group_segment_fixed_size 0
		.amdhsa_private_segment_fixed_size 0
		.amdhsa_kernarg_size 288
		.amdhsa_user_sgpr_count 15
		.amdhsa_user_sgpr_dispatch_ptr 0
		.amdhsa_user_sgpr_queue_ptr 0
		.amdhsa_user_sgpr_kernarg_segment_ptr 1
		.amdhsa_user_sgpr_dispatch_id 0
		.amdhsa_user_sgpr_private_segment_size 0
		.amdhsa_wavefront_size32 1
		.amdhsa_uses_dynamic_stack 0
		.amdhsa_enable_private_segment 0
		.amdhsa_system_sgpr_workgroup_id_x 1
		.amdhsa_system_sgpr_workgroup_id_y 0
		.amdhsa_system_sgpr_workgroup_id_z 0
		.amdhsa_system_sgpr_workgroup_info 0
		.amdhsa_system_vgpr_workitem_id 0
		.amdhsa_next_free_vgpr 8
		.amdhsa_next_free_sgpr 16
		.amdhsa_reserve_vcc 1
		.amdhsa_float_round_mode_32 0
		.amdhsa_float_round_mode_16_64 0
		.amdhsa_float_denorm_mode_32 3
		.amdhsa_float_denorm_mode_16_64 3
		.amdhsa_dx10_clamp 1
		.amdhsa_ieee_mode 1
		.amdhsa_fp16_overflow 0
		.amdhsa_workgroup_processor_mode 1
		.amdhsa_memory_ordered 1
		.amdhsa_forward_progress 0
		.amdhsa_shared_vgpr_count 0
		.amdhsa_exception_fp_ieee_invalid_op 0
		.amdhsa_exception_fp_denorm_src 0
		.amdhsa_exception_fp_ieee_div_zero 0
		.amdhsa_exception_fp_ieee_overflow 0
		.amdhsa_exception_fp_ieee_underflow 0
		.amdhsa_exception_fp_ieee_inexact 0
		.amdhsa_exception_int_div_zero 0
	.end_amdhsa_kernel
	.section	.text._Z16warp_scan_kernelIfLj32ELj2EENSt9enable_ifIXsr10test_utilsE35device_test_enabled_for_warp_size_vIXT1_EEEvE4typeEPT_S4_S4_S3_,"axG",@progbits,_Z16warp_scan_kernelIfLj32ELj2EENSt9enable_ifIXsr10test_utilsE35device_test_enabled_for_warp_size_vIXT1_EEEvE4typeEPT_S4_S4_S3_,comdat
.Lfunc_end269:
	.size	_Z16warp_scan_kernelIfLj32ELj2EENSt9enable_ifIXsr10test_utilsE35device_test_enabled_for_warp_size_vIXT1_EEEvE4typeEPT_S4_S4_S3_, .Lfunc_end269-_Z16warp_scan_kernelIfLj32ELj2EENSt9enable_ifIXsr10test_utilsE35device_test_enabled_for_warp_size_vIXT1_EEEvE4typeEPT_S4_S4_S3_
                                        ; -- End function
	.section	.AMDGPU.csdata,"",@progbits
; Kernel info:
; codeLenInByte = 252
; NumSgprs: 18
; NumVgprs: 8
; ScratchSize: 0
; MemoryBound: 0
; FloatMode: 240
; IeeeMode: 1
; LDSByteSize: 0 bytes/workgroup (compile time only)
; SGPRBlocks: 2
; VGPRBlocks: 0
; NumSGPRsForWavesPerEU: 18
; NumVGPRsForWavesPerEU: 8
; Occupancy: 16
; WaveLimiterHint : 0
; COMPUTE_PGM_RSRC2:SCRATCH_EN: 0
; COMPUTE_PGM_RSRC2:USER_SGPR: 15
; COMPUTE_PGM_RSRC2:TRAP_HANDLER: 0
; COMPUTE_PGM_RSRC2:TGID_X_EN: 1
; COMPUTE_PGM_RSRC2:TGID_Y_EN: 0
; COMPUTE_PGM_RSRC2:TGID_Z_EN: 0
; COMPUTE_PGM_RSRC2:TIDIG_COMP_CNT: 0
	.section	.text._Z16warp_scan_kernelIfLj64ELj2EENSt9enable_ifIXsr10test_utilsE35device_test_enabled_for_warp_size_vIXT1_EEEvE4typeEPT_S4_S4_S3_,"axG",@progbits,_Z16warp_scan_kernelIfLj64ELj2EENSt9enable_ifIXsr10test_utilsE35device_test_enabled_for_warp_size_vIXT1_EEEvE4typeEPT_S4_S4_S3_,comdat
	.protected	_Z16warp_scan_kernelIfLj64ELj2EENSt9enable_ifIXsr10test_utilsE35device_test_enabled_for_warp_size_vIXT1_EEEvE4typeEPT_S4_S4_S3_ ; -- Begin function _Z16warp_scan_kernelIfLj64ELj2EENSt9enable_ifIXsr10test_utilsE35device_test_enabled_for_warp_size_vIXT1_EEEvE4typeEPT_S4_S4_S3_
	.globl	_Z16warp_scan_kernelIfLj64ELj2EENSt9enable_ifIXsr10test_utilsE35device_test_enabled_for_warp_size_vIXT1_EEEvE4typeEPT_S4_S4_S3_
	.p2align	8
	.type	_Z16warp_scan_kernelIfLj64ELj2EENSt9enable_ifIXsr10test_utilsE35device_test_enabled_for_warp_size_vIXT1_EEEvE4typeEPT_S4_S4_S3_,@function
_Z16warp_scan_kernelIfLj64ELj2EENSt9enable_ifIXsr10test_utilsE35device_test_enabled_for_warp_size_vIXT1_EEEvE4typeEPT_S4_S4_S3_: ; @_Z16warp_scan_kernelIfLj64ELj2EENSt9enable_ifIXsr10test_utilsE35device_test_enabled_for_warp_size_vIXT1_EEEvE4typeEPT_S4_S4_S3_
; %bb.0:
	s_clause 0x1
	s_load_b32 s2, s[0:1], 0x2c
	s_load_b128 s[4:7], s[0:1], 0x0
	s_waitcnt lgkmcnt(0)
	s_and_b32 s2, s2, 0xffff
	s_delay_alu instid0(SALU_CYCLE_1) | instskip(SKIP_4) | instid1(VALU_DEP_1)
	v_mad_u64_u32 v[1:2], null, s15, s2, v[0:1]
	v_mov_b32_e32 v2, 0
	s_clause 0x1
	s_load_b64 s[2:3], s[0:1], 0x10
	s_load_b32 s1, s[0:1], 0x18
	v_lshlrev_b64 v[0:1], 2, v[1:2]
	s_delay_alu instid0(VALU_DEP_1) | instskip(NEXT) | instid1(VALU_DEP_2)
	v_add_co_u32 v2, vcc_lo, s4, v0
	v_add_co_ci_u32_e32 v3, vcc_lo, s5, v1, vcc_lo
	global_load_b32 v2, v[2:3], off
	v_mbcnt_lo_u32_b32 v3, -1, 0
	s_delay_alu instid0(VALU_DEP_1) | instskip(SKIP_1) | instid1(VALU_DEP_1)
	v_add_nc_u32_e32 v5, -1, v3
	v_and_b32_e32 v6, 30, v3
	v_cmp_lt_i32_e32 vcc_lo, v5, v6
	s_waitcnt vmcnt(0)
	v_mov_b32_dpp v4, v2 row_shr:1 row_mask:0xf bank_mask:0xf
	s_delay_alu instid0(VALU_DEP_1) | instskip(SKIP_1) | instid1(VALU_DEP_2)
	v_dual_add_f32 v4, v2, v4 :: v_dual_and_b32 v7, 1, v3
	v_cndmask_b32_e32 v3, v5, v3, vcc_lo
	v_cmp_eq_u32_e32 vcc_lo, 0, v7
	s_delay_alu instid0(VALU_DEP_2) | instskip(SKIP_1) | instid1(VALU_DEP_1)
	v_dual_cndmask_b32 v2, v4, v2 :: v_dual_lshlrev_b32 v3, 2, v3
	s_waitcnt lgkmcnt(0)
	v_add_f32_e32 v4, s1, v2
	v_add_co_u32 v2, s0, s6, v0
	ds_bpermute_b32 v5, v3, v4
	v_add_co_ci_u32_e64 v3, s0, s7, v1, s0
	s_waitcnt lgkmcnt(0)
	v_cndmask_b32_e64 v5, v5, s1, vcc_lo
	v_add_co_u32 v0, vcc_lo, s2, v0
	v_add_co_ci_u32_e32 v1, vcc_lo, s3, v1, vcc_lo
	global_store_b32 v[2:3], v4, off
	global_store_b32 v[0:1], v5, off
	s_nop 0
	s_sendmsg sendmsg(MSG_DEALLOC_VGPRS)
	s_endpgm
	.section	.rodata,"a",@progbits
	.p2align	6, 0x0
	.amdhsa_kernel _Z16warp_scan_kernelIfLj64ELj2EENSt9enable_ifIXsr10test_utilsE35device_test_enabled_for_warp_size_vIXT1_EEEvE4typeEPT_S4_S4_S3_
		.amdhsa_group_segment_fixed_size 0
		.amdhsa_private_segment_fixed_size 0
		.amdhsa_kernarg_size 288
		.amdhsa_user_sgpr_count 15
		.amdhsa_user_sgpr_dispatch_ptr 0
		.amdhsa_user_sgpr_queue_ptr 0
		.amdhsa_user_sgpr_kernarg_segment_ptr 1
		.amdhsa_user_sgpr_dispatch_id 0
		.amdhsa_user_sgpr_private_segment_size 0
		.amdhsa_wavefront_size32 1
		.amdhsa_uses_dynamic_stack 0
		.amdhsa_enable_private_segment 0
		.amdhsa_system_sgpr_workgroup_id_x 1
		.amdhsa_system_sgpr_workgroup_id_y 0
		.amdhsa_system_sgpr_workgroup_id_z 0
		.amdhsa_system_sgpr_workgroup_info 0
		.amdhsa_system_vgpr_workitem_id 0
		.amdhsa_next_free_vgpr 8
		.amdhsa_next_free_sgpr 16
		.amdhsa_reserve_vcc 1
		.amdhsa_float_round_mode_32 0
		.amdhsa_float_round_mode_16_64 0
		.amdhsa_float_denorm_mode_32 3
		.amdhsa_float_denorm_mode_16_64 3
		.amdhsa_dx10_clamp 1
		.amdhsa_ieee_mode 1
		.amdhsa_fp16_overflow 0
		.amdhsa_workgroup_processor_mode 1
		.amdhsa_memory_ordered 1
		.amdhsa_forward_progress 0
		.amdhsa_shared_vgpr_count 0
		.amdhsa_exception_fp_ieee_invalid_op 0
		.amdhsa_exception_fp_denorm_src 0
		.amdhsa_exception_fp_ieee_div_zero 0
		.amdhsa_exception_fp_ieee_overflow 0
		.amdhsa_exception_fp_ieee_underflow 0
		.amdhsa_exception_fp_ieee_inexact 0
		.amdhsa_exception_int_div_zero 0
	.end_amdhsa_kernel
	.section	.text._Z16warp_scan_kernelIfLj64ELj2EENSt9enable_ifIXsr10test_utilsE35device_test_enabled_for_warp_size_vIXT1_EEEvE4typeEPT_S4_S4_S3_,"axG",@progbits,_Z16warp_scan_kernelIfLj64ELj2EENSt9enable_ifIXsr10test_utilsE35device_test_enabled_for_warp_size_vIXT1_EEEvE4typeEPT_S4_S4_S3_,comdat
.Lfunc_end270:
	.size	_Z16warp_scan_kernelIfLj64ELj2EENSt9enable_ifIXsr10test_utilsE35device_test_enabled_for_warp_size_vIXT1_EEEvE4typeEPT_S4_S4_S3_, .Lfunc_end270-_Z16warp_scan_kernelIfLj64ELj2EENSt9enable_ifIXsr10test_utilsE35device_test_enabled_for_warp_size_vIXT1_EEEvE4typeEPT_S4_S4_S3_
                                        ; -- End function
	.section	.AMDGPU.csdata,"",@progbits
; Kernel info:
; codeLenInByte = 252
; NumSgprs: 18
; NumVgprs: 8
; ScratchSize: 0
; MemoryBound: 0
; FloatMode: 240
; IeeeMode: 1
; LDSByteSize: 0 bytes/workgroup (compile time only)
; SGPRBlocks: 2
; VGPRBlocks: 0
; NumSGPRsForWavesPerEU: 18
; NumVGPRsForWavesPerEU: 8
; Occupancy: 16
; WaveLimiterHint : 0
; COMPUTE_PGM_RSRC2:SCRATCH_EN: 0
; COMPUTE_PGM_RSRC2:USER_SGPR: 15
; COMPUTE_PGM_RSRC2:TRAP_HANDLER: 0
; COMPUTE_PGM_RSRC2:TGID_X_EN: 1
; COMPUTE_PGM_RSRC2:TGID_Y_EN: 0
; COMPUTE_PGM_RSRC2:TGID_Z_EN: 0
; COMPUTE_PGM_RSRC2:TIDIG_COMP_CNT: 0
	.section	.text._Z16warp_scan_kernelIiLj256ELj64EENSt9enable_ifIXntsr10test_utilsE35device_test_enabled_for_warp_size_vIXT1_EEEvE4typeEPT_S4_S4_S3_,"axG",@progbits,_Z16warp_scan_kernelIiLj256ELj64EENSt9enable_ifIXntsr10test_utilsE35device_test_enabled_for_warp_size_vIXT1_EEEvE4typeEPT_S4_S4_S3_,comdat
	.protected	_Z16warp_scan_kernelIiLj256ELj64EENSt9enable_ifIXntsr10test_utilsE35device_test_enabled_for_warp_size_vIXT1_EEEvE4typeEPT_S4_S4_S3_ ; -- Begin function _Z16warp_scan_kernelIiLj256ELj64EENSt9enable_ifIXntsr10test_utilsE35device_test_enabled_for_warp_size_vIXT1_EEEvE4typeEPT_S4_S4_S3_
	.globl	_Z16warp_scan_kernelIiLj256ELj64EENSt9enable_ifIXntsr10test_utilsE35device_test_enabled_for_warp_size_vIXT1_EEEvE4typeEPT_S4_S4_S3_
	.p2align	8
	.type	_Z16warp_scan_kernelIiLj256ELj64EENSt9enable_ifIXntsr10test_utilsE35device_test_enabled_for_warp_size_vIXT1_EEEvE4typeEPT_S4_S4_S3_,@function
_Z16warp_scan_kernelIiLj256ELj64EENSt9enable_ifIXntsr10test_utilsE35device_test_enabled_for_warp_size_vIXT1_EEEvE4typeEPT_S4_S4_S3_: ; @_Z16warp_scan_kernelIiLj256ELj64EENSt9enable_ifIXntsr10test_utilsE35device_test_enabled_for_warp_size_vIXT1_EEEvE4typeEPT_S4_S4_S3_
; %bb.0:
	s_endpgm
	.section	.rodata,"a",@progbits
	.p2align	6, 0x0
	.amdhsa_kernel _Z16warp_scan_kernelIiLj256ELj64EENSt9enable_ifIXntsr10test_utilsE35device_test_enabled_for_warp_size_vIXT1_EEEvE4typeEPT_S4_S4_S3_
		.amdhsa_group_segment_fixed_size 0
		.amdhsa_private_segment_fixed_size 0
		.amdhsa_kernarg_size 28
		.amdhsa_user_sgpr_count 15
		.amdhsa_user_sgpr_dispatch_ptr 0
		.amdhsa_user_sgpr_queue_ptr 0
		.amdhsa_user_sgpr_kernarg_segment_ptr 1
		.amdhsa_user_sgpr_dispatch_id 0
		.amdhsa_user_sgpr_private_segment_size 0
		.amdhsa_wavefront_size32 1
		.amdhsa_uses_dynamic_stack 0
		.amdhsa_enable_private_segment 0
		.amdhsa_system_sgpr_workgroup_id_x 1
		.amdhsa_system_sgpr_workgroup_id_y 0
		.amdhsa_system_sgpr_workgroup_id_z 0
		.amdhsa_system_sgpr_workgroup_info 0
		.amdhsa_system_vgpr_workitem_id 0
		.amdhsa_next_free_vgpr 1
		.amdhsa_next_free_sgpr 1
		.amdhsa_reserve_vcc 0
		.amdhsa_float_round_mode_32 0
		.amdhsa_float_round_mode_16_64 0
		.amdhsa_float_denorm_mode_32 3
		.amdhsa_float_denorm_mode_16_64 3
		.amdhsa_dx10_clamp 1
		.amdhsa_ieee_mode 1
		.amdhsa_fp16_overflow 0
		.amdhsa_workgroup_processor_mode 1
		.amdhsa_memory_ordered 1
		.amdhsa_forward_progress 0
		.amdhsa_shared_vgpr_count 0
		.amdhsa_exception_fp_ieee_invalid_op 0
		.amdhsa_exception_fp_denorm_src 0
		.amdhsa_exception_fp_ieee_div_zero 0
		.amdhsa_exception_fp_ieee_overflow 0
		.amdhsa_exception_fp_ieee_underflow 0
		.amdhsa_exception_fp_ieee_inexact 0
		.amdhsa_exception_int_div_zero 0
	.end_amdhsa_kernel
	.section	.text._Z16warp_scan_kernelIiLj256ELj64EENSt9enable_ifIXntsr10test_utilsE35device_test_enabled_for_warp_size_vIXT1_EEEvE4typeEPT_S4_S4_S3_,"axG",@progbits,_Z16warp_scan_kernelIiLj256ELj64EENSt9enable_ifIXntsr10test_utilsE35device_test_enabled_for_warp_size_vIXT1_EEEvE4typeEPT_S4_S4_S3_,comdat
.Lfunc_end271:
	.size	_Z16warp_scan_kernelIiLj256ELj64EENSt9enable_ifIXntsr10test_utilsE35device_test_enabled_for_warp_size_vIXT1_EEEvE4typeEPT_S4_S4_S3_, .Lfunc_end271-_Z16warp_scan_kernelIiLj256ELj64EENSt9enable_ifIXntsr10test_utilsE35device_test_enabled_for_warp_size_vIXT1_EEEvE4typeEPT_S4_S4_S3_
                                        ; -- End function
	.section	.AMDGPU.csdata,"",@progbits
; Kernel info:
; codeLenInByte = 4
; NumSgprs: 0
; NumVgprs: 0
; ScratchSize: 0
; MemoryBound: 0
; FloatMode: 240
; IeeeMode: 1
; LDSByteSize: 0 bytes/workgroup (compile time only)
; SGPRBlocks: 0
; VGPRBlocks: 0
; NumSGPRsForWavesPerEU: 1
; NumVGPRsForWavesPerEU: 1
; Occupancy: 16
; WaveLimiterHint : 0
; COMPUTE_PGM_RSRC2:SCRATCH_EN: 0
; COMPUTE_PGM_RSRC2:USER_SGPR: 15
; COMPUTE_PGM_RSRC2:TRAP_HANDLER: 0
; COMPUTE_PGM_RSRC2:TGID_X_EN: 1
; COMPUTE_PGM_RSRC2:TGID_Y_EN: 0
; COMPUTE_PGM_RSRC2:TGID_Z_EN: 0
; COMPUTE_PGM_RSRC2:TIDIG_COMP_CNT: 0
	.section	.text._Z16warp_scan_kernelIiLj128ELj32EENSt9enable_ifIXsr10test_utilsE35device_test_enabled_for_warp_size_vIXT1_EEEvE4typeEPT_S4_S4_S3_,"axG",@progbits,_Z16warp_scan_kernelIiLj128ELj32EENSt9enable_ifIXsr10test_utilsE35device_test_enabled_for_warp_size_vIXT1_EEEvE4typeEPT_S4_S4_S3_,comdat
	.protected	_Z16warp_scan_kernelIiLj128ELj32EENSt9enable_ifIXsr10test_utilsE35device_test_enabled_for_warp_size_vIXT1_EEEvE4typeEPT_S4_S4_S3_ ; -- Begin function _Z16warp_scan_kernelIiLj128ELj32EENSt9enable_ifIXsr10test_utilsE35device_test_enabled_for_warp_size_vIXT1_EEEvE4typeEPT_S4_S4_S3_
	.globl	_Z16warp_scan_kernelIiLj128ELj32EENSt9enable_ifIXsr10test_utilsE35device_test_enabled_for_warp_size_vIXT1_EEEvE4typeEPT_S4_S4_S3_
	.p2align	8
	.type	_Z16warp_scan_kernelIiLj128ELj32EENSt9enable_ifIXsr10test_utilsE35device_test_enabled_for_warp_size_vIXT1_EEEvE4typeEPT_S4_S4_S3_,@function
_Z16warp_scan_kernelIiLj128ELj32EENSt9enable_ifIXsr10test_utilsE35device_test_enabled_for_warp_size_vIXT1_EEEvE4typeEPT_S4_S4_S3_: ; @_Z16warp_scan_kernelIiLj128ELj32EENSt9enable_ifIXsr10test_utilsE35device_test_enabled_for_warp_size_vIXT1_EEEvE4typeEPT_S4_S4_S3_
; %bb.0:
	s_clause 0x1
	s_load_b32 s2, s[0:1], 0x2c
	s_load_b128 s[4:7], s[0:1], 0x0
	v_mbcnt_lo_u32_b32 v4, -1, 0
	s_delay_alu instid0(VALU_DEP_1) | instskip(SKIP_2) | instid1(SALU_CYCLE_1)
	v_bfe_i32 v6, v4, 4, 1
	s_waitcnt lgkmcnt(0)
	s_and_b32 s2, s2, 0xffff
	v_mad_u64_u32 v[1:2], null, s15, s2, v[0:1]
	v_mov_b32_e32 v2, 0
	s_clause 0x1
	s_load_b64 s[2:3], s[0:1], 0x10
	s_load_b32 s0, s[0:1], 0x18
	s_delay_alu instid0(VALU_DEP_1) | instskip(NEXT) | instid1(VALU_DEP_1)
	v_lshlrev_b64 v[0:1], 2, v[1:2]
	v_add_co_u32 v2, vcc_lo, s4, v0
	s_delay_alu instid0(VALU_DEP_2) | instskip(SKIP_2) | instid1(VALU_DEP_1)
	v_add_co_ci_u32_e32 v3, vcc_lo, s5, v1, vcc_lo
	global_load_b32 v2, v[2:3], off
	v_and_b32_e32 v3, 15, v4
	v_cmp_ne_u32_e32 vcc_lo, 0, v3
	s_waitcnt vmcnt(0)
	v_mov_b32_dpp v5, v2 row_shr:1 row_mask:0xf bank_mask:0xf
	s_delay_alu instid0(VALU_DEP_1) | instskip(SKIP_1) | instid1(VALU_DEP_2)
	v_cndmask_b32_e32 v5, 0, v5, vcc_lo
	v_cmp_lt_u32_e32 vcc_lo, 1, v3
	v_add_nc_u32_e32 v2, v5, v2
	s_delay_alu instid0(VALU_DEP_1) | instskip(NEXT) | instid1(VALU_DEP_1)
	v_mov_b32_dpp v5, v2 row_shr:2 row_mask:0xf bank_mask:0xf
	v_cndmask_b32_e32 v5, 0, v5, vcc_lo
	v_cmp_lt_u32_e32 vcc_lo, 3, v3
	s_delay_alu instid0(VALU_DEP_2) | instskip(NEXT) | instid1(VALU_DEP_1)
	v_add_nc_u32_e32 v2, v2, v5
	v_mov_b32_dpp v5, v2 row_shr:4 row_mask:0xf bank_mask:0xf
	s_delay_alu instid0(VALU_DEP_1) | instskip(SKIP_1) | instid1(VALU_DEP_2)
	v_cndmask_b32_e32 v5, 0, v5, vcc_lo
	v_cmp_lt_u32_e32 vcc_lo, 7, v3
	v_add_nc_u32_e32 v2, v2, v5
	s_delay_alu instid0(VALU_DEP_1) | instskip(NEXT) | instid1(VALU_DEP_1)
	v_mov_b32_dpp v5, v2 row_shr:8 row_mask:0xf bank_mask:0xf
	v_cndmask_b32_e32 v3, 0, v5, vcc_lo
	v_add_nc_u32_e32 v5, -1, v4
	s_delay_alu instid0(VALU_DEP_2) | instskip(NEXT) | instid1(VALU_DEP_2)
	v_add_nc_u32_e32 v2, v2, v3
	v_cmp_gt_i32_e32 vcc_lo, 0, v5
	ds_swizzle_b32 v3, v2 offset:swizzle(BROADCAST,32,15)
	v_cndmask_b32_e32 v5, v5, v4, vcc_lo
	s_delay_alu instid0(VALU_DEP_1) | instskip(SKIP_2) | instid1(VALU_DEP_1)
	v_lshlrev_b32_e32 v5, 2, v5
	s_waitcnt lgkmcnt(0)
	v_and_b32_e32 v3, v6, v3
	v_add3_u32 v6, v3, s0, v2
	v_add_co_u32 v2, vcc_lo, s6, v0
	v_add_co_ci_u32_e32 v3, vcc_lo, s7, v1, vcc_lo
	ds_bpermute_b32 v5, v5, v6
	v_cmp_eq_u32_e32 vcc_lo, 0, v4
	s_waitcnt lgkmcnt(0)
	v_cndmask_b32_e64 v4, v5, s0, vcc_lo
	v_add_co_u32 v0, vcc_lo, s2, v0
	v_add_co_ci_u32_e32 v1, vcc_lo, s3, v1, vcc_lo
	global_store_b32 v[2:3], v6, off
	global_store_b32 v[0:1], v4, off
	s_nop 0
	s_sendmsg sendmsg(MSG_DEALLOC_VGPRS)
	s_endpgm
	.section	.rodata,"a",@progbits
	.p2align	6, 0x0
	.amdhsa_kernel _Z16warp_scan_kernelIiLj128ELj32EENSt9enable_ifIXsr10test_utilsE35device_test_enabled_for_warp_size_vIXT1_EEEvE4typeEPT_S4_S4_S3_
		.amdhsa_group_segment_fixed_size 0
		.amdhsa_private_segment_fixed_size 0
		.amdhsa_kernarg_size 288
		.amdhsa_user_sgpr_count 15
		.amdhsa_user_sgpr_dispatch_ptr 0
		.amdhsa_user_sgpr_queue_ptr 0
		.amdhsa_user_sgpr_kernarg_segment_ptr 1
		.amdhsa_user_sgpr_dispatch_id 0
		.amdhsa_user_sgpr_private_segment_size 0
		.amdhsa_wavefront_size32 1
		.amdhsa_uses_dynamic_stack 0
		.amdhsa_enable_private_segment 0
		.amdhsa_system_sgpr_workgroup_id_x 1
		.amdhsa_system_sgpr_workgroup_id_y 0
		.amdhsa_system_sgpr_workgroup_id_z 0
		.amdhsa_system_sgpr_workgroup_info 0
		.amdhsa_system_vgpr_workitem_id 0
		.amdhsa_next_free_vgpr 7
		.amdhsa_next_free_sgpr 16
		.amdhsa_reserve_vcc 1
		.amdhsa_float_round_mode_32 0
		.amdhsa_float_round_mode_16_64 0
		.amdhsa_float_denorm_mode_32 3
		.amdhsa_float_denorm_mode_16_64 3
		.amdhsa_dx10_clamp 1
		.amdhsa_ieee_mode 1
		.amdhsa_fp16_overflow 0
		.amdhsa_workgroup_processor_mode 1
		.amdhsa_memory_ordered 1
		.amdhsa_forward_progress 0
		.amdhsa_shared_vgpr_count 0
		.amdhsa_exception_fp_ieee_invalid_op 0
		.amdhsa_exception_fp_denorm_src 0
		.amdhsa_exception_fp_ieee_div_zero 0
		.amdhsa_exception_fp_ieee_overflow 0
		.amdhsa_exception_fp_ieee_underflow 0
		.amdhsa_exception_fp_ieee_inexact 0
		.amdhsa_exception_int_div_zero 0
	.end_amdhsa_kernel
	.section	.text._Z16warp_scan_kernelIiLj128ELj32EENSt9enable_ifIXsr10test_utilsE35device_test_enabled_for_warp_size_vIXT1_EEEvE4typeEPT_S4_S4_S3_,"axG",@progbits,_Z16warp_scan_kernelIiLj128ELj32EENSt9enable_ifIXsr10test_utilsE35device_test_enabled_for_warp_size_vIXT1_EEEvE4typeEPT_S4_S4_S3_,comdat
.Lfunc_end272:
	.size	_Z16warp_scan_kernelIiLj128ELj32EENSt9enable_ifIXsr10test_utilsE35device_test_enabled_for_warp_size_vIXT1_EEEvE4typeEPT_S4_S4_S3_, .Lfunc_end272-_Z16warp_scan_kernelIiLj128ELj32EENSt9enable_ifIXsr10test_utilsE35device_test_enabled_for_warp_size_vIXT1_EEEvE4typeEPT_S4_S4_S3_
                                        ; -- End function
	.section	.AMDGPU.csdata,"",@progbits
; Kernel info:
; codeLenInByte = 352
; NumSgprs: 18
; NumVgprs: 7
; ScratchSize: 0
; MemoryBound: 0
; FloatMode: 240
; IeeeMode: 1
; LDSByteSize: 0 bytes/workgroup (compile time only)
; SGPRBlocks: 2
; VGPRBlocks: 0
; NumSGPRsForWavesPerEU: 18
; NumVGPRsForWavesPerEU: 7
; Occupancy: 16
; WaveLimiterHint : 0
; COMPUTE_PGM_RSRC2:SCRATCH_EN: 0
; COMPUTE_PGM_RSRC2:USER_SGPR: 15
; COMPUTE_PGM_RSRC2:TRAP_HANDLER: 0
; COMPUTE_PGM_RSRC2:TGID_X_EN: 1
; COMPUTE_PGM_RSRC2:TGID_Y_EN: 0
; COMPUTE_PGM_RSRC2:TGID_Z_EN: 0
; COMPUTE_PGM_RSRC2:TIDIG_COMP_CNT: 0
	.section	.text._Z16warp_scan_kernelIiLj64ELj16EENSt9enable_ifIXsr10test_utilsE35device_test_enabled_for_warp_size_vIXT1_EEEvE4typeEPT_S4_S4_S3_,"axG",@progbits,_Z16warp_scan_kernelIiLj64ELj16EENSt9enable_ifIXsr10test_utilsE35device_test_enabled_for_warp_size_vIXT1_EEEvE4typeEPT_S4_S4_S3_,comdat
	.protected	_Z16warp_scan_kernelIiLj64ELj16EENSt9enable_ifIXsr10test_utilsE35device_test_enabled_for_warp_size_vIXT1_EEEvE4typeEPT_S4_S4_S3_ ; -- Begin function _Z16warp_scan_kernelIiLj64ELj16EENSt9enable_ifIXsr10test_utilsE35device_test_enabled_for_warp_size_vIXT1_EEEvE4typeEPT_S4_S4_S3_
	.globl	_Z16warp_scan_kernelIiLj64ELj16EENSt9enable_ifIXsr10test_utilsE35device_test_enabled_for_warp_size_vIXT1_EEEvE4typeEPT_S4_S4_S3_
	.p2align	8
	.type	_Z16warp_scan_kernelIiLj64ELj16EENSt9enable_ifIXsr10test_utilsE35device_test_enabled_for_warp_size_vIXT1_EEEvE4typeEPT_S4_S4_S3_,@function
_Z16warp_scan_kernelIiLj64ELj16EENSt9enable_ifIXsr10test_utilsE35device_test_enabled_for_warp_size_vIXT1_EEEvE4typeEPT_S4_S4_S3_: ; @_Z16warp_scan_kernelIiLj64ELj16EENSt9enable_ifIXsr10test_utilsE35device_test_enabled_for_warp_size_vIXT1_EEEvE4typeEPT_S4_S4_S3_
; %bb.0:
	s_clause 0x3
	s_load_b32 s2, s[0:1], 0x2c
	s_load_b128 s[4:7], s[0:1], 0x0
	s_load_b64 s[8:9], s[0:1], 0x10
	s_load_b32 s1, s[0:1], 0x18
	s_waitcnt lgkmcnt(0)
	s_and_b32 s2, s2, 0xffff
	s_delay_alu instid0(SALU_CYCLE_1) | instskip(SKIP_1) | instid1(VALU_DEP_1)
	v_mad_u64_u32 v[1:2], null, s15, s2, v[0:1]
	v_mov_b32_e32 v2, 0
	v_lshlrev_b64 v[0:1], 2, v[1:2]
	s_delay_alu instid0(VALU_DEP_1) | instskip(NEXT) | instid1(VALU_DEP_2)
	v_add_co_u32 v2, vcc_lo, s4, v0
	v_add_co_ci_u32_e32 v3, vcc_lo, s5, v1, vcc_lo
	global_load_b32 v2, v[2:3], off
	v_mbcnt_lo_u32_b32 v3, -1, 0
	s_delay_alu instid0(VALU_DEP_1) | instskip(SKIP_1) | instid1(VALU_DEP_2)
	v_and_b32_e32 v4, 15, v3
	v_and_b32_e32 v6, 16, v3
	v_cmp_eq_u32_e32 vcc_lo, 0, v4
	v_cmp_lt_u32_e64 s2, 1, v4
	v_cmp_lt_u32_e64 s0, 3, v4
	s_waitcnt vmcnt(0)
	v_mov_b32_dpp v5, v2 row_shr:1 row_mask:0xf bank_mask:0xf
	s_delay_alu instid0(VALU_DEP_1) | instskip(NEXT) | instid1(VALU_DEP_1)
	v_cndmask_b32_e64 v5, v5, 0, vcc_lo
	v_add_nc_u32_e32 v2, v5, v2
	s_delay_alu instid0(VALU_DEP_1) | instskip(NEXT) | instid1(VALU_DEP_1)
	v_mov_b32_dpp v5, v2 row_shr:2 row_mask:0xf bank_mask:0xf
	v_cndmask_b32_e64 v5, 0, v5, s2
	s_delay_alu instid0(VALU_DEP_1) | instskip(NEXT) | instid1(VALU_DEP_1)
	v_add_nc_u32_e32 v2, v2, v5
	v_mov_b32_dpp v5, v2 row_shr:4 row_mask:0xf bank_mask:0xf
	s_delay_alu instid0(VALU_DEP_1) | instskip(NEXT) | instid1(VALU_DEP_1)
	v_cndmask_b32_e64 v5, 0, v5, s0
	v_add_nc_u32_e32 v2, v2, v5
	v_add_nc_u32_e32 v5, -1, v3
	s_delay_alu instid0(VALU_DEP_2) | instskip(NEXT) | instid1(VALU_DEP_2)
	v_mov_b32_dpp v7, v2 row_shr:8 row_mask:0xf bank_mask:0xf
	v_cmp_lt_i32_e64 s0, v5, v6
	s_delay_alu instid0(VALU_DEP_1) | instskip(SKIP_1) | instid1(VALU_DEP_2)
	v_cndmask_b32_e64 v3, v5, v3, s0
	v_cmp_lt_u32_e64 s0, 7, v4
	v_lshlrev_b32_e32 v3, 2, v3
	s_delay_alu instid0(VALU_DEP_2) | instskip(NEXT) | instid1(VALU_DEP_1)
	v_cndmask_b32_e64 v4, 0, v7, s0
	v_add3_u32 v4, v4, s1, v2
	v_add_co_u32 v2, s0, s6, v0
	ds_bpermute_b32 v5, v3, v4
	v_add_co_ci_u32_e64 v3, s0, s7, v1, s0
	s_waitcnt lgkmcnt(0)
	v_cndmask_b32_e64 v5, v5, s1, vcc_lo
	v_add_co_u32 v0, vcc_lo, s8, v0
	v_add_co_ci_u32_e32 v1, vcc_lo, s9, v1, vcc_lo
	global_store_b32 v[2:3], v4, off
	global_store_b32 v[0:1], v5, off
	s_nop 0
	s_sendmsg sendmsg(MSG_DEALLOC_VGPRS)
	s_endpgm
	.section	.rodata,"a",@progbits
	.p2align	6, 0x0
	.amdhsa_kernel _Z16warp_scan_kernelIiLj64ELj16EENSt9enable_ifIXsr10test_utilsE35device_test_enabled_for_warp_size_vIXT1_EEEvE4typeEPT_S4_S4_S3_
		.amdhsa_group_segment_fixed_size 0
		.amdhsa_private_segment_fixed_size 0
		.amdhsa_kernarg_size 288
		.amdhsa_user_sgpr_count 15
		.amdhsa_user_sgpr_dispatch_ptr 0
		.amdhsa_user_sgpr_queue_ptr 0
		.amdhsa_user_sgpr_kernarg_segment_ptr 1
		.amdhsa_user_sgpr_dispatch_id 0
		.amdhsa_user_sgpr_private_segment_size 0
		.amdhsa_wavefront_size32 1
		.amdhsa_uses_dynamic_stack 0
		.amdhsa_enable_private_segment 0
		.amdhsa_system_sgpr_workgroup_id_x 1
		.amdhsa_system_sgpr_workgroup_id_y 0
		.amdhsa_system_sgpr_workgroup_id_z 0
		.amdhsa_system_sgpr_workgroup_info 0
		.amdhsa_system_vgpr_workitem_id 0
		.amdhsa_next_free_vgpr 8
		.amdhsa_next_free_sgpr 16
		.amdhsa_reserve_vcc 1
		.amdhsa_float_round_mode_32 0
		.amdhsa_float_round_mode_16_64 0
		.amdhsa_float_denorm_mode_32 3
		.amdhsa_float_denorm_mode_16_64 3
		.amdhsa_dx10_clamp 1
		.amdhsa_ieee_mode 1
		.amdhsa_fp16_overflow 0
		.amdhsa_workgroup_processor_mode 1
		.amdhsa_memory_ordered 1
		.amdhsa_forward_progress 0
		.amdhsa_shared_vgpr_count 0
		.amdhsa_exception_fp_ieee_invalid_op 0
		.amdhsa_exception_fp_denorm_src 0
		.amdhsa_exception_fp_ieee_div_zero 0
		.amdhsa_exception_fp_ieee_overflow 0
		.amdhsa_exception_fp_ieee_underflow 0
		.amdhsa_exception_fp_ieee_inexact 0
		.amdhsa_exception_int_div_zero 0
	.end_amdhsa_kernel
	.section	.text._Z16warp_scan_kernelIiLj64ELj16EENSt9enable_ifIXsr10test_utilsE35device_test_enabled_for_warp_size_vIXT1_EEEvE4typeEPT_S4_S4_S3_,"axG",@progbits,_Z16warp_scan_kernelIiLj64ELj16EENSt9enable_ifIXsr10test_utilsE35device_test_enabled_for_warp_size_vIXT1_EEEvE4typeEPT_S4_S4_S3_,comdat
.Lfunc_end273:
	.size	_Z16warp_scan_kernelIiLj64ELj16EENSt9enable_ifIXsr10test_utilsE35device_test_enabled_for_warp_size_vIXT1_EEEvE4typeEPT_S4_S4_S3_, .Lfunc_end273-_Z16warp_scan_kernelIiLj64ELj16EENSt9enable_ifIXsr10test_utilsE35device_test_enabled_for_warp_size_vIXT1_EEEvE4typeEPT_S4_S4_S3_
                                        ; -- End function
	.section	.AMDGPU.csdata,"",@progbits
; Kernel info:
; codeLenInByte = 360
; NumSgprs: 18
; NumVgprs: 8
; ScratchSize: 0
; MemoryBound: 0
; FloatMode: 240
; IeeeMode: 1
; LDSByteSize: 0 bytes/workgroup (compile time only)
; SGPRBlocks: 2
; VGPRBlocks: 0
; NumSGPRsForWavesPerEU: 18
; NumVGPRsForWavesPerEU: 8
; Occupancy: 16
; WaveLimiterHint : 0
; COMPUTE_PGM_RSRC2:SCRATCH_EN: 0
; COMPUTE_PGM_RSRC2:USER_SGPR: 15
; COMPUTE_PGM_RSRC2:TRAP_HANDLER: 0
; COMPUTE_PGM_RSRC2:TGID_X_EN: 1
; COMPUTE_PGM_RSRC2:TGID_Y_EN: 0
; COMPUTE_PGM_RSRC2:TGID_Z_EN: 0
; COMPUTE_PGM_RSRC2:TIDIG_COMP_CNT: 0
	.section	.text._Z16warp_scan_kernelIiLj32ELj8EENSt9enable_ifIXsr10test_utilsE35device_test_enabled_for_warp_size_vIXT1_EEEvE4typeEPT_S4_S4_S3_,"axG",@progbits,_Z16warp_scan_kernelIiLj32ELj8EENSt9enable_ifIXsr10test_utilsE35device_test_enabled_for_warp_size_vIXT1_EEEvE4typeEPT_S4_S4_S3_,comdat
	.protected	_Z16warp_scan_kernelIiLj32ELj8EENSt9enable_ifIXsr10test_utilsE35device_test_enabled_for_warp_size_vIXT1_EEEvE4typeEPT_S4_S4_S3_ ; -- Begin function _Z16warp_scan_kernelIiLj32ELj8EENSt9enable_ifIXsr10test_utilsE35device_test_enabled_for_warp_size_vIXT1_EEEvE4typeEPT_S4_S4_S3_
	.globl	_Z16warp_scan_kernelIiLj32ELj8EENSt9enable_ifIXsr10test_utilsE35device_test_enabled_for_warp_size_vIXT1_EEEvE4typeEPT_S4_S4_S3_
	.p2align	8
	.type	_Z16warp_scan_kernelIiLj32ELj8EENSt9enable_ifIXsr10test_utilsE35device_test_enabled_for_warp_size_vIXT1_EEEvE4typeEPT_S4_S4_S3_,@function
_Z16warp_scan_kernelIiLj32ELj8EENSt9enable_ifIXsr10test_utilsE35device_test_enabled_for_warp_size_vIXT1_EEEvE4typeEPT_S4_S4_S3_: ; @_Z16warp_scan_kernelIiLj32ELj8EENSt9enable_ifIXsr10test_utilsE35device_test_enabled_for_warp_size_vIXT1_EEEvE4typeEPT_S4_S4_S3_
; %bb.0:
	s_clause 0x1
	s_load_b32 s2, s[0:1], 0x2c
	s_load_b128 s[4:7], s[0:1], 0x0
	s_waitcnt lgkmcnt(0)
	s_and_b32 s2, s2, 0xffff
	s_delay_alu instid0(SALU_CYCLE_1) | instskip(SKIP_4) | instid1(VALU_DEP_1)
	v_mad_u64_u32 v[1:2], null, s15, s2, v[0:1]
	v_mov_b32_e32 v2, 0
	s_clause 0x1
	s_load_b64 s[2:3], s[0:1], 0x10
	s_load_b32 s1, s[0:1], 0x18
	v_lshlrev_b64 v[0:1], 2, v[1:2]
	s_delay_alu instid0(VALU_DEP_1) | instskip(NEXT) | instid1(VALU_DEP_2)
	v_add_co_u32 v2, vcc_lo, s4, v0
	v_add_co_ci_u32_e32 v3, vcc_lo, s5, v1, vcc_lo
	global_load_b32 v2, v[2:3], off
	v_mbcnt_lo_u32_b32 v3, -1, 0
	s_delay_alu instid0(VALU_DEP_1) | instskip(SKIP_1) | instid1(VALU_DEP_2)
	v_and_b32_e32 v4, 7, v3
	v_and_b32_e32 v6, 24, v3
	v_cmp_eq_u32_e32 vcc_lo, 0, v4
	v_cmp_lt_u32_e64 s0, 1, v4
	s_waitcnt vmcnt(0)
	v_mov_b32_dpp v5, v2 row_shr:1 row_mask:0xf bank_mask:0xf
	s_delay_alu instid0(VALU_DEP_1) | instskip(NEXT) | instid1(VALU_DEP_1)
	v_cndmask_b32_e64 v5, v5, 0, vcc_lo
	v_add_nc_u32_e32 v2, v5, v2
	s_delay_alu instid0(VALU_DEP_1) | instskip(NEXT) | instid1(VALU_DEP_1)
	v_mov_b32_dpp v5, v2 row_shr:2 row_mask:0xf bank_mask:0xf
	v_cndmask_b32_e64 v5, 0, v5, s0
	s_delay_alu instid0(VALU_DEP_1) | instskip(SKIP_1) | instid1(VALU_DEP_2)
	v_add_nc_u32_e32 v2, v2, v5
	v_add_nc_u32_e32 v5, -1, v3
	v_mov_b32_dpp v7, v2 row_shr:4 row_mask:0xf bank_mask:0xf
	s_delay_alu instid0(VALU_DEP_2) | instskip(NEXT) | instid1(VALU_DEP_1)
	v_cmp_lt_i32_e64 s0, v5, v6
	v_cndmask_b32_e64 v3, v5, v3, s0
	v_cmp_lt_u32_e64 s0, 3, v4
	s_delay_alu instid0(VALU_DEP_2) | instskip(NEXT) | instid1(VALU_DEP_2)
	v_lshlrev_b32_e32 v3, 2, v3
	v_cndmask_b32_e64 v4, 0, v7, s0
	s_waitcnt lgkmcnt(0)
	s_delay_alu instid0(VALU_DEP_1)
	v_add3_u32 v4, v4, s1, v2
	v_add_co_u32 v2, s0, s6, v0
	ds_bpermute_b32 v5, v3, v4
	v_add_co_ci_u32_e64 v3, s0, s7, v1, s0
	s_waitcnt lgkmcnt(0)
	v_cndmask_b32_e64 v5, v5, s1, vcc_lo
	v_add_co_u32 v0, vcc_lo, s2, v0
	v_add_co_ci_u32_e32 v1, vcc_lo, s3, v1, vcc_lo
	global_store_b32 v[2:3], v4, off
	global_store_b32 v[0:1], v5, off
	s_nop 0
	s_sendmsg sendmsg(MSG_DEALLOC_VGPRS)
	s_endpgm
	.section	.rodata,"a",@progbits
	.p2align	6, 0x0
	.amdhsa_kernel _Z16warp_scan_kernelIiLj32ELj8EENSt9enable_ifIXsr10test_utilsE35device_test_enabled_for_warp_size_vIXT1_EEEvE4typeEPT_S4_S4_S3_
		.amdhsa_group_segment_fixed_size 0
		.amdhsa_private_segment_fixed_size 0
		.amdhsa_kernarg_size 288
		.amdhsa_user_sgpr_count 15
		.amdhsa_user_sgpr_dispatch_ptr 0
		.amdhsa_user_sgpr_queue_ptr 0
		.amdhsa_user_sgpr_kernarg_segment_ptr 1
		.amdhsa_user_sgpr_dispatch_id 0
		.amdhsa_user_sgpr_private_segment_size 0
		.amdhsa_wavefront_size32 1
		.amdhsa_uses_dynamic_stack 0
		.amdhsa_enable_private_segment 0
		.amdhsa_system_sgpr_workgroup_id_x 1
		.amdhsa_system_sgpr_workgroup_id_y 0
		.amdhsa_system_sgpr_workgroup_id_z 0
		.amdhsa_system_sgpr_workgroup_info 0
		.amdhsa_system_vgpr_workitem_id 0
		.amdhsa_next_free_vgpr 8
		.amdhsa_next_free_sgpr 16
		.amdhsa_reserve_vcc 1
		.amdhsa_float_round_mode_32 0
		.amdhsa_float_round_mode_16_64 0
		.amdhsa_float_denorm_mode_32 3
		.amdhsa_float_denorm_mode_16_64 3
		.amdhsa_dx10_clamp 1
		.amdhsa_ieee_mode 1
		.amdhsa_fp16_overflow 0
		.amdhsa_workgroup_processor_mode 1
		.amdhsa_memory_ordered 1
		.amdhsa_forward_progress 0
		.amdhsa_shared_vgpr_count 0
		.amdhsa_exception_fp_ieee_invalid_op 0
		.amdhsa_exception_fp_denorm_src 0
		.amdhsa_exception_fp_ieee_div_zero 0
		.amdhsa_exception_fp_ieee_overflow 0
		.amdhsa_exception_fp_ieee_underflow 0
		.amdhsa_exception_fp_ieee_inexact 0
		.amdhsa_exception_int_div_zero 0
	.end_amdhsa_kernel
	.section	.text._Z16warp_scan_kernelIiLj32ELj8EENSt9enable_ifIXsr10test_utilsE35device_test_enabled_for_warp_size_vIXT1_EEEvE4typeEPT_S4_S4_S3_,"axG",@progbits,_Z16warp_scan_kernelIiLj32ELj8EENSt9enable_ifIXsr10test_utilsE35device_test_enabled_for_warp_size_vIXT1_EEEvE4typeEPT_S4_S4_S3_,comdat
.Lfunc_end274:
	.size	_Z16warp_scan_kernelIiLj32ELj8EENSt9enable_ifIXsr10test_utilsE35device_test_enabled_for_warp_size_vIXT1_EEEvE4typeEPT_S4_S4_S3_, .Lfunc_end274-_Z16warp_scan_kernelIiLj32ELj8EENSt9enable_ifIXsr10test_utilsE35device_test_enabled_for_warp_size_vIXT1_EEEvE4typeEPT_S4_S4_S3_
                                        ; -- End function
	.section	.AMDGPU.csdata,"",@progbits
; Kernel info:
; codeLenInByte = 336
; NumSgprs: 18
; NumVgprs: 8
; ScratchSize: 0
; MemoryBound: 0
; FloatMode: 240
; IeeeMode: 1
; LDSByteSize: 0 bytes/workgroup (compile time only)
; SGPRBlocks: 2
; VGPRBlocks: 0
; NumSGPRsForWavesPerEU: 18
; NumVGPRsForWavesPerEU: 8
; Occupancy: 16
; WaveLimiterHint : 0
; COMPUTE_PGM_RSRC2:SCRATCH_EN: 0
; COMPUTE_PGM_RSRC2:USER_SGPR: 15
; COMPUTE_PGM_RSRC2:TRAP_HANDLER: 0
; COMPUTE_PGM_RSRC2:TGID_X_EN: 1
; COMPUTE_PGM_RSRC2:TGID_Y_EN: 0
; COMPUTE_PGM_RSRC2:TGID_Z_EN: 0
; COMPUTE_PGM_RSRC2:TIDIG_COMP_CNT: 0
	.section	.text._Z16warp_scan_kernelIiLj64ELj8EENSt9enable_ifIXsr10test_utilsE35device_test_enabled_for_warp_size_vIXT1_EEEvE4typeEPT_S4_S4_S3_,"axG",@progbits,_Z16warp_scan_kernelIiLj64ELj8EENSt9enable_ifIXsr10test_utilsE35device_test_enabled_for_warp_size_vIXT1_EEEvE4typeEPT_S4_S4_S3_,comdat
	.protected	_Z16warp_scan_kernelIiLj64ELj8EENSt9enable_ifIXsr10test_utilsE35device_test_enabled_for_warp_size_vIXT1_EEEvE4typeEPT_S4_S4_S3_ ; -- Begin function _Z16warp_scan_kernelIiLj64ELj8EENSt9enable_ifIXsr10test_utilsE35device_test_enabled_for_warp_size_vIXT1_EEEvE4typeEPT_S4_S4_S3_
	.globl	_Z16warp_scan_kernelIiLj64ELj8EENSt9enable_ifIXsr10test_utilsE35device_test_enabled_for_warp_size_vIXT1_EEEvE4typeEPT_S4_S4_S3_
	.p2align	8
	.type	_Z16warp_scan_kernelIiLj64ELj8EENSt9enable_ifIXsr10test_utilsE35device_test_enabled_for_warp_size_vIXT1_EEEvE4typeEPT_S4_S4_S3_,@function
_Z16warp_scan_kernelIiLj64ELj8EENSt9enable_ifIXsr10test_utilsE35device_test_enabled_for_warp_size_vIXT1_EEEvE4typeEPT_S4_S4_S3_: ; @_Z16warp_scan_kernelIiLj64ELj8EENSt9enable_ifIXsr10test_utilsE35device_test_enabled_for_warp_size_vIXT1_EEEvE4typeEPT_S4_S4_S3_
; %bb.0:
	s_clause 0x1
	s_load_b32 s2, s[0:1], 0x2c
	s_load_b128 s[4:7], s[0:1], 0x0
	s_waitcnt lgkmcnt(0)
	s_and_b32 s2, s2, 0xffff
	s_delay_alu instid0(SALU_CYCLE_1) | instskip(SKIP_4) | instid1(VALU_DEP_1)
	v_mad_u64_u32 v[1:2], null, s15, s2, v[0:1]
	v_mov_b32_e32 v2, 0
	s_clause 0x1
	s_load_b64 s[2:3], s[0:1], 0x10
	s_load_b32 s1, s[0:1], 0x18
	v_lshlrev_b64 v[0:1], 2, v[1:2]
	s_delay_alu instid0(VALU_DEP_1) | instskip(NEXT) | instid1(VALU_DEP_2)
	v_add_co_u32 v2, vcc_lo, s4, v0
	v_add_co_ci_u32_e32 v3, vcc_lo, s5, v1, vcc_lo
	global_load_b32 v2, v[2:3], off
	v_mbcnt_lo_u32_b32 v3, -1, 0
	s_delay_alu instid0(VALU_DEP_1) | instskip(SKIP_1) | instid1(VALU_DEP_2)
	v_and_b32_e32 v4, 7, v3
	v_and_b32_e32 v6, 24, v3
	v_cmp_eq_u32_e32 vcc_lo, 0, v4
	v_cmp_lt_u32_e64 s0, 1, v4
	s_waitcnt vmcnt(0)
	v_mov_b32_dpp v5, v2 row_shr:1 row_mask:0xf bank_mask:0xf
	s_delay_alu instid0(VALU_DEP_1) | instskip(NEXT) | instid1(VALU_DEP_1)
	v_cndmask_b32_e64 v5, v5, 0, vcc_lo
	v_add_nc_u32_e32 v2, v5, v2
	s_delay_alu instid0(VALU_DEP_1) | instskip(NEXT) | instid1(VALU_DEP_1)
	v_mov_b32_dpp v5, v2 row_shr:2 row_mask:0xf bank_mask:0xf
	v_cndmask_b32_e64 v5, 0, v5, s0
	s_delay_alu instid0(VALU_DEP_1) | instskip(SKIP_1) | instid1(VALU_DEP_2)
	v_add_nc_u32_e32 v2, v2, v5
	v_add_nc_u32_e32 v5, -1, v3
	v_mov_b32_dpp v7, v2 row_shr:4 row_mask:0xf bank_mask:0xf
	s_delay_alu instid0(VALU_DEP_2) | instskip(NEXT) | instid1(VALU_DEP_1)
	v_cmp_lt_i32_e64 s0, v5, v6
	v_cndmask_b32_e64 v3, v5, v3, s0
	v_cmp_lt_u32_e64 s0, 3, v4
	s_delay_alu instid0(VALU_DEP_2) | instskip(NEXT) | instid1(VALU_DEP_2)
	v_lshlrev_b32_e32 v3, 2, v3
	v_cndmask_b32_e64 v4, 0, v7, s0
	s_waitcnt lgkmcnt(0)
	s_delay_alu instid0(VALU_DEP_1)
	v_add3_u32 v4, v4, s1, v2
	v_add_co_u32 v2, s0, s6, v0
	ds_bpermute_b32 v5, v3, v4
	v_add_co_ci_u32_e64 v3, s0, s7, v1, s0
	s_waitcnt lgkmcnt(0)
	v_cndmask_b32_e64 v5, v5, s1, vcc_lo
	v_add_co_u32 v0, vcc_lo, s2, v0
	v_add_co_ci_u32_e32 v1, vcc_lo, s3, v1, vcc_lo
	global_store_b32 v[2:3], v4, off
	global_store_b32 v[0:1], v5, off
	s_nop 0
	s_sendmsg sendmsg(MSG_DEALLOC_VGPRS)
	s_endpgm
	.section	.rodata,"a",@progbits
	.p2align	6, 0x0
	.amdhsa_kernel _Z16warp_scan_kernelIiLj64ELj8EENSt9enable_ifIXsr10test_utilsE35device_test_enabled_for_warp_size_vIXT1_EEEvE4typeEPT_S4_S4_S3_
		.amdhsa_group_segment_fixed_size 0
		.amdhsa_private_segment_fixed_size 0
		.amdhsa_kernarg_size 288
		.amdhsa_user_sgpr_count 15
		.amdhsa_user_sgpr_dispatch_ptr 0
		.amdhsa_user_sgpr_queue_ptr 0
		.amdhsa_user_sgpr_kernarg_segment_ptr 1
		.amdhsa_user_sgpr_dispatch_id 0
		.amdhsa_user_sgpr_private_segment_size 0
		.amdhsa_wavefront_size32 1
		.amdhsa_uses_dynamic_stack 0
		.amdhsa_enable_private_segment 0
		.amdhsa_system_sgpr_workgroup_id_x 1
		.amdhsa_system_sgpr_workgroup_id_y 0
		.amdhsa_system_sgpr_workgroup_id_z 0
		.amdhsa_system_sgpr_workgroup_info 0
		.amdhsa_system_vgpr_workitem_id 0
		.amdhsa_next_free_vgpr 8
		.amdhsa_next_free_sgpr 16
		.amdhsa_reserve_vcc 1
		.amdhsa_float_round_mode_32 0
		.amdhsa_float_round_mode_16_64 0
		.amdhsa_float_denorm_mode_32 3
		.amdhsa_float_denorm_mode_16_64 3
		.amdhsa_dx10_clamp 1
		.amdhsa_ieee_mode 1
		.amdhsa_fp16_overflow 0
		.amdhsa_workgroup_processor_mode 1
		.amdhsa_memory_ordered 1
		.amdhsa_forward_progress 0
		.amdhsa_shared_vgpr_count 0
		.amdhsa_exception_fp_ieee_invalid_op 0
		.amdhsa_exception_fp_denorm_src 0
		.amdhsa_exception_fp_ieee_div_zero 0
		.amdhsa_exception_fp_ieee_overflow 0
		.amdhsa_exception_fp_ieee_underflow 0
		.amdhsa_exception_fp_ieee_inexact 0
		.amdhsa_exception_int_div_zero 0
	.end_amdhsa_kernel
	.section	.text._Z16warp_scan_kernelIiLj64ELj8EENSt9enable_ifIXsr10test_utilsE35device_test_enabled_for_warp_size_vIXT1_EEEvE4typeEPT_S4_S4_S3_,"axG",@progbits,_Z16warp_scan_kernelIiLj64ELj8EENSt9enable_ifIXsr10test_utilsE35device_test_enabled_for_warp_size_vIXT1_EEEvE4typeEPT_S4_S4_S3_,comdat
.Lfunc_end275:
	.size	_Z16warp_scan_kernelIiLj64ELj8EENSt9enable_ifIXsr10test_utilsE35device_test_enabled_for_warp_size_vIXT1_EEEvE4typeEPT_S4_S4_S3_, .Lfunc_end275-_Z16warp_scan_kernelIiLj64ELj8EENSt9enable_ifIXsr10test_utilsE35device_test_enabled_for_warp_size_vIXT1_EEEvE4typeEPT_S4_S4_S3_
                                        ; -- End function
	.section	.AMDGPU.csdata,"",@progbits
; Kernel info:
; codeLenInByte = 336
; NumSgprs: 18
; NumVgprs: 8
; ScratchSize: 0
; MemoryBound: 0
; FloatMode: 240
; IeeeMode: 1
; LDSByteSize: 0 bytes/workgroup (compile time only)
; SGPRBlocks: 2
; VGPRBlocks: 0
; NumSGPRsForWavesPerEU: 18
; NumVGPRsForWavesPerEU: 8
; Occupancy: 16
; WaveLimiterHint : 0
; COMPUTE_PGM_RSRC2:SCRATCH_EN: 0
; COMPUTE_PGM_RSRC2:USER_SGPR: 15
; COMPUTE_PGM_RSRC2:TRAP_HANDLER: 0
; COMPUTE_PGM_RSRC2:TGID_X_EN: 1
; COMPUTE_PGM_RSRC2:TGID_Y_EN: 0
; COMPUTE_PGM_RSRC2:TGID_Z_EN: 0
; COMPUTE_PGM_RSRC2:TIDIG_COMP_CNT: 0
	.section	.text._Z16warp_scan_kernelIiLj32ELj4EENSt9enable_ifIXsr10test_utilsE35device_test_enabled_for_warp_size_vIXT1_EEEvE4typeEPT_S4_S4_S3_,"axG",@progbits,_Z16warp_scan_kernelIiLj32ELj4EENSt9enable_ifIXsr10test_utilsE35device_test_enabled_for_warp_size_vIXT1_EEEvE4typeEPT_S4_S4_S3_,comdat
	.protected	_Z16warp_scan_kernelIiLj32ELj4EENSt9enable_ifIXsr10test_utilsE35device_test_enabled_for_warp_size_vIXT1_EEEvE4typeEPT_S4_S4_S3_ ; -- Begin function _Z16warp_scan_kernelIiLj32ELj4EENSt9enable_ifIXsr10test_utilsE35device_test_enabled_for_warp_size_vIXT1_EEEvE4typeEPT_S4_S4_S3_
	.globl	_Z16warp_scan_kernelIiLj32ELj4EENSt9enable_ifIXsr10test_utilsE35device_test_enabled_for_warp_size_vIXT1_EEEvE4typeEPT_S4_S4_S3_
	.p2align	8
	.type	_Z16warp_scan_kernelIiLj32ELj4EENSt9enable_ifIXsr10test_utilsE35device_test_enabled_for_warp_size_vIXT1_EEEvE4typeEPT_S4_S4_S3_,@function
_Z16warp_scan_kernelIiLj32ELj4EENSt9enable_ifIXsr10test_utilsE35device_test_enabled_for_warp_size_vIXT1_EEEvE4typeEPT_S4_S4_S3_: ; @_Z16warp_scan_kernelIiLj32ELj4EENSt9enable_ifIXsr10test_utilsE35device_test_enabled_for_warp_size_vIXT1_EEEvE4typeEPT_S4_S4_S3_
; %bb.0:
	s_clause 0x1
	s_load_b32 s2, s[0:1], 0x2c
	s_load_b128 s[4:7], s[0:1], 0x0
	s_waitcnt lgkmcnt(0)
	s_and_b32 s2, s2, 0xffff
	s_delay_alu instid0(SALU_CYCLE_1) | instskip(SKIP_4) | instid1(VALU_DEP_1)
	v_mad_u64_u32 v[1:2], null, s15, s2, v[0:1]
	v_mov_b32_e32 v2, 0
	s_clause 0x1
	s_load_b64 s[2:3], s[0:1], 0x10
	s_load_b32 s1, s[0:1], 0x18
	v_lshlrev_b64 v[0:1], 2, v[1:2]
	s_delay_alu instid0(VALU_DEP_1) | instskip(NEXT) | instid1(VALU_DEP_2)
	v_add_co_u32 v2, vcc_lo, s4, v0
	v_add_co_ci_u32_e32 v3, vcc_lo, s5, v1, vcc_lo
	global_load_b32 v2, v[2:3], off
	v_mbcnt_lo_u32_b32 v3, -1, 0
	s_delay_alu instid0(VALU_DEP_1) | instskip(SKIP_1) | instid1(VALU_DEP_2)
	v_and_b32_e32 v4, 3, v3
	v_and_b32_e32 v6, 28, v3
	v_cmp_eq_u32_e32 vcc_lo, 0, v4
	s_waitcnt vmcnt(0)
	v_mov_b32_dpp v5, v2 row_shr:1 row_mask:0xf bank_mask:0xf
	s_delay_alu instid0(VALU_DEP_1) | instskip(NEXT) | instid1(VALU_DEP_1)
	v_cndmask_b32_e64 v5, v5, 0, vcc_lo
	v_add_nc_u32_e32 v2, v5, v2
	v_add_nc_u32_e32 v5, -1, v3
	s_delay_alu instid0(VALU_DEP_2) | instskip(NEXT) | instid1(VALU_DEP_2)
	v_mov_b32_dpp v7, v2 row_shr:2 row_mask:0xf bank_mask:0xf
	v_cmp_lt_i32_e64 s0, v5, v6
	s_delay_alu instid0(VALU_DEP_1) | instskip(SKIP_1) | instid1(VALU_DEP_2)
	v_cndmask_b32_e64 v3, v5, v3, s0
	v_cmp_lt_u32_e64 s0, 1, v4
	v_lshlrev_b32_e32 v3, 2, v3
	s_delay_alu instid0(VALU_DEP_2) | instskip(SKIP_1) | instid1(VALU_DEP_1)
	v_cndmask_b32_e64 v4, 0, v7, s0
	s_waitcnt lgkmcnt(0)
	v_add3_u32 v4, v4, s1, v2
	v_add_co_u32 v2, s0, s6, v0
	ds_bpermute_b32 v5, v3, v4
	v_add_co_ci_u32_e64 v3, s0, s7, v1, s0
	s_waitcnt lgkmcnt(0)
	v_cndmask_b32_e64 v5, v5, s1, vcc_lo
	v_add_co_u32 v0, vcc_lo, s2, v0
	v_add_co_ci_u32_e32 v1, vcc_lo, s3, v1, vcc_lo
	global_store_b32 v[2:3], v4, off
	global_store_b32 v[0:1], v5, off
	s_nop 0
	s_sendmsg sendmsg(MSG_DEALLOC_VGPRS)
	s_endpgm
	.section	.rodata,"a",@progbits
	.p2align	6, 0x0
	.amdhsa_kernel _Z16warp_scan_kernelIiLj32ELj4EENSt9enable_ifIXsr10test_utilsE35device_test_enabled_for_warp_size_vIXT1_EEEvE4typeEPT_S4_S4_S3_
		.amdhsa_group_segment_fixed_size 0
		.amdhsa_private_segment_fixed_size 0
		.amdhsa_kernarg_size 288
		.amdhsa_user_sgpr_count 15
		.amdhsa_user_sgpr_dispatch_ptr 0
		.amdhsa_user_sgpr_queue_ptr 0
		.amdhsa_user_sgpr_kernarg_segment_ptr 1
		.amdhsa_user_sgpr_dispatch_id 0
		.amdhsa_user_sgpr_private_segment_size 0
		.amdhsa_wavefront_size32 1
		.amdhsa_uses_dynamic_stack 0
		.amdhsa_enable_private_segment 0
		.amdhsa_system_sgpr_workgroup_id_x 1
		.amdhsa_system_sgpr_workgroup_id_y 0
		.amdhsa_system_sgpr_workgroup_id_z 0
		.amdhsa_system_sgpr_workgroup_info 0
		.amdhsa_system_vgpr_workitem_id 0
		.amdhsa_next_free_vgpr 8
		.amdhsa_next_free_sgpr 16
		.amdhsa_reserve_vcc 1
		.amdhsa_float_round_mode_32 0
		.amdhsa_float_round_mode_16_64 0
		.amdhsa_float_denorm_mode_32 3
		.amdhsa_float_denorm_mode_16_64 3
		.amdhsa_dx10_clamp 1
		.amdhsa_ieee_mode 1
		.amdhsa_fp16_overflow 0
		.amdhsa_workgroup_processor_mode 1
		.amdhsa_memory_ordered 1
		.amdhsa_forward_progress 0
		.amdhsa_shared_vgpr_count 0
		.amdhsa_exception_fp_ieee_invalid_op 0
		.amdhsa_exception_fp_denorm_src 0
		.amdhsa_exception_fp_ieee_div_zero 0
		.amdhsa_exception_fp_ieee_overflow 0
		.amdhsa_exception_fp_ieee_underflow 0
		.amdhsa_exception_fp_ieee_inexact 0
		.amdhsa_exception_int_div_zero 0
	.end_amdhsa_kernel
	.section	.text._Z16warp_scan_kernelIiLj32ELj4EENSt9enable_ifIXsr10test_utilsE35device_test_enabled_for_warp_size_vIXT1_EEEvE4typeEPT_S4_S4_S3_,"axG",@progbits,_Z16warp_scan_kernelIiLj32ELj4EENSt9enable_ifIXsr10test_utilsE35device_test_enabled_for_warp_size_vIXT1_EEEvE4typeEPT_S4_S4_S3_,comdat
.Lfunc_end276:
	.size	_Z16warp_scan_kernelIiLj32ELj4EENSt9enable_ifIXsr10test_utilsE35device_test_enabled_for_warp_size_vIXT1_EEEvE4typeEPT_S4_S4_S3_, .Lfunc_end276-_Z16warp_scan_kernelIiLj32ELj4EENSt9enable_ifIXsr10test_utilsE35device_test_enabled_for_warp_size_vIXT1_EEEvE4typeEPT_S4_S4_S3_
                                        ; -- End function
	.section	.AMDGPU.csdata,"",@progbits
; Kernel info:
; codeLenInByte = 300
; NumSgprs: 18
; NumVgprs: 8
; ScratchSize: 0
; MemoryBound: 0
; FloatMode: 240
; IeeeMode: 1
; LDSByteSize: 0 bytes/workgroup (compile time only)
; SGPRBlocks: 2
; VGPRBlocks: 0
; NumSGPRsForWavesPerEU: 18
; NumVGPRsForWavesPerEU: 8
; Occupancy: 16
; WaveLimiterHint : 0
; COMPUTE_PGM_RSRC2:SCRATCH_EN: 0
; COMPUTE_PGM_RSRC2:USER_SGPR: 15
; COMPUTE_PGM_RSRC2:TRAP_HANDLER: 0
; COMPUTE_PGM_RSRC2:TGID_X_EN: 1
; COMPUTE_PGM_RSRC2:TGID_Y_EN: 0
; COMPUTE_PGM_RSRC2:TGID_Z_EN: 0
; COMPUTE_PGM_RSRC2:TIDIG_COMP_CNT: 0
	.section	.text._Z16warp_scan_kernelIiLj64ELj4EENSt9enable_ifIXsr10test_utilsE35device_test_enabled_for_warp_size_vIXT1_EEEvE4typeEPT_S4_S4_S3_,"axG",@progbits,_Z16warp_scan_kernelIiLj64ELj4EENSt9enable_ifIXsr10test_utilsE35device_test_enabled_for_warp_size_vIXT1_EEEvE4typeEPT_S4_S4_S3_,comdat
	.protected	_Z16warp_scan_kernelIiLj64ELj4EENSt9enable_ifIXsr10test_utilsE35device_test_enabled_for_warp_size_vIXT1_EEEvE4typeEPT_S4_S4_S3_ ; -- Begin function _Z16warp_scan_kernelIiLj64ELj4EENSt9enable_ifIXsr10test_utilsE35device_test_enabled_for_warp_size_vIXT1_EEEvE4typeEPT_S4_S4_S3_
	.globl	_Z16warp_scan_kernelIiLj64ELj4EENSt9enable_ifIXsr10test_utilsE35device_test_enabled_for_warp_size_vIXT1_EEEvE4typeEPT_S4_S4_S3_
	.p2align	8
	.type	_Z16warp_scan_kernelIiLj64ELj4EENSt9enable_ifIXsr10test_utilsE35device_test_enabled_for_warp_size_vIXT1_EEEvE4typeEPT_S4_S4_S3_,@function
_Z16warp_scan_kernelIiLj64ELj4EENSt9enable_ifIXsr10test_utilsE35device_test_enabled_for_warp_size_vIXT1_EEEvE4typeEPT_S4_S4_S3_: ; @_Z16warp_scan_kernelIiLj64ELj4EENSt9enable_ifIXsr10test_utilsE35device_test_enabled_for_warp_size_vIXT1_EEEvE4typeEPT_S4_S4_S3_
; %bb.0:
	s_clause 0x1
	s_load_b32 s2, s[0:1], 0x2c
	s_load_b128 s[4:7], s[0:1], 0x0
	s_waitcnt lgkmcnt(0)
	s_and_b32 s2, s2, 0xffff
	s_delay_alu instid0(SALU_CYCLE_1) | instskip(SKIP_4) | instid1(VALU_DEP_1)
	v_mad_u64_u32 v[1:2], null, s15, s2, v[0:1]
	v_mov_b32_e32 v2, 0
	s_clause 0x1
	s_load_b64 s[2:3], s[0:1], 0x10
	s_load_b32 s1, s[0:1], 0x18
	v_lshlrev_b64 v[0:1], 2, v[1:2]
	s_delay_alu instid0(VALU_DEP_1) | instskip(NEXT) | instid1(VALU_DEP_2)
	v_add_co_u32 v2, vcc_lo, s4, v0
	v_add_co_ci_u32_e32 v3, vcc_lo, s5, v1, vcc_lo
	global_load_b32 v2, v[2:3], off
	v_mbcnt_lo_u32_b32 v3, -1, 0
	s_delay_alu instid0(VALU_DEP_1) | instskip(SKIP_1) | instid1(VALU_DEP_2)
	v_and_b32_e32 v4, 3, v3
	v_and_b32_e32 v6, 28, v3
	v_cmp_eq_u32_e32 vcc_lo, 0, v4
	s_waitcnt vmcnt(0)
	v_mov_b32_dpp v5, v2 row_shr:1 row_mask:0xf bank_mask:0xf
	s_delay_alu instid0(VALU_DEP_1) | instskip(NEXT) | instid1(VALU_DEP_1)
	v_cndmask_b32_e64 v5, v5, 0, vcc_lo
	v_add_nc_u32_e32 v2, v5, v2
	v_add_nc_u32_e32 v5, -1, v3
	s_delay_alu instid0(VALU_DEP_2) | instskip(NEXT) | instid1(VALU_DEP_2)
	v_mov_b32_dpp v7, v2 row_shr:2 row_mask:0xf bank_mask:0xf
	v_cmp_lt_i32_e64 s0, v5, v6
	s_delay_alu instid0(VALU_DEP_1) | instskip(SKIP_1) | instid1(VALU_DEP_2)
	v_cndmask_b32_e64 v3, v5, v3, s0
	v_cmp_lt_u32_e64 s0, 1, v4
	v_lshlrev_b32_e32 v3, 2, v3
	s_delay_alu instid0(VALU_DEP_2) | instskip(SKIP_1) | instid1(VALU_DEP_1)
	v_cndmask_b32_e64 v4, 0, v7, s0
	s_waitcnt lgkmcnt(0)
	v_add3_u32 v4, v4, s1, v2
	v_add_co_u32 v2, s0, s6, v0
	ds_bpermute_b32 v5, v3, v4
	v_add_co_ci_u32_e64 v3, s0, s7, v1, s0
	s_waitcnt lgkmcnt(0)
	v_cndmask_b32_e64 v5, v5, s1, vcc_lo
	v_add_co_u32 v0, vcc_lo, s2, v0
	v_add_co_ci_u32_e32 v1, vcc_lo, s3, v1, vcc_lo
	global_store_b32 v[2:3], v4, off
	global_store_b32 v[0:1], v5, off
	s_nop 0
	s_sendmsg sendmsg(MSG_DEALLOC_VGPRS)
	s_endpgm
	.section	.rodata,"a",@progbits
	.p2align	6, 0x0
	.amdhsa_kernel _Z16warp_scan_kernelIiLj64ELj4EENSt9enable_ifIXsr10test_utilsE35device_test_enabled_for_warp_size_vIXT1_EEEvE4typeEPT_S4_S4_S3_
		.amdhsa_group_segment_fixed_size 0
		.amdhsa_private_segment_fixed_size 0
		.amdhsa_kernarg_size 288
		.amdhsa_user_sgpr_count 15
		.amdhsa_user_sgpr_dispatch_ptr 0
		.amdhsa_user_sgpr_queue_ptr 0
		.amdhsa_user_sgpr_kernarg_segment_ptr 1
		.amdhsa_user_sgpr_dispatch_id 0
		.amdhsa_user_sgpr_private_segment_size 0
		.amdhsa_wavefront_size32 1
		.amdhsa_uses_dynamic_stack 0
		.amdhsa_enable_private_segment 0
		.amdhsa_system_sgpr_workgroup_id_x 1
		.amdhsa_system_sgpr_workgroup_id_y 0
		.amdhsa_system_sgpr_workgroup_id_z 0
		.amdhsa_system_sgpr_workgroup_info 0
		.amdhsa_system_vgpr_workitem_id 0
		.amdhsa_next_free_vgpr 8
		.amdhsa_next_free_sgpr 16
		.amdhsa_reserve_vcc 1
		.amdhsa_float_round_mode_32 0
		.amdhsa_float_round_mode_16_64 0
		.amdhsa_float_denorm_mode_32 3
		.amdhsa_float_denorm_mode_16_64 3
		.amdhsa_dx10_clamp 1
		.amdhsa_ieee_mode 1
		.amdhsa_fp16_overflow 0
		.amdhsa_workgroup_processor_mode 1
		.amdhsa_memory_ordered 1
		.amdhsa_forward_progress 0
		.amdhsa_shared_vgpr_count 0
		.amdhsa_exception_fp_ieee_invalid_op 0
		.amdhsa_exception_fp_denorm_src 0
		.amdhsa_exception_fp_ieee_div_zero 0
		.amdhsa_exception_fp_ieee_overflow 0
		.amdhsa_exception_fp_ieee_underflow 0
		.amdhsa_exception_fp_ieee_inexact 0
		.amdhsa_exception_int_div_zero 0
	.end_amdhsa_kernel
	.section	.text._Z16warp_scan_kernelIiLj64ELj4EENSt9enable_ifIXsr10test_utilsE35device_test_enabled_for_warp_size_vIXT1_EEEvE4typeEPT_S4_S4_S3_,"axG",@progbits,_Z16warp_scan_kernelIiLj64ELj4EENSt9enable_ifIXsr10test_utilsE35device_test_enabled_for_warp_size_vIXT1_EEEvE4typeEPT_S4_S4_S3_,comdat
.Lfunc_end277:
	.size	_Z16warp_scan_kernelIiLj64ELj4EENSt9enable_ifIXsr10test_utilsE35device_test_enabled_for_warp_size_vIXT1_EEEvE4typeEPT_S4_S4_S3_, .Lfunc_end277-_Z16warp_scan_kernelIiLj64ELj4EENSt9enable_ifIXsr10test_utilsE35device_test_enabled_for_warp_size_vIXT1_EEEvE4typeEPT_S4_S4_S3_
                                        ; -- End function
	.section	.AMDGPU.csdata,"",@progbits
; Kernel info:
; codeLenInByte = 300
; NumSgprs: 18
; NumVgprs: 8
; ScratchSize: 0
; MemoryBound: 0
; FloatMode: 240
; IeeeMode: 1
; LDSByteSize: 0 bytes/workgroup (compile time only)
; SGPRBlocks: 2
; VGPRBlocks: 0
; NumSGPRsForWavesPerEU: 18
; NumVGPRsForWavesPerEU: 8
; Occupancy: 16
; WaveLimiterHint : 0
; COMPUTE_PGM_RSRC2:SCRATCH_EN: 0
; COMPUTE_PGM_RSRC2:USER_SGPR: 15
; COMPUTE_PGM_RSRC2:TRAP_HANDLER: 0
; COMPUTE_PGM_RSRC2:TGID_X_EN: 1
; COMPUTE_PGM_RSRC2:TGID_Y_EN: 0
; COMPUTE_PGM_RSRC2:TGID_Z_EN: 0
; COMPUTE_PGM_RSRC2:TIDIG_COMP_CNT: 0
	.section	.text._Z16warp_scan_kernelIiLj32ELj2EENSt9enable_ifIXsr10test_utilsE35device_test_enabled_for_warp_size_vIXT1_EEEvE4typeEPT_S4_S4_S3_,"axG",@progbits,_Z16warp_scan_kernelIiLj32ELj2EENSt9enable_ifIXsr10test_utilsE35device_test_enabled_for_warp_size_vIXT1_EEEvE4typeEPT_S4_S4_S3_,comdat
	.protected	_Z16warp_scan_kernelIiLj32ELj2EENSt9enable_ifIXsr10test_utilsE35device_test_enabled_for_warp_size_vIXT1_EEEvE4typeEPT_S4_S4_S3_ ; -- Begin function _Z16warp_scan_kernelIiLj32ELj2EENSt9enable_ifIXsr10test_utilsE35device_test_enabled_for_warp_size_vIXT1_EEEvE4typeEPT_S4_S4_S3_
	.globl	_Z16warp_scan_kernelIiLj32ELj2EENSt9enable_ifIXsr10test_utilsE35device_test_enabled_for_warp_size_vIXT1_EEEvE4typeEPT_S4_S4_S3_
	.p2align	8
	.type	_Z16warp_scan_kernelIiLj32ELj2EENSt9enable_ifIXsr10test_utilsE35device_test_enabled_for_warp_size_vIXT1_EEEvE4typeEPT_S4_S4_S3_,@function
_Z16warp_scan_kernelIiLj32ELj2EENSt9enable_ifIXsr10test_utilsE35device_test_enabled_for_warp_size_vIXT1_EEEvE4typeEPT_S4_S4_S3_: ; @_Z16warp_scan_kernelIiLj32ELj2EENSt9enable_ifIXsr10test_utilsE35device_test_enabled_for_warp_size_vIXT1_EEEvE4typeEPT_S4_S4_S3_
; %bb.0:
	s_clause 0x1
	s_load_b32 s2, s[0:1], 0x2c
	s_load_b128 s[4:7], s[0:1], 0x0
	s_waitcnt lgkmcnt(0)
	s_and_b32 s2, s2, 0xffff
	s_delay_alu instid0(SALU_CYCLE_1) | instskip(SKIP_4) | instid1(VALU_DEP_1)
	v_mad_u64_u32 v[1:2], null, s15, s2, v[0:1]
	v_mov_b32_e32 v2, 0
	s_clause 0x1
	s_load_b64 s[2:3], s[0:1], 0x10
	s_load_b32 s0, s[0:1], 0x18
	v_lshlrev_b64 v[0:1], 2, v[1:2]
	s_delay_alu instid0(VALU_DEP_1) | instskip(NEXT) | instid1(VALU_DEP_2)
	v_add_co_u32 v2, vcc_lo, s4, v0
	v_add_co_ci_u32_e32 v3, vcc_lo, s5, v1, vcc_lo
	global_load_b32 v2, v[2:3], off
	v_mbcnt_lo_u32_b32 v3, -1, 0
	s_delay_alu instid0(VALU_DEP_1) | instskip(SKIP_2) | instid1(VALU_DEP_2)
	v_and_b32_e32 v5, 30, v3
	v_add_nc_u32_e32 v4, -1, v3
	v_bfe_i32 v6, v3, 0, 1
	v_cmp_lt_i32_e32 vcc_lo, v4, v5
	v_cndmask_b32_e32 v4, v4, v3, vcc_lo
	s_delay_alu instid0(VALU_DEP_1) | instskip(SKIP_2) | instid1(VALU_DEP_1)
	v_lshlrev_b32_e32 v4, 2, v4
	s_waitcnt vmcnt(0)
	v_mov_b32_dpp v7, v2 row_shr:1 row_mask:0xf bank_mask:0xf
	v_and_b32_e32 v5, v6, v7
	v_and_b32_e32 v6, 1, v3
	s_waitcnt lgkmcnt(0)
	s_delay_alu instid0(VALU_DEP_2)
	v_add3_u32 v5, v2, s0, v5
	v_add_co_u32 v2, vcc_lo, s6, v0
	v_add_co_ci_u32_e32 v3, vcc_lo, s7, v1, vcc_lo
	ds_bpermute_b32 v4, v4, v5
	v_cmp_eq_u32_e32 vcc_lo, 0, v6
	s_waitcnt lgkmcnt(0)
	v_cndmask_b32_e64 v4, v4, s0, vcc_lo
	v_add_co_u32 v0, vcc_lo, s2, v0
	v_add_co_ci_u32_e32 v1, vcc_lo, s3, v1, vcc_lo
	global_store_b32 v[2:3], v5, off
	global_store_b32 v[0:1], v4, off
	s_nop 0
	s_sendmsg sendmsg(MSG_DEALLOC_VGPRS)
	s_endpgm
	.section	.rodata,"a",@progbits
	.p2align	6, 0x0
	.amdhsa_kernel _Z16warp_scan_kernelIiLj32ELj2EENSt9enable_ifIXsr10test_utilsE35device_test_enabled_for_warp_size_vIXT1_EEEvE4typeEPT_S4_S4_S3_
		.amdhsa_group_segment_fixed_size 0
		.amdhsa_private_segment_fixed_size 0
		.amdhsa_kernarg_size 288
		.amdhsa_user_sgpr_count 15
		.amdhsa_user_sgpr_dispatch_ptr 0
		.amdhsa_user_sgpr_queue_ptr 0
		.amdhsa_user_sgpr_kernarg_segment_ptr 1
		.amdhsa_user_sgpr_dispatch_id 0
		.amdhsa_user_sgpr_private_segment_size 0
		.amdhsa_wavefront_size32 1
		.amdhsa_uses_dynamic_stack 0
		.amdhsa_enable_private_segment 0
		.amdhsa_system_sgpr_workgroup_id_x 1
		.amdhsa_system_sgpr_workgroup_id_y 0
		.amdhsa_system_sgpr_workgroup_id_z 0
		.amdhsa_system_sgpr_workgroup_info 0
		.amdhsa_system_vgpr_workitem_id 0
		.amdhsa_next_free_vgpr 8
		.amdhsa_next_free_sgpr 16
		.amdhsa_reserve_vcc 1
		.amdhsa_float_round_mode_32 0
		.amdhsa_float_round_mode_16_64 0
		.amdhsa_float_denorm_mode_32 3
		.amdhsa_float_denorm_mode_16_64 3
		.amdhsa_dx10_clamp 1
		.amdhsa_ieee_mode 1
		.amdhsa_fp16_overflow 0
		.amdhsa_workgroup_processor_mode 1
		.amdhsa_memory_ordered 1
		.amdhsa_forward_progress 0
		.amdhsa_shared_vgpr_count 0
		.amdhsa_exception_fp_ieee_invalid_op 0
		.amdhsa_exception_fp_denorm_src 0
		.amdhsa_exception_fp_ieee_div_zero 0
		.amdhsa_exception_fp_ieee_overflow 0
		.amdhsa_exception_fp_ieee_underflow 0
		.amdhsa_exception_fp_ieee_inexact 0
		.amdhsa_exception_int_div_zero 0
	.end_amdhsa_kernel
	.section	.text._Z16warp_scan_kernelIiLj32ELj2EENSt9enable_ifIXsr10test_utilsE35device_test_enabled_for_warp_size_vIXT1_EEEvE4typeEPT_S4_S4_S3_,"axG",@progbits,_Z16warp_scan_kernelIiLj32ELj2EENSt9enable_ifIXsr10test_utilsE35device_test_enabled_for_warp_size_vIXT1_EEEvE4typeEPT_S4_S4_S3_,comdat
.Lfunc_end278:
	.size	_Z16warp_scan_kernelIiLj32ELj2EENSt9enable_ifIXsr10test_utilsE35device_test_enabled_for_warp_size_vIXT1_EEEvE4typeEPT_S4_S4_S3_, .Lfunc_end278-_Z16warp_scan_kernelIiLj32ELj2EENSt9enable_ifIXsr10test_utilsE35device_test_enabled_for_warp_size_vIXT1_EEEvE4typeEPT_S4_S4_S3_
                                        ; -- End function
	.section	.AMDGPU.csdata,"",@progbits
; Kernel info:
; codeLenInByte = 256
; NumSgprs: 18
; NumVgprs: 8
; ScratchSize: 0
; MemoryBound: 0
; FloatMode: 240
; IeeeMode: 1
; LDSByteSize: 0 bytes/workgroup (compile time only)
; SGPRBlocks: 2
; VGPRBlocks: 0
; NumSGPRsForWavesPerEU: 18
; NumVGPRsForWavesPerEU: 8
; Occupancy: 16
; WaveLimiterHint : 0
; COMPUTE_PGM_RSRC2:SCRATCH_EN: 0
; COMPUTE_PGM_RSRC2:USER_SGPR: 15
; COMPUTE_PGM_RSRC2:TRAP_HANDLER: 0
; COMPUTE_PGM_RSRC2:TGID_X_EN: 1
; COMPUTE_PGM_RSRC2:TGID_Y_EN: 0
; COMPUTE_PGM_RSRC2:TGID_Z_EN: 0
; COMPUTE_PGM_RSRC2:TIDIG_COMP_CNT: 0
	.section	.text._Z16warp_scan_kernelIiLj64ELj2EENSt9enable_ifIXsr10test_utilsE35device_test_enabled_for_warp_size_vIXT1_EEEvE4typeEPT_S4_S4_S3_,"axG",@progbits,_Z16warp_scan_kernelIiLj64ELj2EENSt9enable_ifIXsr10test_utilsE35device_test_enabled_for_warp_size_vIXT1_EEEvE4typeEPT_S4_S4_S3_,comdat
	.protected	_Z16warp_scan_kernelIiLj64ELj2EENSt9enable_ifIXsr10test_utilsE35device_test_enabled_for_warp_size_vIXT1_EEEvE4typeEPT_S4_S4_S3_ ; -- Begin function _Z16warp_scan_kernelIiLj64ELj2EENSt9enable_ifIXsr10test_utilsE35device_test_enabled_for_warp_size_vIXT1_EEEvE4typeEPT_S4_S4_S3_
	.globl	_Z16warp_scan_kernelIiLj64ELj2EENSt9enable_ifIXsr10test_utilsE35device_test_enabled_for_warp_size_vIXT1_EEEvE4typeEPT_S4_S4_S3_
	.p2align	8
	.type	_Z16warp_scan_kernelIiLj64ELj2EENSt9enable_ifIXsr10test_utilsE35device_test_enabled_for_warp_size_vIXT1_EEEvE4typeEPT_S4_S4_S3_,@function
_Z16warp_scan_kernelIiLj64ELj2EENSt9enable_ifIXsr10test_utilsE35device_test_enabled_for_warp_size_vIXT1_EEEvE4typeEPT_S4_S4_S3_: ; @_Z16warp_scan_kernelIiLj64ELj2EENSt9enable_ifIXsr10test_utilsE35device_test_enabled_for_warp_size_vIXT1_EEEvE4typeEPT_S4_S4_S3_
; %bb.0:
	s_clause 0x1
	s_load_b32 s2, s[0:1], 0x2c
	s_load_b128 s[4:7], s[0:1], 0x0
	s_waitcnt lgkmcnt(0)
	s_and_b32 s2, s2, 0xffff
	s_delay_alu instid0(SALU_CYCLE_1) | instskip(SKIP_4) | instid1(VALU_DEP_1)
	v_mad_u64_u32 v[1:2], null, s15, s2, v[0:1]
	v_mov_b32_e32 v2, 0
	s_clause 0x1
	s_load_b64 s[2:3], s[0:1], 0x10
	s_load_b32 s0, s[0:1], 0x18
	v_lshlrev_b64 v[0:1], 2, v[1:2]
	s_delay_alu instid0(VALU_DEP_1) | instskip(NEXT) | instid1(VALU_DEP_2)
	v_add_co_u32 v2, vcc_lo, s4, v0
	v_add_co_ci_u32_e32 v3, vcc_lo, s5, v1, vcc_lo
	global_load_b32 v2, v[2:3], off
	v_mbcnt_lo_u32_b32 v3, -1, 0
	s_delay_alu instid0(VALU_DEP_1) | instskip(SKIP_2) | instid1(VALU_DEP_2)
	v_and_b32_e32 v5, 30, v3
	v_add_nc_u32_e32 v4, -1, v3
	v_bfe_i32 v6, v3, 0, 1
	v_cmp_lt_i32_e32 vcc_lo, v4, v5
	v_cndmask_b32_e32 v4, v4, v3, vcc_lo
	s_delay_alu instid0(VALU_DEP_1) | instskip(SKIP_2) | instid1(VALU_DEP_1)
	v_lshlrev_b32_e32 v4, 2, v4
	s_waitcnt vmcnt(0)
	v_mov_b32_dpp v7, v2 row_shr:1 row_mask:0xf bank_mask:0xf
	v_and_b32_e32 v5, v6, v7
	v_and_b32_e32 v6, 1, v3
	s_waitcnt lgkmcnt(0)
	s_delay_alu instid0(VALU_DEP_2)
	v_add3_u32 v5, v2, s0, v5
	v_add_co_u32 v2, vcc_lo, s6, v0
	v_add_co_ci_u32_e32 v3, vcc_lo, s7, v1, vcc_lo
	ds_bpermute_b32 v4, v4, v5
	v_cmp_eq_u32_e32 vcc_lo, 0, v6
	s_waitcnt lgkmcnt(0)
	v_cndmask_b32_e64 v4, v4, s0, vcc_lo
	v_add_co_u32 v0, vcc_lo, s2, v0
	v_add_co_ci_u32_e32 v1, vcc_lo, s3, v1, vcc_lo
	global_store_b32 v[2:3], v5, off
	global_store_b32 v[0:1], v4, off
	s_nop 0
	s_sendmsg sendmsg(MSG_DEALLOC_VGPRS)
	s_endpgm
	.section	.rodata,"a",@progbits
	.p2align	6, 0x0
	.amdhsa_kernel _Z16warp_scan_kernelIiLj64ELj2EENSt9enable_ifIXsr10test_utilsE35device_test_enabled_for_warp_size_vIXT1_EEEvE4typeEPT_S4_S4_S3_
		.amdhsa_group_segment_fixed_size 0
		.amdhsa_private_segment_fixed_size 0
		.amdhsa_kernarg_size 288
		.amdhsa_user_sgpr_count 15
		.amdhsa_user_sgpr_dispatch_ptr 0
		.amdhsa_user_sgpr_queue_ptr 0
		.amdhsa_user_sgpr_kernarg_segment_ptr 1
		.amdhsa_user_sgpr_dispatch_id 0
		.amdhsa_user_sgpr_private_segment_size 0
		.amdhsa_wavefront_size32 1
		.amdhsa_uses_dynamic_stack 0
		.amdhsa_enable_private_segment 0
		.amdhsa_system_sgpr_workgroup_id_x 1
		.amdhsa_system_sgpr_workgroup_id_y 0
		.amdhsa_system_sgpr_workgroup_id_z 0
		.amdhsa_system_sgpr_workgroup_info 0
		.amdhsa_system_vgpr_workitem_id 0
		.amdhsa_next_free_vgpr 8
		.amdhsa_next_free_sgpr 16
		.amdhsa_reserve_vcc 1
		.amdhsa_float_round_mode_32 0
		.amdhsa_float_round_mode_16_64 0
		.amdhsa_float_denorm_mode_32 3
		.amdhsa_float_denorm_mode_16_64 3
		.amdhsa_dx10_clamp 1
		.amdhsa_ieee_mode 1
		.amdhsa_fp16_overflow 0
		.amdhsa_workgroup_processor_mode 1
		.amdhsa_memory_ordered 1
		.amdhsa_forward_progress 0
		.amdhsa_shared_vgpr_count 0
		.amdhsa_exception_fp_ieee_invalid_op 0
		.amdhsa_exception_fp_denorm_src 0
		.amdhsa_exception_fp_ieee_div_zero 0
		.amdhsa_exception_fp_ieee_overflow 0
		.amdhsa_exception_fp_ieee_underflow 0
		.amdhsa_exception_fp_ieee_inexact 0
		.amdhsa_exception_int_div_zero 0
	.end_amdhsa_kernel
	.section	.text._Z16warp_scan_kernelIiLj64ELj2EENSt9enable_ifIXsr10test_utilsE35device_test_enabled_for_warp_size_vIXT1_EEEvE4typeEPT_S4_S4_S3_,"axG",@progbits,_Z16warp_scan_kernelIiLj64ELj2EENSt9enable_ifIXsr10test_utilsE35device_test_enabled_for_warp_size_vIXT1_EEEvE4typeEPT_S4_S4_S3_,comdat
.Lfunc_end279:
	.size	_Z16warp_scan_kernelIiLj64ELj2EENSt9enable_ifIXsr10test_utilsE35device_test_enabled_for_warp_size_vIXT1_EEEvE4typeEPT_S4_S4_S3_, .Lfunc_end279-_Z16warp_scan_kernelIiLj64ELj2EENSt9enable_ifIXsr10test_utilsE35device_test_enabled_for_warp_size_vIXT1_EEEvE4typeEPT_S4_S4_S3_
                                        ; -- End function
	.section	.AMDGPU.csdata,"",@progbits
; Kernel info:
; codeLenInByte = 256
; NumSgprs: 18
; NumVgprs: 8
; ScratchSize: 0
; MemoryBound: 0
; FloatMode: 240
; IeeeMode: 1
; LDSByteSize: 0 bytes/workgroup (compile time only)
; SGPRBlocks: 2
; VGPRBlocks: 0
; NumSGPRsForWavesPerEU: 18
; NumVGPRsForWavesPerEU: 8
; Occupancy: 16
; WaveLimiterHint : 0
; COMPUTE_PGM_RSRC2:SCRATCH_EN: 0
; COMPUTE_PGM_RSRC2:USER_SGPR: 15
; COMPUTE_PGM_RSRC2:TRAP_HANDLER: 0
; COMPUTE_PGM_RSRC2:TGID_X_EN: 1
; COMPUTE_PGM_RSRC2:TGID_Y_EN: 0
; COMPUTE_PGM_RSRC2:TGID_Z_EN: 0
; COMPUTE_PGM_RSRC2:TIDIG_COMP_CNT: 0
	.section	.text._Z26warp_inclusive_scan_kernelIN10test_utils16custom_test_typeIfEELj1ELj61EENSt9enable_ifIXntsr10test_utilsE35device_test_enabled_for_warp_size_vIXT1_EEEvE4typeEPT_S7_,"axG",@progbits,_Z26warp_inclusive_scan_kernelIN10test_utils16custom_test_typeIfEELj1ELj61EENSt9enable_ifIXntsr10test_utilsE35device_test_enabled_for_warp_size_vIXT1_EEEvE4typeEPT_S7_,comdat
	.protected	_Z26warp_inclusive_scan_kernelIN10test_utils16custom_test_typeIfEELj1ELj61EENSt9enable_ifIXntsr10test_utilsE35device_test_enabled_for_warp_size_vIXT1_EEEvE4typeEPT_S7_ ; -- Begin function _Z26warp_inclusive_scan_kernelIN10test_utils16custom_test_typeIfEELj1ELj61EENSt9enable_ifIXntsr10test_utilsE35device_test_enabled_for_warp_size_vIXT1_EEEvE4typeEPT_S7_
	.globl	_Z26warp_inclusive_scan_kernelIN10test_utils16custom_test_typeIfEELj1ELj61EENSt9enable_ifIXntsr10test_utilsE35device_test_enabled_for_warp_size_vIXT1_EEEvE4typeEPT_S7_
	.p2align	8
	.type	_Z26warp_inclusive_scan_kernelIN10test_utils16custom_test_typeIfEELj1ELj61EENSt9enable_ifIXntsr10test_utilsE35device_test_enabled_for_warp_size_vIXT1_EEEvE4typeEPT_S7_,@function
_Z26warp_inclusive_scan_kernelIN10test_utils16custom_test_typeIfEELj1ELj61EENSt9enable_ifIXntsr10test_utilsE35device_test_enabled_for_warp_size_vIXT1_EEEvE4typeEPT_S7_: ; @_Z26warp_inclusive_scan_kernelIN10test_utils16custom_test_typeIfEELj1ELj61EENSt9enable_ifIXntsr10test_utilsE35device_test_enabled_for_warp_size_vIXT1_EEEvE4typeEPT_S7_
; %bb.0:
	s_endpgm
	.section	.rodata,"a",@progbits
	.p2align	6, 0x0
	.amdhsa_kernel _Z26warp_inclusive_scan_kernelIN10test_utils16custom_test_typeIfEELj1ELj61EENSt9enable_ifIXntsr10test_utilsE35device_test_enabled_for_warp_size_vIXT1_EEEvE4typeEPT_S7_
		.amdhsa_group_segment_fixed_size 0
		.amdhsa_private_segment_fixed_size 0
		.amdhsa_kernarg_size 16
		.amdhsa_user_sgpr_count 15
		.amdhsa_user_sgpr_dispatch_ptr 0
		.amdhsa_user_sgpr_queue_ptr 0
		.amdhsa_user_sgpr_kernarg_segment_ptr 1
		.amdhsa_user_sgpr_dispatch_id 0
		.amdhsa_user_sgpr_private_segment_size 0
		.amdhsa_wavefront_size32 1
		.amdhsa_uses_dynamic_stack 0
		.amdhsa_enable_private_segment 0
		.amdhsa_system_sgpr_workgroup_id_x 1
		.amdhsa_system_sgpr_workgroup_id_y 0
		.amdhsa_system_sgpr_workgroup_id_z 0
		.amdhsa_system_sgpr_workgroup_info 0
		.amdhsa_system_vgpr_workitem_id 0
		.amdhsa_next_free_vgpr 1
		.amdhsa_next_free_sgpr 1
		.amdhsa_reserve_vcc 0
		.amdhsa_float_round_mode_32 0
		.amdhsa_float_round_mode_16_64 0
		.amdhsa_float_denorm_mode_32 3
		.amdhsa_float_denorm_mode_16_64 3
		.amdhsa_dx10_clamp 1
		.amdhsa_ieee_mode 1
		.amdhsa_fp16_overflow 0
		.amdhsa_workgroup_processor_mode 1
		.amdhsa_memory_ordered 1
		.amdhsa_forward_progress 0
		.amdhsa_shared_vgpr_count 0
		.amdhsa_exception_fp_ieee_invalid_op 0
		.amdhsa_exception_fp_denorm_src 0
		.amdhsa_exception_fp_ieee_div_zero 0
		.amdhsa_exception_fp_ieee_overflow 0
		.amdhsa_exception_fp_ieee_underflow 0
		.amdhsa_exception_fp_ieee_inexact 0
		.amdhsa_exception_int_div_zero 0
	.end_amdhsa_kernel
	.section	.text._Z26warp_inclusive_scan_kernelIN10test_utils16custom_test_typeIfEELj1ELj61EENSt9enable_ifIXntsr10test_utilsE35device_test_enabled_for_warp_size_vIXT1_EEEvE4typeEPT_S7_,"axG",@progbits,_Z26warp_inclusive_scan_kernelIN10test_utils16custom_test_typeIfEELj1ELj61EENSt9enable_ifIXntsr10test_utilsE35device_test_enabled_for_warp_size_vIXT1_EEEvE4typeEPT_S7_,comdat
.Lfunc_end280:
	.size	_Z26warp_inclusive_scan_kernelIN10test_utils16custom_test_typeIfEELj1ELj61EENSt9enable_ifIXntsr10test_utilsE35device_test_enabled_for_warp_size_vIXT1_EEEvE4typeEPT_S7_, .Lfunc_end280-_Z26warp_inclusive_scan_kernelIN10test_utils16custom_test_typeIfEELj1ELj61EENSt9enable_ifIXntsr10test_utilsE35device_test_enabled_for_warp_size_vIXT1_EEEvE4typeEPT_S7_
                                        ; -- End function
	.section	.AMDGPU.csdata,"",@progbits
; Kernel info:
; codeLenInByte = 4
; NumSgprs: 0
; NumVgprs: 0
; ScratchSize: 0
; MemoryBound: 0
; FloatMode: 240
; IeeeMode: 1
; LDSByteSize: 0 bytes/workgroup (compile time only)
; SGPRBlocks: 0
; VGPRBlocks: 0
; NumSGPRsForWavesPerEU: 1
; NumVGPRsForWavesPerEU: 1
; Occupancy: 16
; WaveLimiterHint : 0
; COMPUTE_PGM_RSRC2:SCRATCH_EN: 0
; COMPUTE_PGM_RSRC2:USER_SGPR: 15
; COMPUTE_PGM_RSRC2:TRAP_HANDLER: 0
; COMPUTE_PGM_RSRC2:TGID_X_EN: 1
; COMPUTE_PGM_RSRC2:TGID_Y_EN: 0
; COMPUTE_PGM_RSRC2:TGID_Z_EN: 0
; COMPUTE_PGM_RSRC2:TIDIG_COMP_CNT: 0
	.section	.text._Z26warp_inclusive_scan_kernelIN10test_utils16custom_test_typeIfEELj61ELj61EENSt9enable_ifIXntsr10test_utilsE35device_test_enabled_for_warp_size_vIXT1_EEEvE4typeEPT_S7_,"axG",@progbits,_Z26warp_inclusive_scan_kernelIN10test_utils16custom_test_typeIfEELj61ELj61EENSt9enable_ifIXntsr10test_utilsE35device_test_enabled_for_warp_size_vIXT1_EEEvE4typeEPT_S7_,comdat
	.protected	_Z26warp_inclusive_scan_kernelIN10test_utils16custom_test_typeIfEELj61ELj61EENSt9enable_ifIXntsr10test_utilsE35device_test_enabled_for_warp_size_vIXT1_EEEvE4typeEPT_S7_ ; -- Begin function _Z26warp_inclusive_scan_kernelIN10test_utils16custom_test_typeIfEELj61ELj61EENSt9enable_ifIXntsr10test_utilsE35device_test_enabled_for_warp_size_vIXT1_EEEvE4typeEPT_S7_
	.globl	_Z26warp_inclusive_scan_kernelIN10test_utils16custom_test_typeIfEELj61ELj61EENSt9enable_ifIXntsr10test_utilsE35device_test_enabled_for_warp_size_vIXT1_EEEvE4typeEPT_S7_
	.p2align	8
	.type	_Z26warp_inclusive_scan_kernelIN10test_utils16custom_test_typeIfEELj61ELj61EENSt9enable_ifIXntsr10test_utilsE35device_test_enabled_for_warp_size_vIXT1_EEEvE4typeEPT_S7_,@function
_Z26warp_inclusive_scan_kernelIN10test_utils16custom_test_typeIfEELj61ELj61EENSt9enable_ifIXntsr10test_utilsE35device_test_enabled_for_warp_size_vIXT1_EEEvE4typeEPT_S7_: ; @_Z26warp_inclusive_scan_kernelIN10test_utils16custom_test_typeIfEELj61ELj61EENSt9enable_ifIXntsr10test_utilsE35device_test_enabled_for_warp_size_vIXT1_EEEvE4typeEPT_S7_
; %bb.0:
	s_endpgm
	.section	.rodata,"a",@progbits
	.p2align	6, 0x0
	.amdhsa_kernel _Z26warp_inclusive_scan_kernelIN10test_utils16custom_test_typeIfEELj61ELj61EENSt9enable_ifIXntsr10test_utilsE35device_test_enabled_for_warp_size_vIXT1_EEEvE4typeEPT_S7_
		.amdhsa_group_segment_fixed_size 0
		.amdhsa_private_segment_fixed_size 0
		.amdhsa_kernarg_size 16
		.amdhsa_user_sgpr_count 15
		.amdhsa_user_sgpr_dispatch_ptr 0
		.amdhsa_user_sgpr_queue_ptr 0
		.amdhsa_user_sgpr_kernarg_segment_ptr 1
		.amdhsa_user_sgpr_dispatch_id 0
		.amdhsa_user_sgpr_private_segment_size 0
		.amdhsa_wavefront_size32 1
		.amdhsa_uses_dynamic_stack 0
		.amdhsa_enable_private_segment 0
		.amdhsa_system_sgpr_workgroup_id_x 1
		.amdhsa_system_sgpr_workgroup_id_y 0
		.amdhsa_system_sgpr_workgroup_id_z 0
		.amdhsa_system_sgpr_workgroup_info 0
		.amdhsa_system_vgpr_workitem_id 0
		.amdhsa_next_free_vgpr 1
		.amdhsa_next_free_sgpr 1
		.amdhsa_reserve_vcc 0
		.amdhsa_float_round_mode_32 0
		.amdhsa_float_round_mode_16_64 0
		.amdhsa_float_denorm_mode_32 3
		.amdhsa_float_denorm_mode_16_64 3
		.amdhsa_dx10_clamp 1
		.amdhsa_ieee_mode 1
		.amdhsa_fp16_overflow 0
		.amdhsa_workgroup_processor_mode 1
		.amdhsa_memory_ordered 1
		.amdhsa_forward_progress 0
		.amdhsa_shared_vgpr_count 0
		.amdhsa_exception_fp_ieee_invalid_op 0
		.amdhsa_exception_fp_denorm_src 0
		.amdhsa_exception_fp_ieee_div_zero 0
		.amdhsa_exception_fp_ieee_overflow 0
		.amdhsa_exception_fp_ieee_underflow 0
		.amdhsa_exception_fp_ieee_inexact 0
		.amdhsa_exception_int_div_zero 0
	.end_amdhsa_kernel
	.section	.text._Z26warp_inclusive_scan_kernelIN10test_utils16custom_test_typeIfEELj61ELj61EENSt9enable_ifIXntsr10test_utilsE35device_test_enabled_for_warp_size_vIXT1_EEEvE4typeEPT_S7_,"axG",@progbits,_Z26warp_inclusive_scan_kernelIN10test_utils16custom_test_typeIfEELj61ELj61EENSt9enable_ifIXntsr10test_utilsE35device_test_enabled_for_warp_size_vIXT1_EEEvE4typeEPT_S7_,comdat
.Lfunc_end281:
	.size	_Z26warp_inclusive_scan_kernelIN10test_utils16custom_test_typeIfEELj61ELj61EENSt9enable_ifIXntsr10test_utilsE35device_test_enabled_for_warp_size_vIXT1_EEEvE4typeEPT_S7_, .Lfunc_end281-_Z26warp_inclusive_scan_kernelIN10test_utils16custom_test_typeIfEELj61ELj61EENSt9enable_ifIXntsr10test_utilsE35device_test_enabled_for_warp_size_vIXT1_EEEvE4typeEPT_S7_
                                        ; -- End function
	.section	.AMDGPU.csdata,"",@progbits
; Kernel info:
; codeLenInByte = 4
; NumSgprs: 0
; NumVgprs: 0
; ScratchSize: 0
; MemoryBound: 0
; FloatMode: 240
; IeeeMode: 1
; LDSByteSize: 0 bytes/workgroup (compile time only)
; SGPRBlocks: 0
; VGPRBlocks: 0
; NumSGPRsForWavesPerEU: 1
; NumVGPRsForWavesPerEU: 1
; Occupancy: 16
; WaveLimiterHint : 0
; COMPUTE_PGM_RSRC2:SCRATCH_EN: 0
; COMPUTE_PGM_RSRC2:USER_SGPR: 15
; COMPUTE_PGM_RSRC2:TRAP_HANDLER: 0
; COMPUTE_PGM_RSRC2:TGID_X_EN: 1
; COMPUTE_PGM_RSRC2:TGID_Y_EN: 0
; COMPUTE_PGM_RSRC2:TGID_Z_EN: 0
; COMPUTE_PGM_RSRC2:TIDIG_COMP_CNT: 0
	.section	.text._Z26warp_inclusive_scan_kernelIN10test_utils16custom_test_typeIfEELj1ELj37EENSt9enable_ifIXntsr10test_utilsE35device_test_enabled_for_warp_size_vIXT1_EEEvE4typeEPT_S7_,"axG",@progbits,_Z26warp_inclusive_scan_kernelIN10test_utils16custom_test_typeIfEELj1ELj37EENSt9enable_ifIXntsr10test_utilsE35device_test_enabled_for_warp_size_vIXT1_EEEvE4typeEPT_S7_,comdat
	.protected	_Z26warp_inclusive_scan_kernelIN10test_utils16custom_test_typeIfEELj1ELj37EENSt9enable_ifIXntsr10test_utilsE35device_test_enabled_for_warp_size_vIXT1_EEEvE4typeEPT_S7_ ; -- Begin function _Z26warp_inclusive_scan_kernelIN10test_utils16custom_test_typeIfEELj1ELj37EENSt9enable_ifIXntsr10test_utilsE35device_test_enabled_for_warp_size_vIXT1_EEEvE4typeEPT_S7_
	.globl	_Z26warp_inclusive_scan_kernelIN10test_utils16custom_test_typeIfEELj1ELj37EENSt9enable_ifIXntsr10test_utilsE35device_test_enabled_for_warp_size_vIXT1_EEEvE4typeEPT_S7_
	.p2align	8
	.type	_Z26warp_inclusive_scan_kernelIN10test_utils16custom_test_typeIfEELj1ELj37EENSt9enable_ifIXntsr10test_utilsE35device_test_enabled_for_warp_size_vIXT1_EEEvE4typeEPT_S7_,@function
_Z26warp_inclusive_scan_kernelIN10test_utils16custom_test_typeIfEELj1ELj37EENSt9enable_ifIXntsr10test_utilsE35device_test_enabled_for_warp_size_vIXT1_EEEvE4typeEPT_S7_: ; @_Z26warp_inclusive_scan_kernelIN10test_utils16custom_test_typeIfEELj1ELj37EENSt9enable_ifIXntsr10test_utilsE35device_test_enabled_for_warp_size_vIXT1_EEEvE4typeEPT_S7_
; %bb.0:
	s_endpgm
	.section	.rodata,"a",@progbits
	.p2align	6, 0x0
	.amdhsa_kernel _Z26warp_inclusive_scan_kernelIN10test_utils16custom_test_typeIfEELj1ELj37EENSt9enable_ifIXntsr10test_utilsE35device_test_enabled_for_warp_size_vIXT1_EEEvE4typeEPT_S7_
		.amdhsa_group_segment_fixed_size 0
		.amdhsa_private_segment_fixed_size 0
		.amdhsa_kernarg_size 16
		.amdhsa_user_sgpr_count 15
		.amdhsa_user_sgpr_dispatch_ptr 0
		.amdhsa_user_sgpr_queue_ptr 0
		.amdhsa_user_sgpr_kernarg_segment_ptr 1
		.amdhsa_user_sgpr_dispatch_id 0
		.amdhsa_user_sgpr_private_segment_size 0
		.amdhsa_wavefront_size32 1
		.amdhsa_uses_dynamic_stack 0
		.amdhsa_enable_private_segment 0
		.amdhsa_system_sgpr_workgroup_id_x 1
		.amdhsa_system_sgpr_workgroup_id_y 0
		.amdhsa_system_sgpr_workgroup_id_z 0
		.amdhsa_system_sgpr_workgroup_info 0
		.amdhsa_system_vgpr_workitem_id 0
		.amdhsa_next_free_vgpr 1
		.amdhsa_next_free_sgpr 1
		.amdhsa_reserve_vcc 0
		.amdhsa_float_round_mode_32 0
		.amdhsa_float_round_mode_16_64 0
		.amdhsa_float_denorm_mode_32 3
		.amdhsa_float_denorm_mode_16_64 3
		.amdhsa_dx10_clamp 1
		.amdhsa_ieee_mode 1
		.amdhsa_fp16_overflow 0
		.amdhsa_workgroup_processor_mode 1
		.amdhsa_memory_ordered 1
		.amdhsa_forward_progress 0
		.amdhsa_shared_vgpr_count 0
		.amdhsa_exception_fp_ieee_invalid_op 0
		.amdhsa_exception_fp_denorm_src 0
		.amdhsa_exception_fp_ieee_div_zero 0
		.amdhsa_exception_fp_ieee_overflow 0
		.amdhsa_exception_fp_ieee_underflow 0
		.amdhsa_exception_fp_ieee_inexact 0
		.amdhsa_exception_int_div_zero 0
	.end_amdhsa_kernel
	.section	.text._Z26warp_inclusive_scan_kernelIN10test_utils16custom_test_typeIfEELj1ELj37EENSt9enable_ifIXntsr10test_utilsE35device_test_enabled_for_warp_size_vIXT1_EEEvE4typeEPT_S7_,"axG",@progbits,_Z26warp_inclusive_scan_kernelIN10test_utils16custom_test_typeIfEELj1ELj37EENSt9enable_ifIXntsr10test_utilsE35device_test_enabled_for_warp_size_vIXT1_EEEvE4typeEPT_S7_,comdat
.Lfunc_end282:
	.size	_Z26warp_inclusive_scan_kernelIN10test_utils16custom_test_typeIfEELj1ELj37EENSt9enable_ifIXntsr10test_utilsE35device_test_enabled_for_warp_size_vIXT1_EEEvE4typeEPT_S7_, .Lfunc_end282-_Z26warp_inclusive_scan_kernelIN10test_utils16custom_test_typeIfEELj1ELj37EENSt9enable_ifIXntsr10test_utilsE35device_test_enabled_for_warp_size_vIXT1_EEEvE4typeEPT_S7_
                                        ; -- End function
	.section	.AMDGPU.csdata,"",@progbits
; Kernel info:
; codeLenInByte = 4
; NumSgprs: 0
; NumVgprs: 0
; ScratchSize: 0
; MemoryBound: 0
; FloatMode: 240
; IeeeMode: 1
; LDSByteSize: 0 bytes/workgroup (compile time only)
; SGPRBlocks: 0
; VGPRBlocks: 0
; NumSGPRsForWavesPerEU: 1
; NumVGPRsForWavesPerEU: 1
; Occupancy: 16
; WaveLimiterHint : 0
; COMPUTE_PGM_RSRC2:SCRATCH_EN: 0
; COMPUTE_PGM_RSRC2:USER_SGPR: 15
; COMPUTE_PGM_RSRC2:TRAP_HANDLER: 0
; COMPUTE_PGM_RSRC2:TGID_X_EN: 1
; COMPUTE_PGM_RSRC2:TGID_Y_EN: 0
; COMPUTE_PGM_RSRC2:TGID_Z_EN: 0
; COMPUTE_PGM_RSRC2:TIDIG_COMP_CNT: 0
	.section	.text._Z26warp_inclusive_scan_kernelIN10test_utils16custom_test_typeIfEELj37ELj37EENSt9enable_ifIXntsr10test_utilsE35device_test_enabled_for_warp_size_vIXT1_EEEvE4typeEPT_S7_,"axG",@progbits,_Z26warp_inclusive_scan_kernelIN10test_utils16custom_test_typeIfEELj37ELj37EENSt9enable_ifIXntsr10test_utilsE35device_test_enabled_for_warp_size_vIXT1_EEEvE4typeEPT_S7_,comdat
	.protected	_Z26warp_inclusive_scan_kernelIN10test_utils16custom_test_typeIfEELj37ELj37EENSt9enable_ifIXntsr10test_utilsE35device_test_enabled_for_warp_size_vIXT1_EEEvE4typeEPT_S7_ ; -- Begin function _Z26warp_inclusive_scan_kernelIN10test_utils16custom_test_typeIfEELj37ELj37EENSt9enable_ifIXntsr10test_utilsE35device_test_enabled_for_warp_size_vIXT1_EEEvE4typeEPT_S7_
	.globl	_Z26warp_inclusive_scan_kernelIN10test_utils16custom_test_typeIfEELj37ELj37EENSt9enable_ifIXntsr10test_utilsE35device_test_enabled_for_warp_size_vIXT1_EEEvE4typeEPT_S7_
	.p2align	8
	.type	_Z26warp_inclusive_scan_kernelIN10test_utils16custom_test_typeIfEELj37ELj37EENSt9enable_ifIXntsr10test_utilsE35device_test_enabled_for_warp_size_vIXT1_EEEvE4typeEPT_S7_,@function
_Z26warp_inclusive_scan_kernelIN10test_utils16custom_test_typeIfEELj37ELj37EENSt9enable_ifIXntsr10test_utilsE35device_test_enabled_for_warp_size_vIXT1_EEEvE4typeEPT_S7_: ; @_Z26warp_inclusive_scan_kernelIN10test_utils16custom_test_typeIfEELj37ELj37EENSt9enable_ifIXntsr10test_utilsE35device_test_enabled_for_warp_size_vIXT1_EEEvE4typeEPT_S7_
; %bb.0:
	s_endpgm
	.section	.rodata,"a",@progbits
	.p2align	6, 0x0
	.amdhsa_kernel _Z26warp_inclusive_scan_kernelIN10test_utils16custom_test_typeIfEELj37ELj37EENSt9enable_ifIXntsr10test_utilsE35device_test_enabled_for_warp_size_vIXT1_EEEvE4typeEPT_S7_
		.amdhsa_group_segment_fixed_size 0
		.amdhsa_private_segment_fixed_size 0
		.amdhsa_kernarg_size 16
		.amdhsa_user_sgpr_count 15
		.amdhsa_user_sgpr_dispatch_ptr 0
		.amdhsa_user_sgpr_queue_ptr 0
		.amdhsa_user_sgpr_kernarg_segment_ptr 1
		.amdhsa_user_sgpr_dispatch_id 0
		.amdhsa_user_sgpr_private_segment_size 0
		.amdhsa_wavefront_size32 1
		.amdhsa_uses_dynamic_stack 0
		.amdhsa_enable_private_segment 0
		.amdhsa_system_sgpr_workgroup_id_x 1
		.amdhsa_system_sgpr_workgroup_id_y 0
		.amdhsa_system_sgpr_workgroup_id_z 0
		.amdhsa_system_sgpr_workgroup_info 0
		.amdhsa_system_vgpr_workitem_id 0
		.amdhsa_next_free_vgpr 1
		.amdhsa_next_free_sgpr 1
		.amdhsa_reserve_vcc 0
		.amdhsa_float_round_mode_32 0
		.amdhsa_float_round_mode_16_64 0
		.amdhsa_float_denorm_mode_32 3
		.amdhsa_float_denorm_mode_16_64 3
		.amdhsa_dx10_clamp 1
		.amdhsa_ieee_mode 1
		.amdhsa_fp16_overflow 0
		.amdhsa_workgroup_processor_mode 1
		.amdhsa_memory_ordered 1
		.amdhsa_forward_progress 0
		.amdhsa_shared_vgpr_count 0
		.amdhsa_exception_fp_ieee_invalid_op 0
		.amdhsa_exception_fp_denorm_src 0
		.amdhsa_exception_fp_ieee_div_zero 0
		.amdhsa_exception_fp_ieee_overflow 0
		.amdhsa_exception_fp_ieee_underflow 0
		.amdhsa_exception_fp_ieee_inexact 0
		.amdhsa_exception_int_div_zero 0
	.end_amdhsa_kernel
	.section	.text._Z26warp_inclusive_scan_kernelIN10test_utils16custom_test_typeIfEELj37ELj37EENSt9enable_ifIXntsr10test_utilsE35device_test_enabled_for_warp_size_vIXT1_EEEvE4typeEPT_S7_,"axG",@progbits,_Z26warp_inclusive_scan_kernelIN10test_utils16custom_test_typeIfEELj37ELj37EENSt9enable_ifIXntsr10test_utilsE35device_test_enabled_for_warp_size_vIXT1_EEEvE4typeEPT_S7_,comdat
.Lfunc_end283:
	.size	_Z26warp_inclusive_scan_kernelIN10test_utils16custom_test_typeIfEELj37ELj37EENSt9enable_ifIXntsr10test_utilsE35device_test_enabled_for_warp_size_vIXT1_EEEvE4typeEPT_S7_, .Lfunc_end283-_Z26warp_inclusive_scan_kernelIN10test_utils16custom_test_typeIfEELj37ELj37EENSt9enable_ifIXntsr10test_utilsE35device_test_enabled_for_warp_size_vIXT1_EEEvE4typeEPT_S7_
                                        ; -- End function
	.section	.AMDGPU.csdata,"",@progbits
; Kernel info:
; codeLenInByte = 4
; NumSgprs: 0
; NumVgprs: 0
; ScratchSize: 0
; MemoryBound: 0
; FloatMode: 240
; IeeeMode: 1
; LDSByteSize: 0 bytes/workgroup (compile time only)
; SGPRBlocks: 0
; VGPRBlocks: 0
; NumSGPRsForWavesPerEU: 1
; NumVGPRsForWavesPerEU: 1
; Occupancy: 16
; WaveLimiterHint : 0
; COMPUTE_PGM_RSRC2:SCRATCH_EN: 0
; COMPUTE_PGM_RSRC2:USER_SGPR: 15
; COMPUTE_PGM_RSRC2:TRAP_HANDLER: 0
; COMPUTE_PGM_RSRC2:TGID_X_EN: 1
; COMPUTE_PGM_RSRC2:TGID_Y_EN: 0
; COMPUTE_PGM_RSRC2:TGID_Z_EN: 0
; COMPUTE_PGM_RSRC2:TIDIG_COMP_CNT: 0
	.section	.text._Z26warp_inclusive_scan_kernelIN10test_utils16custom_test_typeIfEELj30ELj15EENSt9enable_ifIXsr10test_utilsE35device_test_enabled_for_warp_size_vIXT1_EEEvE4typeEPT_S7_,"axG",@progbits,_Z26warp_inclusive_scan_kernelIN10test_utils16custom_test_typeIfEELj30ELj15EENSt9enable_ifIXsr10test_utilsE35device_test_enabled_for_warp_size_vIXT1_EEEvE4typeEPT_S7_,comdat
	.protected	_Z26warp_inclusive_scan_kernelIN10test_utils16custom_test_typeIfEELj30ELj15EENSt9enable_ifIXsr10test_utilsE35device_test_enabled_for_warp_size_vIXT1_EEEvE4typeEPT_S7_ ; -- Begin function _Z26warp_inclusive_scan_kernelIN10test_utils16custom_test_typeIfEELj30ELj15EENSt9enable_ifIXsr10test_utilsE35device_test_enabled_for_warp_size_vIXT1_EEEvE4typeEPT_S7_
	.globl	_Z26warp_inclusive_scan_kernelIN10test_utils16custom_test_typeIfEELj30ELj15EENSt9enable_ifIXsr10test_utilsE35device_test_enabled_for_warp_size_vIXT1_EEEvE4typeEPT_S7_
	.p2align	8
	.type	_Z26warp_inclusive_scan_kernelIN10test_utils16custom_test_typeIfEELj30ELj15EENSt9enable_ifIXsr10test_utilsE35device_test_enabled_for_warp_size_vIXT1_EEEvE4typeEPT_S7_,@function
_Z26warp_inclusive_scan_kernelIN10test_utils16custom_test_typeIfEELj30ELj15EENSt9enable_ifIXsr10test_utilsE35device_test_enabled_for_warp_size_vIXT1_EEEvE4typeEPT_S7_: ; @_Z26warp_inclusive_scan_kernelIN10test_utils16custom_test_typeIfEELj30ELj15EENSt9enable_ifIXsr10test_utilsE35device_test_enabled_for_warp_size_vIXT1_EEEvE4typeEPT_S7_
; %bb.0:
	s_clause 0x1
	s_load_b32 s4, s[0:1], 0x1c
	s_load_b128 s[0:3], s[0:1], 0x0
	v_mbcnt_lo_u32_b32 v5, -1, 0
	s_delay_alu instid0(VALU_DEP_1) | instskip(NEXT) | instid1(VALU_DEP_1)
	v_mul_hi_u32 v6, 0x11111112, v5
	v_mul_u32_u24_e32 v6, 15, v6
	s_delay_alu instid0(VALU_DEP_1) | instskip(SKIP_2) | instid1(SALU_CYCLE_1)
	v_sub_nc_u32_e32 v5, v5, v6
	s_waitcnt lgkmcnt(0)
	s_and_b32 s4, s4, 0xffff
	v_mad_u64_u32 v[1:2], null, s15, s4, v[0:1]
	v_mov_b32_e32 v2, 0
	v_mul_u32_u24_e32 v0, 0x1112, v0
	v_lshlrev_b32_e32 v6, 3, v5
	s_delay_alu instid0(VALU_DEP_2) | instskip(NEXT) | instid1(VALU_DEP_4)
	v_lshrrev_b32_e32 v0, 16, v0
	v_lshlrev_b64 v[3:4], 3, v[1:2]
	s_delay_alu instid0(VALU_DEP_2) | instskip(NEXT) | instid1(VALU_DEP_2)
	v_mad_u32_u24 v0, 0x78, v0, v6
	v_add_co_u32 v1, vcc_lo, s0, v3
	s_delay_alu instid0(VALU_DEP_3)
	v_add_co_ci_u32_e32 v2, vcc_lo, s1, v4, vcc_lo
	v_cmp_ne_u32_e32 vcc_lo, 0, v5
	global_load_b64 v[1:2], v[1:2], off
	s_waitcnt vmcnt(0)
	ds_store_2addr_b32 v0, v1, v2 offset1:1
	; wave barrier
	s_and_saveexec_b32 s0, vcc_lo
	s_cbranch_execz .LBB284_2
; %bb.1:
	v_add_nc_u32_e32 v6, -8, v0
	ds_load_2addr_b32 v[6:7], v6 offset1:1
	s_waitcnt lgkmcnt(0)
	v_dual_add_f32 v1, v6, v1 :: v_dual_add_f32 v2, v7, v2
.LBB284_2:
	s_or_b32 exec_lo, exec_lo, s0
	; wave barrier
	s_and_saveexec_b32 s0, vcc_lo
	s_cbranch_execz .LBB284_4
; %bb.3:
	ds_store_2addr_b32 v0, v1, v2 offset1:1
.LBB284_4:
	s_or_b32 exec_lo, exec_lo, s0
	v_cmp_lt_u32_e32 vcc_lo, 1, v5
	; wave barrier
	s_and_saveexec_b32 s0, vcc_lo
	s_cbranch_execz .LBB284_6
; %bb.5:
	v_add_nc_u32_e32 v6, -16, v0
	ds_load_2addr_b32 v[6:7], v6 offset1:1
	s_waitcnt lgkmcnt(0)
	v_dual_add_f32 v1, v1, v6 :: v_dual_add_f32 v2, v2, v7
.LBB284_6:
	s_or_b32 exec_lo, exec_lo, s0
	; wave barrier
	s_and_saveexec_b32 s0, vcc_lo
	s_cbranch_execz .LBB284_8
; %bb.7:
	ds_store_2addr_b32 v0, v1, v2 offset1:1
.LBB284_8:
	s_or_b32 exec_lo, exec_lo, s0
	v_cmp_lt_u32_e32 vcc_lo, 3, v5
	; wave barrier
	s_and_saveexec_b32 s0, vcc_lo
	s_cbranch_execz .LBB284_10
; %bb.9:
	v_subrev_nc_u32_e32 v6, 32, v0
	ds_load_2addr_b32 v[6:7], v6 offset1:1
	s_waitcnt lgkmcnt(0)
	v_dual_add_f32 v1, v1, v6 :: v_dual_add_f32 v2, v2, v7
.LBB284_10:
	s_or_b32 exec_lo, exec_lo, s0
	; wave barrier
	s_and_saveexec_b32 s0, vcc_lo
	s_cbranch_execz .LBB284_12
; %bb.11:
	ds_store_2addr_b32 v0, v1, v2 offset1:1
.LBB284_12:
	s_or_b32 exec_lo, exec_lo, s0
	v_cmp_lt_u32_e32 vcc_lo, 7, v5
	; wave barrier
	s_and_saveexec_b32 s0, vcc_lo
	s_cbranch_execz .LBB284_14
; %bb.13:
	v_subrev_nc_u32_e32 v5, 64, v0
	ds_load_2addr_b32 v[5:6], v5 offset1:1
	s_waitcnt lgkmcnt(0)
	v_dual_add_f32 v1, v1, v5 :: v_dual_add_f32 v2, v2, v6
.LBB284_14:
	s_or_b32 exec_lo, exec_lo, s0
	; wave barrier
	s_and_saveexec_b32 s0, vcc_lo
	s_cbranch_execz .LBB284_16
; %bb.15:
	ds_store_2addr_b32 v0, v1, v2 offset1:1
.LBB284_16:
	s_or_b32 exec_lo, exec_lo, s0
	v_add_co_u32 v3, vcc_lo, s2, v3
	v_add_co_ci_u32_e32 v4, vcc_lo, s3, v4, vcc_lo
	; wave barrier
	global_store_b64 v[3:4], v[1:2], off
	s_nop 0
	s_sendmsg sendmsg(MSG_DEALLOC_VGPRS)
	s_endpgm
	.section	.rodata,"a",@progbits
	.p2align	6, 0x0
	.amdhsa_kernel _Z26warp_inclusive_scan_kernelIN10test_utils16custom_test_typeIfEELj30ELj15EENSt9enable_ifIXsr10test_utilsE35device_test_enabled_for_warp_size_vIXT1_EEEvE4typeEPT_S7_
		.amdhsa_group_segment_fixed_size 240
		.amdhsa_private_segment_fixed_size 0
		.amdhsa_kernarg_size 272
		.amdhsa_user_sgpr_count 15
		.amdhsa_user_sgpr_dispatch_ptr 0
		.amdhsa_user_sgpr_queue_ptr 0
		.amdhsa_user_sgpr_kernarg_segment_ptr 1
		.amdhsa_user_sgpr_dispatch_id 0
		.amdhsa_user_sgpr_private_segment_size 0
		.amdhsa_wavefront_size32 1
		.amdhsa_uses_dynamic_stack 0
		.amdhsa_enable_private_segment 0
		.amdhsa_system_sgpr_workgroup_id_x 1
		.amdhsa_system_sgpr_workgroup_id_y 0
		.amdhsa_system_sgpr_workgroup_id_z 0
		.amdhsa_system_sgpr_workgroup_info 0
		.amdhsa_system_vgpr_workitem_id 0
		.amdhsa_next_free_vgpr 8
		.amdhsa_next_free_sgpr 16
		.amdhsa_reserve_vcc 1
		.amdhsa_float_round_mode_32 0
		.amdhsa_float_round_mode_16_64 0
		.amdhsa_float_denorm_mode_32 3
		.amdhsa_float_denorm_mode_16_64 3
		.amdhsa_dx10_clamp 1
		.amdhsa_ieee_mode 1
		.amdhsa_fp16_overflow 0
		.amdhsa_workgroup_processor_mode 1
		.amdhsa_memory_ordered 1
		.amdhsa_forward_progress 0
		.amdhsa_shared_vgpr_count 0
		.amdhsa_exception_fp_ieee_invalid_op 0
		.amdhsa_exception_fp_denorm_src 0
		.amdhsa_exception_fp_ieee_div_zero 0
		.amdhsa_exception_fp_ieee_overflow 0
		.amdhsa_exception_fp_ieee_underflow 0
		.amdhsa_exception_fp_ieee_inexact 0
		.amdhsa_exception_int_div_zero 0
	.end_amdhsa_kernel
	.section	.text._Z26warp_inclusive_scan_kernelIN10test_utils16custom_test_typeIfEELj30ELj15EENSt9enable_ifIXsr10test_utilsE35device_test_enabled_for_warp_size_vIXT1_EEEvE4typeEPT_S7_,"axG",@progbits,_Z26warp_inclusive_scan_kernelIN10test_utils16custom_test_typeIfEELj30ELj15EENSt9enable_ifIXsr10test_utilsE35device_test_enabled_for_warp_size_vIXT1_EEEvE4typeEPT_S7_,comdat
.Lfunc_end284:
	.size	_Z26warp_inclusive_scan_kernelIN10test_utils16custom_test_typeIfEELj30ELj15EENSt9enable_ifIXsr10test_utilsE35device_test_enabled_for_warp_size_vIXT1_EEEvE4typeEPT_S7_, .Lfunc_end284-_Z26warp_inclusive_scan_kernelIN10test_utils16custom_test_typeIfEELj30ELj15EENSt9enable_ifIXsr10test_utilsE35device_test_enabled_for_warp_size_vIXT1_EEEvE4typeEPT_S7_
                                        ; -- End function
	.section	.AMDGPU.csdata,"",@progbits
; Kernel info:
; codeLenInByte = 432
; NumSgprs: 18
; NumVgprs: 8
; ScratchSize: 0
; MemoryBound: 0
; FloatMode: 240
; IeeeMode: 1
; LDSByteSize: 240 bytes/workgroup (compile time only)
; SGPRBlocks: 2
; VGPRBlocks: 0
; NumSGPRsForWavesPerEU: 18
; NumVGPRsForWavesPerEU: 8
; Occupancy: 16
; WaveLimiterHint : 0
; COMPUTE_PGM_RSRC2:SCRATCH_EN: 0
; COMPUTE_PGM_RSRC2:USER_SGPR: 15
; COMPUTE_PGM_RSRC2:TRAP_HANDLER: 0
; COMPUTE_PGM_RSRC2:TGID_X_EN: 1
; COMPUTE_PGM_RSRC2:TGID_Y_EN: 0
; COMPUTE_PGM_RSRC2:TGID_Z_EN: 0
; COMPUTE_PGM_RSRC2:TIDIG_COMP_CNT: 0
	.section	.text._Z26warp_inclusive_scan_kernelIN10test_utils16custom_test_typeIfEELj60ELj15EENSt9enable_ifIXsr10test_utilsE35device_test_enabled_for_warp_size_vIXT1_EEEvE4typeEPT_S7_,"axG",@progbits,_Z26warp_inclusive_scan_kernelIN10test_utils16custom_test_typeIfEELj60ELj15EENSt9enable_ifIXsr10test_utilsE35device_test_enabled_for_warp_size_vIXT1_EEEvE4typeEPT_S7_,comdat
	.protected	_Z26warp_inclusive_scan_kernelIN10test_utils16custom_test_typeIfEELj60ELj15EENSt9enable_ifIXsr10test_utilsE35device_test_enabled_for_warp_size_vIXT1_EEEvE4typeEPT_S7_ ; -- Begin function _Z26warp_inclusive_scan_kernelIN10test_utils16custom_test_typeIfEELj60ELj15EENSt9enable_ifIXsr10test_utilsE35device_test_enabled_for_warp_size_vIXT1_EEEvE4typeEPT_S7_
	.globl	_Z26warp_inclusive_scan_kernelIN10test_utils16custom_test_typeIfEELj60ELj15EENSt9enable_ifIXsr10test_utilsE35device_test_enabled_for_warp_size_vIXT1_EEEvE4typeEPT_S7_
	.p2align	8
	.type	_Z26warp_inclusive_scan_kernelIN10test_utils16custom_test_typeIfEELj60ELj15EENSt9enable_ifIXsr10test_utilsE35device_test_enabled_for_warp_size_vIXT1_EEEvE4typeEPT_S7_,@function
_Z26warp_inclusive_scan_kernelIN10test_utils16custom_test_typeIfEELj60ELj15EENSt9enable_ifIXsr10test_utilsE35device_test_enabled_for_warp_size_vIXT1_EEEvE4typeEPT_S7_: ; @_Z26warp_inclusive_scan_kernelIN10test_utils16custom_test_typeIfEELj60ELj15EENSt9enable_ifIXsr10test_utilsE35device_test_enabled_for_warp_size_vIXT1_EEEvE4typeEPT_S7_
; %bb.0:
	s_clause 0x1
	s_load_b32 s4, s[0:1], 0x1c
	s_load_b128 s[0:3], s[0:1], 0x0
	v_mbcnt_lo_u32_b32 v5, -1, 0
	s_delay_alu instid0(VALU_DEP_1) | instskip(NEXT) | instid1(VALU_DEP_1)
	v_mul_hi_u32 v6, 0x11111112, v5
	v_mul_u32_u24_e32 v6, 15, v6
	s_delay_alu instid0(VALU_DEP_1) | instskip(SKIP_2) | instid1(SALU_CYCLE_1)
	v_sub_nc_u32_e32 v5, v5, v6
	s_waitcnt lgkmcnt(0)
	s_and_b32 s4, s4, 0xffff
	v_mad_u64_u32 v[1:2], null, s15, s4, v[0:1]
	v_mov_b32_e32 v2, 0
	v_mul_u32_u24_e32 v0, 0x1112, v0
	v_lshlrev_b32_e32 v6, 3, v5
	s_delay_alu instid0(VALU_DEP_2) | instskip(NEXT) | instid1(VALU_DEP_4)
	v_lshrrev_b32_e32 v0, 16, v0
	v_lshlrev_b64 v[3:4], 3, v[1:2]
	s_delay_alu instid0(VALU_DEP_2) | instskip(NEXT) | instid1(VALU_DEP_2)
	v_mad_u32_u24 v0, 0x78, v0, v6
	v_add_co_u32 v1, vcc_lo, s0, v3
	s_delay_alu instid0(VALU_DEP_3)
	v_add_co_ci_u32_e32 v2, vcc_lo, s1, v4, vcc_lo
	v_cmp_ne_u32_e32 vcc_lo, 0, v5
	global_load_b64 v[1:2], v[1:2], off
	s_waitcnt vmcnt(0)
	ds_store_2addr_b32 v0, v1, v2 offset1:1
	; wave barrier
	s_and_saveexec_b32 s0, vcc_lo
	s_cbranch_execz .LBB285_2
; %bb.1:
	v_add_nc_u32_e32 v6, -8, v0
	ds_load_2addr_b32 v[6:7], v6 offset1:1
	s_waitcnt lgkmcnt(0)
	v_dual_add_f32 v1, v6, v1 :: v_dual_add_f32 v2, v7, v2
.LBB285_2:
	s_or_b32 exec_lo, exec_lo, s0
	; wave barrier
	s_and_saveexec_b32 s0, vcc_lo
	s_cbranch_execz .LBB285_4
; %bb.3:
	ds_store_2addr_b32 v0, v1, v2 offset1:1
.LBB285_4:
	s_or_b32 exec_lo, exec_lo, s0
	v_cmp_lt_u32_e32 vcc_lo, 1, v5
	; wave barrier
	s_and_saveexec_b32 s0, vcc_lo
	s_cbranch_execz .LBB285_6
; %bb.5:
	v_add_nc_u32_e32 v6, -16, v0
	ds_load_2addr_b32 v[6:7], v6 offset1:1
	s_waitcnt lgkmcnt(0)
	v_dual_add_f32 v1, v1, v6 :: v_dual_add_f32 v2, v2, v7
.LBB285_6:
	s_or_b32 exec_lo, exec_lo, s0
	; wave barrier
	s_and_saveexec_b32 s0, vcc_lo
	s_cbranch_execz .LBB285_8
; %bb.7:
	ds_store_2addr_b32 v0, v1, v2 offset1:1
.LBB285_8:
	s_or_b32 exec_lo, exec_lo, s0
	v_cmp_lt_u32_e32 vcc_lo, 3, v5
	; wave barrier
	s_and_saveexec_b32 s0, vcc_lo
	s_cbranch_execz .LBB285_10
; %bb.9:
	v_subrev_nc_u32_e32 v6, 32, v0
	ds_load_2addr_b32 v[6:7], v6 offset1:1
	s_waitcnt lgkmcnt(0)
	v_dual_add_f32 v1, v1, v6 :: v_dual_add_f32 v2, v2, v7
.LBB285_10:
	s_or_b32 exec_lo, exec_lo, s0
	; wave barrier
	s_and_saveexec_b32 s0, vcc_lo
	s_cbranch_execz .LBB285_12
; %bb.11:
	ds_store_2addr_b32 v0, v1, v2 offset1:1
.LBB285_12:
	s_or_b32 exec_lo, exec_lo, s0
	v_cmp_lt_u32_e32 vcc_lo, 7, v5
	; wave barrier
	s_and_saveexec_b32 s0, vcc_lo
	s_cbranch_execz .LBB285_14
; %bb.13:
	v_subrev_nc_u32_e32 v5, 64, v0
	ds_load_2addr_b32 v[5:6], v5 offset1:1
	s_waitcnt lgkmcnt(0)
	v_dual_add_f32 v1, v1, v5 :: v_dual_add_f32 v2, v2, v6
.LBB285_14:
	s_or_b32 exec_lo, exec_lo, s0
	; wave barrier
	s_and_saveexec_b32 s0, vcc_lo
	s_cbranch_execz .LBB285_16
; %bb.15:
	ds_store_2addr_b32 v0, v1, v2 offset1:1
.LBB285_16:
	s_or_b32 exec_lo, exec_lo, s0
	v_add_co_u32 v3, vcc_lo, s2, v3
	v_add_co_ci_u32_e32 v4, vcc_lo, s3, v4, vcc_lo
	; wave barrier
	global_store_b64 v[3:4], v[1:2], off
	s_nop 0
	s_sendmsg sendmsg(MSG_DEALLOC_VGPRS)
	s_endpgm
	.section	.rodata,"a",@progbits
	.p2align	6, 0x0
	.amdhsa_kernel _Z26warp_inclusive_scan_kernelIN10test_utils16custom_test_typeIfEELj60ELj15EENSt9enable_ifIXsr10test_utilsE35device_test_enabled_for_warp_size_vIXT1_EEEvE4typeEPT_S7_
		.amdhsa_group_segment_fixed_size 480
		.amdhsa_private_segment_fixed_size 0
		.amdhsa_kernarg_size 272
		.amdhsa_user_sgpr_count 15
		.amdhsa_user_sgpr_dispatch_ptr 0
		.amdhsa_user_sgpr_queue_ptr 0
		.amdhsa_user_sgpr_kernarg_segment_ptr 1
		.amdhsa_user_sgpr_dispatch_id 0
		.amdhsa_user_sgpr_private_segment_size 0
		.amdhsa_wavefront_size32 1
		.amdhsa_uses_dynamic_stack 0
		.amdhsa_enable_private_segment 0
		.amdhsa_system_sgpr_workgroup_id_x 1
		.amdhsa_system_sgpr_workgroup_id_y 0
		.amdhsa_system_sgpr_workgroup_id_z 0
		.amdhsa_system_sgpr_workgroup_info 0
		.amdhsa_system_vgpr_workitem_id 0
		.amdhsa_next_free_vgpr 8
		.amdhsa_next_free_sgpr 16
		.amdhsa_reserve_vcc 1
		.amdhsa_float_round_mode_32 0
		.amdhsa_float_round_mode_16_64 0
		.amdhsa_float_denorm_mode_32 3
		.amdhsa_float_denorm_mode_16_64 3
		.amdhsa_dx10_clamp 1
		.amdhsa_ieee_mode 1
		.amdhsa_fp16_overflow 0
		.amdhsa_workgroup_processor_mode 1
		.amdhsa_memory_ordered 1
		.amdhsa_forward_progress 0
		.amdhsa_shared_vgpr_count 0
		.amdhsa_exception_fp_ieee_invalid_op 0
		.amdhsa_exception_fp_denorm_src 0
		.amdhsa_exception_fp_ieee_div_zero 0
		.amdhsa_exception_fp_ieee_overflow 0
		.amdhsa_exception_fp_ieee_underflow 0
		.amdhsa_exception_fp_ieee_inexact 0
		.amdhsa_exception_int_div_zero 0
	.end_amdhsa_kernel
	.section	.text._Z26warp_inclusive_scan_kernelIN10test_utils16custom_test_typeIfEELj60ELj15EENSt9enable_ifIXsr10test_utilsE35device_test_enabled_for_warp_size_vIXT1_EEEvE4typeEPT_S7_,"axG",@progbits,_Z26warp_inclusive_scan_kernelIN10test_utils16custom_test_typeIfEELj60ELj15EENSt9enable_ifIXsr10test_utilsE35device_test_enabled_for_warp_size_vIXT1_EEEvE4typeEPT_S7_,comdat
.Lfunc_end285:
	.size	_Z26warp_inclusive_scan_kernelIN10test_utils16custom_test_typeIfEELj60ELj15EENSt9enable_ifIXsr10test_utilsE35device_test_enabled_for_warp_size_vIXT1_EEEvE4typeEPT_S7_, .Lfunc_end285-_Z26warp_inclusive_scan_kernelIN10test_utils16custom_test_typeIfEELj60ELj15EENSt9enable_ifIXsr10test_utilsE35device_test_enabled_for_warp_size_vIXT1_EEEvE4typeEPT_S7_
                                        ; -- End function
	.section	.AMDGPU.csdata,"",@progbits
; Kernel info:
; codeLenInByte = 432
; NumSgprs: 18
; NumVgprs: 8
; ScratchSize: 0
; MemoryBound: 0
; FloatMode: 240
; IeeeMode: 1
; LDSByteSize: 480 bytes/workgroup (compile time only)
; SGPRBlocks: 2
; VGPRBlocks: 0
; NumSGPRsForWavesPerEU: 18
; NumVGPRsForWavesPerEU: 8
; Occupancy: 16
; WaveLimiterHint : 0
; COMPUTE_PGM_RSRC2:SCRATCH_EN: 0
; COMPUTE_PGM_RSRC2:USER_SGPR: 15
; COMPUTE_PGM_RSRC2:TRAP_HANDLER: 0
; COMPUTE_PGM_RSRC2:TGID_X_EN: 1
; COMPUTE_PGM_RSRC2:TGID_Y_EN: 0
; COMPUTE_PGM_RSRC2:TGID_Z_EN: 0
; COMPUTE_PGM_RSRC2:TIDIG_COMP_CNT: 0
	.section	.text._Z26warp_inclusive_scan_kernelIN10test_utils16custom_test_typeIfEELj28ELj7EENSt9enable_ifIXsr10test_utilsE35device_test_enabled_for_warp_size_vIXT1_EEEvE4typeEPT_S7_,"axG",@progbits,_Z26warp_inclusive_scan_kernelIN10test_utils16custom_test_typeIfEELj28ELj7EENSt9enable_ifIXsr10test_utilsE35device_test_enabled_for_warp_size_vIXT1_EEEvE4typeEPT_S7_,comdat
	.protected	_Z26warp_inclusive_scan_kernelIN10test_utils16custom_test_typeIfEELj28ELj7EENSt9enable_ifIXsr10test_utilsE35device_test_enabled_for_warp_size_vIXT1_EEEvE4typeEPT_S7_ ; -- Begin function _Z26warp_inclusive_scan_kernelIN10test_utils16custom_test_typeIfEELj28ELj7EENSt9enable_ifIXsr10test_utilsE35device_test_enabled_for_warp_size_vIXT1_EEEvE4typeEPT_S7_
	.globl	_Z26warp_inclusive_scan_kernelIN10test_utils16custom_test_typeIfEELj28ELj7EENSt9enable_ifIXsr10test_utilsE35device_test_enabled_for_warp_size_vIXT1_EEEvE4typeEPT_S7_
	.p2align	8
	.type	_Z26warp_inclusive_scan_kernelIN10test_utils16custom_test_typeIfEELj28ELj7EENSt9enable_ifIXsr10test_utilsE35device_test_enabled_for_warp_size_vIXT1_EEEvE4typeEPT_S7_,@function
_Z26warp_inclusive_scan_kernelIN10test_utils16custom_test_typeIfEELj28ELj7EENSt9enable_ifIXsr10test_utilsE35device_test_enabled_for_warp_size_vIXT1_EEEvE4typeEPT_S7_: ; @_Z26warp_inclusive_scan_kernelIN10test_utils16custom_test_typeIfEELj28ELj7EENSt9enable_ifIXsr10test_utilsE35device_test_enabled_for_warp_size_vIXT1_EEEvE4typeEPT_S7_
; %bb.0:
	s_clause 0x1
	s_load_b32 s4, s[0:1], 0x1c
	s_load_b128 s[0:3], s[0:1], 0x0
	v_mbcnt_lo_u32_b32 v5, -1, 0
	s_delay_alu instid0(VALU_DEP_1) | instskip(NEXT) | instid1(VALU_DEP_1)
	v_mul_hi_u32 v6, 0x24924925, v5
	v_mul_u32_u24_e32 v6, 7, v6
	s_delay_alu instid0(VALU_DEP_1) | instskip(SKIP_2) | instid1(SALU_CYCLE_1)
	v_sub_nc_u32_e32 v5, v5, v6
	s_waitcnt lgkmcnt(0)
	s_and_b32 s4, s4, 0xffff
	v_mad_u64_u32 v[1:2], null, s15, s4, v[0:1]
	v_mov_b32_e32 v2, 0
	v_mul_u32_u24_e32 v0, 0x2493, v0
	v_lshlrev_b32_e32 v6, 3, v5
	s_delay_alu instid0(VALU_DEP_2) | instskip(NEXT) | instid1(VALU_DEP_4)
	v_lshrrev_b32_e32 v0, 16, v0
	v_lshlrev_b64 v[3:4], 3, v[1:2]
	s_delay_alu instid0(VALU_DEP_2) | instskip(NEXT) | instid1(VALU_DEP_2)
	v_mad_u32_u24 v0, v0, 56, v6
	v_add_co_u32 v1, vcc_lo, s0, v3
	s_delay_alu instid0(VALU_DEP_3)
	v_add_co_ci_u32_e32 v2, vcc_lo, s1, v4, vcc_lo
	v_cmp_ne_u32_e32 vcc_lo, 0, v5
	global_load_b64 v[1:2], v[1:2], off
	s_waitcnt vmcnt(0)
	ds_store_2addr_b32 v0, v1, v2 offset1:1
	; wave barrier
	s_and_saveexec_b32 s0, vcc_lo
	s_cbranch_execz .LBB286_2
; %bb.1:
	v_add_nc_u32_e32 v6, -8, v0
	ds_load_2addr_b32 v[6:7], v6 offset1:1
	s_waitcnt lgkmcnt(0)
	v_dual_add_f32 v1, v6, v1 :: v_dual_add_f32 v2, v7, v2
.LBB286_2:
	s_or_b32 exec_lo, exec_lo, s0
	; wave barrier
	s_and_saveexec_b32 s0, vcc_lo
	s_cbranch_execz .LBB286_4
; %bb.3:
	ds_store_2addr_b32 v0, v1, v2 offset1:1
.LBB286_4:
	s_or_b32 exec_lo, exec_lo, s0
	v_cmp_lt_u32_e32 vcc_lo, 1, v5
	; wave barrier
	s_and_saveexec_b32 s0, vcc_lo
	s_cbranch_execz .LBB286_6
; %bb.5:
	v_add_nc_u32_e32 v6, -16, v0
	ds_load_2addr_b32 v[6:7], v6 offset1:1
	s_waitcnt lgkmcnt(0)
	v_dual_add_f32 v1, v1, v6 :: v_dual_add_f32 v2, v2, v7
.LBB286_6:
	s_or_b32 exec_lo, exec_lo, s0
	; wave barrier
	s_and_saveexec_b32 s0, vcc_lo
	s_cbranch_execz .LBB286_8
; %bb.7:
	ds_store_2addr_b32 v0, v1, v2 offset1:1
.LBB286_8:
	s_or_b32 exec_lo, exec_lo, s0
	v_cmp_lt_u32_e32 vcc_lo, 3, v5
	; wave barrier
	s_and_saveexec_b32 s0, vcc_lo
	s_cbranch_execz .LBB286_10
; %bb.9:
	v_subrev_nc_u32_e32 v5, 32, v0
	ds_load_2addr_b32 v[5:6], v5 offset1:1
	s_waitcnt lgkmcnt(0)
	v_dual_add_f32 v1, v1, v5 :: v_dual_add_f32 v2, v2, v6
.LBB286_10:
	s_or_b32 exec_lo, exec_lo, s0
	; wave barrier
	s_and_saveexec_b32 s0, vcc_lo
	s_cbranch_execz .LBB286_12
; %bb.11:
	ds_store_2addr_b32 v0, v1, v2 offset1:1
.LBB286_12:
	s_or_b32 exec_lo, exec_lo, s0
	v_add_co_u32 v3, vcc_lo, s2, v3
	v_add_co_ci_u32_e32 v4, vcc_lo, s3, v4, vcc_lo
	; wave barrier
	global_store_b64 v[3:4], v[1:2], off
	s_nop 0
	s_sendmsg sendmsg(MSG_DEALLOC_VGPRS)
	s_endpgm
	.section	.rodata,"a",@progbits
	.p2align	6, 0x0
	.amdhsa_kernel _Z26warp_inclusive_scan_kernelIN10test_utils16custom_test_typeIfEELj28ELj7EENSt9enable_ifIXsr10test_utilsE35device_test_enabled_for_warp_size_vIXT1_EEEvE4typeEPT_S7_
		.amdhsa_group_segment_fixed_size 224
		.amdhsa_private_segment_fixed_size 0
		.amdhsa_kernarg_size 272
		.amdhsa_user_sgpr_count 15
		.amdhsa_user_sgpr_dispatch_ptr 0
		.amdhsa_user_sgpr_queue_ptr 0
		.amdhsa_user_sgpr_kernarg_segment_ptr 1
		.amdhsa_user_sgpr_dispatch_id 0
		.amdhsa_user_sgpr_private_segment_size 0
		.amdhsa_wavefront_size32 1
		.amdhsa_uses_dynamic_stack 0
		.amdhsa_enable_private_segment 0
		.amdhsa_system_sgpr_workgroup_id_x 1
		.amdhsa_system_sgpr_workgroup_id_y 0
		.amdhsa_system_sgpr_workgroup_id_z 0
		.amdhsa_system_sgpr_workgroup_info 0
		.amdhsa_system_vgpr_workitem_id 0
		.amdhsa_next_free_vgpr 8
		.amdhsa_next_free_sgpr 16
		.amdhsa_reserve_vcc 1
		.amdhsa_float_round_mode_32 0
		.amdhsa_float_round_mode_16_64 0
		.amdhsa_float_denorm_mode_32 3
		.amdhsa_float_denorm_mode_16_64 3
		.amdhsa_dx10_clamp 1
		.amdhsa_ieee_mode 1
		.amdhsa_fp16_overflow 0
		.amdhsa_workgroup_processor_mode 1
		.amdhsa_memory_ordered 1
		.amdhsa_forward_progress 0
		.amdhsa_shared_vgpr_count 0
		.amdhsa_exception_fp_ieee_invalid_op 0
		.amdhsa_exception_fp_denorm_src 0
		.amdhsa_exception_fp_ieee_div_zero 0
		.amdhsa_exception_fp_ieee_overflow 0
		.amdhsa_exception_fp_ieee_underflow 0
		.amdhsa_exception_fp_ieee_inexact 0
		.amdhsa_exception_int_div_zero 0
	.end_amdhsa_kernel
	.section	.text._Z26warp_inclusive_scan_kernelIN10test_utils16custom_test_typeIfEELj28ELj7EENSt9enable_ifIXsr10test_utilsE35device_test_enabled_for_warp_size_vIXT1_EEEvE4typeEPT_S7_,"axG",@progbits,_Z26warp_inclusive_scan_kernelIN10test_utils16custom_test_typeIfEELj28ELj7EENSt9enable_ifIXsr10test_utilsE35device_test_enabled_for_warp_size_vIXT1_EEEvE4typeEPT_S7_,comdat
.Lfunc_end286:
	.size	_Z26warp_inclusive_scan_kernelIN10test_utils16custom_test_typeIfEELj28ELj7EENSt9enable_ifIXsr10test_utilsE35device_test_enabled_for_warp_size_vIXT1_EEEvE4typeEPT_S7_, .Lfunc_end286-_Z26warp_inclusive_scan_kernelIN10test_utils16custom_test_typeIfEELj28ELj7EENSt9enable_ifIXsr10test_utilsE35device_test_enabled_for_warp_size_vIXT1_EEEvE4typeEPT_S7_
                                        ; -- End function
	.section	.AMDGPU.csdata,"",@progbits
; Kernel info:
; codeLenInByte = 368
; NumSgprs: 18
; NumVgprs: 8
; ScratchSize: 0
; MemoryBound: 0
; FloatMode: 240
; IeeeMode: 1
; LDSByteSize: 224 bytes/workgroup (compile time only)
; SGPRBlocks: 2
; VGPRBlocks: 0
; NumSGPRsForWavesPerEU: 18
; NumVGPRsForWavesPerEU: 8
; Occupancy: 16
; WaveLimiterHint : 0
; COMPUTE_PGM_RSRC2:SCRATCH_EN: 0
; COMPUTE_PGM_RSRC2:USER_SGPR: 15
; COMPUTE_PGM_RSRC2:TRAP_HANDLER: 0
; COMPUTE_PGM_RSRC2:TGID_X_EN: 1
; COMPUTE_PGM_RSRC2:TGID_Y_EN: 0
; COMPUTE_PGM_RSRC2:TGID_Z_EN: 0
; COMPUTE_PGM_RSRC2:TIDIG_COMP_CNT: 0
	.section	.text._Z26warp_inclusive_scan_kernelIN10test_utils16custom_test_typeIfEELj63ELj7EENSt9enable_ifIXsr10test_utilsE35device_test_enabled_for_warp_size_vIXT1_EEEvE4typeEPT_S7_,"axG",@progbits,_Z26warp_inclusive_scan_kernelIN10test_utils16custom_test_typeIfEELj63ELj7EENSt9enable_ifIXsr10test_utilsE35device_test_enabled_for_warp_size_vIXT1_EEEvE4typeEPT_S7_,comdat
	.protected	_Z26warp_inclusive_scan_kernelIN10test_utils16custom_test_typeIfEELj63ELj7EENSt9enable_ifIXsr10test_utilsE35device_test_enabled_for_warp_size_vIXT1_EEEvE4typeEPT_S7_ ; -- Begin function _Z26warp_inclusive_scan_kernelIN10test_utils16custom_test_typeIfEELj63ELj7EENSt9enable_ifIXsr10test_utilsE35device_test_enabled_for_warp_size_vIXT1_EEEvE4typeEPT_S7_
	.globl	_Z26warp_inclusive_scan_kernelIN10test_utils16custom_test_typeIfEELj63ELj7EENSt9enable_ifIXsr10test_utilsE35device_test_enabled_for_warp_size_vIXT1_EEEvE4typeEPT_S7_
	.p2align	8
	.type	_Z26warp_inclusive_scan_kernelIN10test_utils16custom_test_typeIfEELj63ELj7EENSt9enable_ifIXsr10test_utilsE35device_test_enabled_for_warp_size_vIXT1_EEEvE4typeEPT_S7_,@function
_Z26warp_inclusive_scan_kernelIN10test_utils16custom_test_typeIfEELj63ELj7EENSt9enable_ifIXsr10test_utilsE35device_test_enabled_for_warp_size_vIXT1_EEEvE4typeEPT_S7_: ; @_Z26warp_inclusive_scan_kernelIN10test_utils16custom_test_typeIfEELj63ELj7EENSt9enable_ifIXsr10test_utilsE35device_test_enabled_for_warp_size_vIXT1_EEEvE4typeEPT_S7_
; %bb.0:
	s_clause 0x1
	s_load_b32 s4, s[0:1], 0x1c
	s_load_b128 s[0:3], s[0:1], 0x0
	v_mbcnt_lo_u32_b32 v5, -1, 0
	s_delay_alu instid0(VALU_DEP_1) | instskip(NEXT) | instid1(VALU_DEP_1)
	v_mul_hi_u32 v6, 0x24924925, v5
	v_mul_u32_u24_e32 v6, 7, v6
	s_delay_alu instid0(VALU_DEP_1) | instskip(SKIP_2) | instid1(SALU_CYCLE_1)
	v_sub_nc_u32_e32 v5, v5, v6
	s_waitcnt lgkmcnt(0)
	s_and_b32 s4, s4, 0xffff
	v_mad_u64_u32 v[1:2], null, s15, s4, v[0:1]
	v_mov_b32_e32 v2, 0
	v_mul_u32_u24_e32 v0, 0x2493, v0
	v_lshlrev_b32_e32 v6, 3, v5
	s_delay_alu instid0(VALU_DEP_2) | instskip(NEXT) | instid1(VALU_DEP_4)
	v_lshrrev_b32_e32 v0, 16, v0
	v_lshlrev_b64 v[3:4], 3, v[1:2]
	s_delay_alu instid0(VALU_DEP_2) | instskip(NEXT) | instid1(VALU_DEP_2)
	v_mad_u32_u24 v0, v0, 56, v6
	v_add_co_u32 v1, vcc_lo, s0, v3
	s_delay_alu instid0(VALU_DEP_3)
	v_add_co_ci_u32_e32 v2, vcc_lo, s1, v4, vcc_lo
	v_cmp_ne_u32_e32 vcc_lo, 0, v5
	global_load_b64 v[1:2], v[1:2], off
	s_waitcnt vmcnt(0)
	ds_store_2addr_b32 v0, v1, v2 offset1:1
	; wave barrier
	s_and_saveexec_b32 s0, vcc_lo
	s_cbranch_execz .LBB287_2
; %bb.1:
	v_add_nc_u32_e32 v6, -8, v0
	ds_load_2addr_b32 v[6:7], v6 offset1:1
	s_waitcnt lgkmcnt(0)
	v_dual_add_f32 v1, v6, v1 :: v_dual_add_f32 v2, v7, v2
.LBB287_2:
	s_or_b32 exec_lo, exec_lo, s0
	; wave barrier
	s_and_saveexec_b32 s0, vcc_lo
	s_cbranch_execz .LBB287_4
; %bb.3:
	ds_store_2addr_b32 v0, v1, v2 offset1:1
.LBB287_4:
	s_or_b32 exec_lo, exec_lo, s0
	v_cmp_lt_u32_e32 vcc_lo, 1, v5
	; wave barrier
	s_and_saveexec_b32 s0, vcc_lo
	s_cbranch_execz .LBB287_6
; %bb.5:
	v_add_nc_u32_e32 v6, -16, v0
	ds_load_2addr_b32 v[6:7], v6 offset1:1
	s_waitcnt lgkmcnt(0)
	v_dual_add_f32 v1, v1, v6 :: v_dual_add_f32 v2, v2, v7
.LBB287_6:
	s_or_b32 exec_lo, exec_lo, s0
	; wave barrier
	s_and_saveexec_b32 s0, vcc_lo
	s_cbranch_execz .LBB287_8
; %bb.7:
	ds_store_2addr_b32 v0, v1, v2 offset1:1
.LBB287_8:
	s_or_b32 exec_lo, exec_lo, s0
	v_cmp_lt_u32_e32 vcc_lo, 3, v5
	; wave barrier
	s_and_saveexec_b32 s0, vcc_lo
	s_cbranch_execz .LBB287_10
; %bb.9:
	v_subrev_nc_u32_e32 v5, 32, v0
	ds_load_2addr_b32 v[5:6], v5 offset1:1
	s_waitcnt lgkmcnt(0)
	v_dual_add_f32 v1, v1, v5 :: v_dual_add_f32 v2, v2, v6
.LBB287_10:
	s_or_b32 exec_lo, exec_lo, s0
	; wave barrier
	s_and_saveexec_b32 s0, vcc_lo
	s_cbranch_execz .LBB287_12
; %bb.11:
	ds_store_2addr_b32 v0, v1, v2 offset1:1
.LBB287_12:
	s_or_b32 exec_lo, exec_lo, s0
	v_add_co_u32 v3, vcc_lo, s2, v3
	v_add_co_ci_u32_e32 v4, vcc_lo, s3, v4, vcc_lo
	; wave barrier
	global_store_b64 v[3:4], v[1:2], off
	s_nop 0
	s_sendmsg sendmsg(MSG_DEALLOC_VGPRS)
	s_endpgm
	.section	.rodata,"a",@progbits
	.p2align	6, 0x0
	.amdhsa_kernel _Z26warp_inclusive_scan_kernelIN10test_utils16custom_test_typeIfEELj63ELj7EENSt9enable_ifIXsr10test_utilsE35device_test_enabled_for_warp_size_vIXT1_EEEvE4typeEPT_S7_
		.amdhsa_group_segment_fixed_size 504
		.amdhsa_private_segment_fixed_size 0
		.amdhsa_kernarg_size 272
		.amdhsa_user_sgpr_count 15
		.amdhsa_user_sgpr_dispatch_ptr 0
		.amdhsa_user_sgpr_queue_ptr 0
		.amdhsa_user_sgpr_kernarg_segment_ptr 1
		.amdhsa_user_sgpr_dispatch_id 0
		.amdhsa_user_sgpr_private_segment_size 0
		.amdhsa_wavefront_size32 1
		.amdhsa_uses_dynamic_stack 0
		.amdhsa_enable_private_segment 0
		.amdhsa_system_sgpr_workgroup_id_x 1
		.amdhsa_system_sgpr_workgroup_id_y 0
		.amdhsa_system_sgpr_workgroup_id_z 0
		.amdhsa_system_sgpr_workgroup_info 0
		.amdhsa_system_vgpr_workitem_id 0
		.amdhsa_next_free_vgpr 8
		.amdhsa_next_free_sgpr 16
		.amdhsa_reserve_vcc 1
		.amdhsa_float_round_mode_32 0
		.amdhsa_float_round_mode_16_64 0
		.amdhsa_float_denorm_mode_32 3
		.amdhsa_float_denorm_mode_16_64 3
		.amdhsa_dx10_clamp 1
		.amdhsa_ieee_mode 1
		.amdhsa_fp16_overflow 0
		.amdhsa_workgroup_processor_mode 1
		.amdhsa_memory_ordered 1
		.amdhsa_forward_progress 0
		.amdhsa_shared_vgpr_count 0
		.amdhsa_exception_fp_ieee_invalid_op 0
		.amdhsa_exception_fp_denorm_src 0
		.amdhsa_exception_fp_ieee_div_zero 0
		.amdhsa_exception_fp_ieee_overflow 0
		.amdhsa_exception_fp_ieee_underflow 0
		.amdhsa_exception_fp_ieee_inexact 0
		.amdhsa_exception_int_div_zero 0
	.end_amdhsa_kernel
	.section	.text._Z26warp_inclusive_scan_kernelIN10test_utils16custom_test_typeIfEELj63ELj7EENSt9enable_ifIXsr10test_utilsE35device_test_enabled_for_warp_size_vIXT1_EEEvE4typeEPT_S7_,"axG",@progbits,_Z26warp_inclusive_scan_kernelIN10test_utils16custom_test_typeIfEELj63ELj7EENSt9enable_ifIXsr10test_utilsE35device_test_enabled_for_warp_size_vIXT1_EEEvE4typeEPT_S7_,comdat
.Lfunc_end287:
	.size	_Z26warp_inclusive_scan_kernelIN10test_utils16custom_test_typeIfEELj63ELj7EENSt9enable_ifIXsr10test_utilsE35device_test_enabled_for_warp_size_vIXT1_EEEvE4typeEPT_S7_, .Lfunc_end287-_Z26warp_inclusive_scan_kernelIN10test_utils16custom_test_typeIfEELj63ELj7EENSt9enable_ifIXsr10test_utilsE35device_test_enabled_for_warp_size_vIXT1_EEEvE4typeEPT_S7_
                                        ; -- End function
	.section	.AMDGPU.csdata,"",@progbits
; Kernel info:
; codeLenInByte = 368
; NumSgprs: 18
; NumVgprs: 8
; ScratchSize: 0
; MemoryBound: 0
; FloatMode: 240
; IeeeMode: 1
; LDSByteSize: 504 bytes/workgroup (compile time only)
; SGPRBlocks: 2
; VGPRBlocks: 0
; NumSGPRsForWavesPerEU: 18
; NumVGPRsForWavesPerEU: 8
; Occupancy: 16
; WaveLimiterHint : 0
; COMPUTE_PGM_RSRC2:SCRATCH_EN: 0
; COMPUTE_PGM_RSRC2:USER_SGPR: 15
; COMPUTE_PGM_RSRC2:TRAP_HANDLER: 0
; COMPUTE_PGM_RSRC2:TGID_X_EN: 1
; COMPUTE_PGM_RSRC2:TGID_Y_EN: 0
; COMPUTE_PGM_RSRC2:TGID_Z_EN: 0
; COMPUTE_PGM_RSRC2:TIDIG_COMP_CNT: 0
	.section	.text._Z26warp_inclusive_scan_kernelIN10test_utils16custom_test_typeIfEELj30ELj3EENSt9enable_ifIXsr10test_utilsE35device_test_enabled_for_warp_size_vIXT1_EEEvE4typeEPT_S7_,"axG",@progbits,_Z26warp_inclusive_scan_kernelIN10test_utils16custom_test_typeIfEELj30ELj3EENSt9enable_ifIXsr10test_utilsE35device_test_enabled_for_warp_size_vIXT1_EEEvE4typeEPT_S7_,comdat
	.protected	_Z26warp_inclusive_scan_kernelIN10test_utils16custom_test_typeIfEELj30ELj3EENSt9enable_ifIXsr10test_utilsE35device_test_enabled_for_warp_size_vIXT1_EEEvE4typeEPT_S7_ ; -- Begin function _Z26warp_inclusive_scan_kernelIN10test_utils16custom_test_typeIfEELj30ELj3EENSt9enable_ifIXsr10test_utilsE35device_test_enabled_for_warp_size_vIXT1_EEEvE4typeEPT_S7_
	.globl	_Z26warp_inclusive_scan_kernelIN10test_utils16custom_test_typeIfEELj30ELj3EENSt9enable_ifIXsr10test_utilsE35device_test_enabled_for_warp_size_vIXT1_EEEvE4typeEPT_S7_
	.p2align	8
	.type	_Z26warp_inclusive_scan_kernelIN10test_utils16custom_test_typeIfEELj30ELj3EENSt9enable_ifIXsr10test_utilsE35device_test_enabled_for_warp_size_vIXT1_EEEvE4typeEPT_S7_,@function
_Z26warp_inclusive_scan_kernelIN10test_utils16custom_test_typeIfEELj30ELj3EENSt9enable_ifIXsr10test_utilsE35device_test_enabled_for_warp_size_vIXT1_EEEvE4typeEPT_S7_: ; @_Z26warp_inclusive_scan_kernelIN10test_utils16custom_test_typeIfEELj30ELj3EENSt9enable_ifIXsr10test_utilsE35device_test_enabled_for_warp_size_vIXT1_EEEvE4typeEPT_S7_
; %bb.0:
	s_clause 0x1
	s_load_b32 s4, s[0:1], 0x1c
	s_load_b128 s[0:3], s[0:1], 0x0
	v_mbcnt_lo_u32_b32 v5, -1, 0
	s_delay_alu instid0(VALU_DEP_1) | instskip(NEXT) | instid1(VALU_DEP_1)
	v_mul_hi_u32 v6, 0x55555556, v5
	v_mul_u32_u24_e32 v6, 3, v6
	s_delay_alu instid0(VALU_DEP_1) | instskip(SKIP_2) | instid1(SALU_CYCLE_1)
	v_sub_nc_u32_e32 v5, v5, v6
	s_waitcnt lgkmcnt(0)
	s_and_b32 s4, s4, 0xffff
	v_mad_u64_u32 v[1:2], null, s15, s4, v[0:1]
	v_mov_b32_e32 v2, 0
	v_mul_u32_u24_e32 v0, 0x5556, v0
	v_lshlrev_b32_e32 v6, 3, v5
	s_delay_alu instid0(VALU_DEP_2) | instskip(NEXT) | instid1(VALU_DEP_4)
	v_lshrrev_b32_e32 v0, 16, v0
	v_lshlrev_b64 v[3:4], 3, v[1:2]
	s_delay_alu instid0(VALU_DEP_2) | instskip(NEXT) | instid1(VALU_DEP_2)
	v_mad_u32_u24 v0, v0, 24, v6
	v_add_co_u32 v1, vcc_lo, s0, v3
	s_delay_alu instid0(VALU_DEP_3)
	v_add_co_ci_u32_e32 v2, vcc_lo, s1, v4, vcc_lo
	v_cmp_ne_u32_e32 vcc_lo, 0, v5
	global_load_b64 v[1:2], v[1:2], off
	s_waitcnt vmcnt(0)
	ds_store_2addr_b32 v0, v1, v2 offset1:1
	; wave barrier
	s_and_saveexec_b32 s0, vcc_lo
	s_cbranch_execz .LBB288_2
; %bb.1:
	v_add_nc_u32_e32 v6, -8, v0
	ds_load_2addr_b32 v[6:7], v6 offset1:1
	s_waitcnt lgkmcnt(0)
	v_dual_add_f32 v1, v6, v1 :: v_dual_add_f32 v2, v7, v2
.LBB288_2:
	s_or_b32 exec_lo, exec_lo, s0
	; wave barrier
	s_and_saveexec_b32 s0, vcc_lo
	s_cbranch_execz .LBB288_4
; %bb.3:
	ds_store_2addr_b32 v0, v1, v2 offset1:1
.LBB288_4:
	s_or_b32 exec_lo, exec_lo, s0
	v_cmp_lt_u32_e32 vcc_lo, 1, v5
	; wave barrier
	s_and_saveexec_b32 s0, vcc_lo
	s_cbranch_execz .LBB288_6
; %bb.5:
	v_add_nc_u32_e32 v5, -16, v0
	ds_load_2addr_b32 v[5:6], v5 offset1:1
	s_waitcnt lgkmcnt(0)
	v_dual_add_f32 v2, v2, v6 :: v_dual_add_f32 v1, v1, v5
.LBB288_6:
	s_or_b32 exec_lo, exec_lo, s0
	; wave barrier
	s_and_saveexec_b32 s0, vcc_lo
	s_cbranch_execz .LBB288_8
; %bb.7:
	ds_store_2addr_b32 v0, v1, v2 offset1:1
.LBB288_8:
	s_or_b32 exec_lo, exec_lo, s0
	v_add_co_u32 v3, vcc_lo, s2, v3
	v_add_co_ci_u32_e32 v4, vcc_lo, s3, v4, vcc_lo
	; wave barrier
	global_store_b64 v[3:4], v[1:2], off
	s_nop 0
	s_sendmsg sendmsg(MSG_DEALLOC_VGPRS)
	s_endpgm
	.section	.rodata,"a",@progbits
	.p2align	6, 0x0
	.amdhsa_kernel _Z26warp_inclusive_scan_kernelIN10test_utils16custom_test_typeIfEELj30ELj3EENSt9enable_ifIXsr10test_utilsE35device_test_enabled_for_warp_size_vIXT1_EEEvE4typeEPT_S7_
		.amdhsa_group_segment_fixed_size 240
		.amdhsa_private_segment_fixed_size 0
		.amdhsa_kernarg_size 272
		.amdhsa_user_sgpr_count 15
		.amdhsa_user_sgpr_dispatch_ptr 0
		.amdhsa_user_sgpr_queue_ptr 0
		.amdhsa_user_sgpr_kernarg_segment_ptr 1
		.amdhsa_user_sgpr_dispatch_id 0
		.amdhsa_user_sgpr_private_segment_size 0
		.amdhsa_wavefront_size32 1
		.amdhsa_uses_dynamic_stack 0
		.amdhsa_enable_private_segment 0
		.amdhsa_system_sgpr_workgroup_id_x 1
		.amdhsa_system_sgpr_workgroup_id_y 0
		.amdhsa_system_sgpr_workgroup_id_z 0
		.amdhsa_system_sgpr_workgroup_info 0
		.amdhsa_system_vgpr_workitem_id 0
		.amdhsa_next_free_vgpr 8
		.amdhsa_next_free_sgpr 16
		.amdhsa_reserve_vcc 1
		.amdhsa_float_round_mode_32 0
		.amdhsa_float_round_mode_16_64 0
		.amdhsa_float_denorm_mode_32 3
		.amdhsa_float_denorm_mode_16_64 3
		.amdhsa_dx10_clamp 1
		.amdhsa_ieee_mode 1
		.amdhsa_fp16_overflow 0
		.amdhsa_workgroup_processor_mode 1
		.amdhsa_memory_ordered 1
		.amdhsa_forward_progress 0
		.amdhsa_shared_vgpr_count 0
		.amdhsa_exception_fp_ieee_invalid_op 0
		.amdhsa_exception_fp_denorm_src 0
		.amdhsa_exception_fp_ieee_div_zero 0
		.amdhsa_exception_fp_ieee_overflow 0
		.amdhsa_exception_fp_ieee_underflow 0
		.amdhsa_exception_fp_ieee_inexact 0
		.amdhsa_exception_int_div_zero 0
	.end_amdhsa_kernel
	.section	.text._Z26warp_inclusive_scan_kernelIN10test_utils16custom_test_typeIfEELj30ELj3EENSt9enable_ifIXsr10test_utilsE35device_test_enabled_for_warp_size_vIXT1_EEEvE4typeEPT_S7_,"axG",@progbits,_Z26warp_inclusive_scan_kernelIN10test_utils16custom_test_typeIfEELj30ELj3EENSt9enable_ifIXsr10test_utilsE35device_test_enabled_for_warp_size_vIXT1_EEEvE4typeEPT_S7_,comdat
.Lfunc_end288:
	.size	_Z26warp_inclusive_scan_kernelIN10test_utils16custom_test_typeIfEELj30ELj3EENSt9enable_ifIXsr10test_utilsE35device_test_enabled_for_warp_size_vIXT1_EEEvE4typeEPT_S7_, .Lfunc_end288-_Z26warp_inclusive_scan_kernelIN10test_utils16custom_test_typeIfEELj30ELj3EENSt9enable_ifIXsr10test_utilsE35device_test_enabled_for_warp_size_vIXT1_EEEvE4typeEPT_S7_
                                        ; -- End function
	.section	.AMDGPU.csdata,"",@progbits
; Kernel info:
; codeLenInByte = 308
; NumSgprs: 18
; NumVgprs: 8
; ScratchSize: 0
; MemoryBound: 0
; FloatMode: 240
; IeeeMode: 1
; LDSByteSize: 240 bytes/workgroup (compile time only)
; SGPRBlocks: 2
; VGPRBlocks: 0
; NumSGPRsForWavesPerEU: 18
; NumVGPRsForWavesPerEU: 8
; Occupancy: 16
; WaveLimiterHint : 0
; COMPUTE_PGM_RSRC2:SCRATCH_EN: 0
; COMPUTE_PGM_RSRC2:USER_SGPR: 15
; COMPUTE_PGM_RSRC2:TRAP_HANDLER: 0
; COMPUTE_PGM_RSRC2:TGID_X_EN: 1
; COMPUTE_PGM_RSRC2:TGID_Y_EN: 0
; COMPUTE_PGM_RSRC2:TGID_Z_EN: 0
; COMPUTE_PGM_RSRC2:TIDIG_COMP_CNT: 0
	.section	.text._Z26warp_inclusive_scan_kernelIN10test_utils16custom_test_typeIfEELj63ELj3EENSt9enable_ifIXsr10test_utilsE35device_test_enabled_for_warp_size_vIXT1_EEEvE4typeEPT_S7_,"axG",@progbits,_Z26warp_inclusive_scan_kernelIN10test_utils16custom_test_typeIfEELj63ELj3EENSt9enable_ifIXsr10test_utilsE35device_test_enabled_for_warp_size_vIXT1_EEEvE4typeEPT_S7_,comdat
	.protected	_Z26warp_inclusive_scan_kernelIN10test_utils16custom_test_typeIfEELj63ELj3EENSt9enable_ifIXsr10test_utilsE35device_test_enabled_for_warp_size_vIXT1_EEEvE4typeEPT_S7_ ; -- Begin function _Z26warp_inclusive_scan_kernelIN10test_utils16custom_test_typeIfEELj63ELj3EENSt9enable_ifIXsr10test_utilsE35device_test_enabled_for_warp_size_vIXT1_EEEvE4typeEPT_S7_
	.globl	_Z26warp_inclusive_scan_kernelIN10test_utils16custom_test_typeIfEELj63ELj3EENSt9enable_ifIXsr10test_utilsE35device_test_enabled_for_warp_size_vIXT1_EEEvE4typeEPT_S7_
	.p2align	8
	.type	_Z26warp_inclusive_scan_kernelIN10test_utils16custom_test_typeIfEELj63ELj3EENSt9enable_ifIXsr10test_utilsE35device_test_enabled_for_warp_size_vIXT1_EEEvE4typeEPT_S7_,@function
_Z26warp_inclusive_scan_kernelIN10test_utils16custom_test_typeIfEELj63ELj3EENSt9enable_ifIXsr10test_utilsE35device_test_enabled_for_warp_size_vIXT1_EEEvE4typeEPT_S7_: ; @_Z26warp_inclusive_scan_kernelIN10test_utils16custom_test_typeIfEELj63ELj3EENSt9enable_ifIXsr10test_utilsE35device_test_enabled_for_warp_size_vIXT1_EEEvE4typeEPT_S7_
; %bb.0:
	s_clause 0x1
	s_load_b32 s4, s[0:1], 0x1c
	s_load_b128 s[0:3], s[0:1], 0x0
	v_mbcnt_lo_u32_b32 v5, -1, 0
	s_delay_alu instid0(VALU_DEP_1) | instskip(NEXT) | instid1(VALU_DEP_1)
	v_mul_hi_u32 v6, 0x55555556, v5
	v_mul_u32_u24_e32 v6, 3, v6
	s_delay_alu instid0(VALU_DEP_1) | instskip(SKIP_2) | instid1(SALU_CYCLE_1)
	v_sub_nc_u32_e32 v5, v5, v6
	s_waitcnt lgkmcnt(0)
	s_and_b32 s4, s4, 0xffff
	v_mad_u64_u32 v[1:2], null, s15, s4, v[0:1]
	v_mov_b32_e32 v2, 0
	v_mul_u32_u24_e32 v0, 0x5556, v0
	v_lshlrev_b32_e32 v6, 3, v5
	s_delay_alu instid0(VALU_DEP_2) | instskip(NEXT) | instid1(VALU_DEP_4)
	v_lshrrev_b32_e32 v0, 16, v0
	v_lshlrev_b64 v[3:4], 3, v[1:2]
	s_delay_alu instid0(VALU_DEP_2) | instskip(NEXT) | instid1(VALU_DEP_2)
	v_mad_u32_u24 v0, v0, 24, v6
	v_add_co_u32 v1, vcc_lo, s0, v3
	s_delay_alu instid0(VALU_DEP_3)
	v_add_co_ci_u32_e32 v2, vcc_lo, s1, v4, vcc_lo
	v_cmp_ne_u32_e32 vcc_lo, 0, v5
	global_load_b64 v[1:2], v[1:2], off
	s_waitcnt vmcnt(0)
	ds_store_2addr_b32 v0, v1, v2 offset1:1
	; wave barrier
	s_and_saveexec_b32 s0, vcc_lo
	s_cbranch_execz .LBB289_2
; %bb.1:
	v_add_nc_u32_e32 v6, -8, v0
	ds_load_2addr_b32 v[6:7], v6 offset1:1
	s_waitcnt lgkmcnt(0)
	v_dual_add_f32 v1, v6, v1 :: v_dual_add_f32 v2, v7, v2
.LBB289_2:
	s_or_b32 exec_lo, exec_lo, s0
	; wave barrier
	s_and_saveexec_b32 s0, vcc_lo
	s_cbranch_execz .LBB289_4
; %bb.3:
	ds_store_2addr_b32 v0, v1, v2 offset1:1
.LBB289_4:
	s_or_b32 exec_lo, exec_lo, s0
	v_cmp_lt_u32_e32 vcc_lo, 1, v5
	; wave barrier
	s_and_saveexec_b32 s0, vcc_lo
	s_cbranch_execz .LBB289_6
; %bb.5:
	v_add_nc_u32_e32 v5, -16, v0
	ds_load_2addr_b32 v[5:6], v5 offset1:1
	s_waitcnt lgkmcnt(0)
	v_dual_add_f32 v2, v2, v6 :: v_dual_add_f32 v1, v1, v5
.LBB289_6:
	s_or_b32 exec_lo, exec_lo, s0
	; wave barrier
	s_and_saveexec_b32 s0, vcc_lo
	s_cbranch_execz .LBB289_8
; %bb.7:
	ds_store_2addr_b32 v0, v1, v2 offset1:1
.LBB289_8:
	s_or_b32 exec_lo, exec_lo, s0
	v_add_co_u32 v3, vcc_lo, s2, v3
	v_add_co_ci_u32_e32 v4, vcc_lo, s3, v4, vcc_lo
	; wave barrier
	global_store_b64 v[3:4], v[1:2], off
	s_nop 0
	s_sendmsg sendmsg(MSG_DEALLOC_VGPRS)
	s_endpgm
	.section	.rodata,"a",@progbits
	.p2align	6, 0x0
	.amdhsa_kernel _Z26warp_inclusive_scan_kernelIN10test_utils16custom_test_typeIfEELj63ELj3EENSt9enable_ifIXsr10test_utilsE35device_test_enabled_for_warp_size_vIXT1_EEEvE4typeEPT_S7_
		.amdhsa_group_segment_fixed_size 504
		.amdhsa_private_segment_fixed_size 0
		.amdhsa_kernarg_size 272
		.amdhsa_user_sgpr_count 15
		.amdhsa_user_sgpr_dispatch_ptr 0
		.amdhsa_user_sgpr_queue_ptr 0
		.amdhsa_user_sgpr_kernarg_segment_ptr 1
		.amdhsa_user_sgpr_dispatch_id 0
		.amdhsa_user_sgpr_private_segment_size 0
		.amdhsa_wavefront_size32 1
		.amdhsa_uses_dynamic_stack 0
		.amdhsa_enable_private_segment 0
		.amdhsa_system_sgpr_workgroup_id_x 1
		.amdhsa_system_sgpr_workgroup_id_y 0
		.amdhsa_system_sgpr_workgroup_id_z 0
		.amdhsa_system_sgpr_workgroup_info 0
		.amdhsa_system_vgpr_workitem_id 0
		.amdhsa_next_free_vgpr 8
		.amdhsa_next_free_sgpr 16
		.amdhsa_reserve_vcc 1
		.amdhsa_float_round_mode_32 0
		.amdhsa_float_round_mode_16_64 0
		.amdhsa_float_denorm_mode_32 3
		.amdhsa_float_denorm_mode_16_64 3
		.amdhsa_dx10_clamp 1
		.amdhsa_ieee_mode 1
		.amdhsa_fp16_overflow 0
		.amdhsa_workgroup_processor_mode 1
		.amdhsa_memory_ordered 1
		.amdhsa_forward_progress 0
		.amdhsa_shared_vgpr_count 0
		.amdhsa_exception_fp_ieee_invalid_op 0
		.amdhsa_exception_fp_denorm_src 0
		.amdhsa_exception_fp_ieee_div_zero 0
		.amdhsa_exception_fp_ieee_overflow 0
		.amdhsa_exception_fp_ieee_underflow 0
		.amdhsa_exception_fp_ieee_inexact 0
		.amdhsa_exception_int_div_zero 0
	.end_amdhsa_kernel
	.section	.text._Z26warp_inclusive_scan_kernelIN10test_utils16custom_test_typeIfEELj63ELj3EENSt9enable_ifIXsr10test_utilsE35device_test_enabled_for_warp_size_vIXT1_EEEvE4typeEPT_S7_,"axG",@progbits,_Z26warp_inclusive_scan_kernelIN10test_utils16custom_test_typeIfEELj63ELj3EENSt9enable_ifIXsr10test_utilsE35device_test_enabled_for_warp_size_vIXT1_EEEvE4typeEPT_S7_,comdat
.Lfunc_end289:
	.size	_Z26warp_inclusive_scan_kernelIN10test_utils16custom_test_typeIfEELj63ELj3EENSt9enable_ifIXsr10test_utilsE35device_test_enabled_for_warp_size_vIXT1_EEEvE4typeEPT_S7_, .Lfunc_end289-_Z26warp_inclusive_scan_kernelIN10test_utils16custom_test_typeIfEELj63ELj3EENSt9enable_ifIXsr10test_utilsE35device_test_enabled_for_warp_size_vIXT1_EEEvE4typeEPT_S7_
                                        ; -- End function
	.section	.AMDGPU.csdata,"",@progbits
; Kernel info:
; codeLenInByte = 308
; NumSgprs: 18
; NumVgprs: 8
; ScratchSize: 0
; MemoryBound: 0
; FloatMode: 240
; IeeeMode: 1
; LDSByteSize: 504 bytes/workgroup (compile time only)
; SGPRBlocks: 2
; VGPRBlocks: 0
; NumSGPRsForWavesPerEU: 18
; NumVGPRsForWavesPerEU: 8
; Occupancy: 16
; WaveLimiterHint : 0
; COMPUTE_PGM_RSRC2:SCRATCH_EN: 0
; COMPUTE_PGM_RSRC2:USER_SGPR: 15
; COMPUTE_PGM_RSRC2:TRAP_HANDLER: 0
; COMPUTE_PGM_RSRC2:TGID_X_EN: 1
; COMPUTE_PGM_RSRC2:TGID_Y_EN: 0
; COMPUTE_PGM_RSRC2:TGID_Z_EN: 0
; COMPUTE_PGM_RSRC2:TIDIG_COMP_CNT: 0
	.section	.text._Z26warp_inclusive_scan_kernelIN10test_utils16custom_test_typeIiEELj1ELj61EENSt9enable_ifIXntsr10test_utilsE35device_test_enabled_for_warp_size_vIXT1_EEEvE4typeEPT_S7_,"axG",@progbits,_Z26warp_inclusive_scan_kernelIN10test_utils16custom_test_typeIiEELj1ELj61EENSt9enable_ifIXntsr10test_utilsE35device_test_enabled_for_warp_size_vIXT1_EEEvE4typeEPT_S7_,comdat
	.protected	_Z26warp_inclusive_scan_kernelIN10test_utils16custom_test_typeIiEELj1ELj61EENSt9enable_ifIXntsr10test_utilsE35device_test_enabled_for_warp_size_vIXT1_EEEvE4typeEPT_S7_ ; -- Begin function _Z26warp_inclusive_scan_kernelIN10test_utils16custom_test_typeIiEELj1ELj61EENSt9enable_ifIXntsr10test_utilsE35device_test_enabled_for_warp_size_vIXT1_EEEvE4typeEPT_S7_
	.globl	_Z26warp_inclusive_scan_kernelIN10test_utils16custom_test_typeIiEELj1ELj61EENSt9enable_ifIXntsr10test_utilsE35device_test_enabled_for_warp_size_vIXT1_EEEvE4typeEPT_S7_
	.p2align	8
	.type	_Z26warp_inclusive_scan_kernelIN10test_utils16custom_test_typeIiEELj1ELj61EENSt9enable_ifIXntsr10test_utilsE35device_test_enabled_for_warp_size_vIXT1_EEEvE4typeEPT_S7_,@function
_Z26warp_inclusive_scan_kernelIN10test_utils16custom_test_typeIiEELj1ELj61EENSt9enable_ifIXntsr10test_utilsE35device_test_enabled_for_warp_size_vIXT1_EEEvE4typeEPT_S7_: ; @_Z26warp_inclusive_scan_kernelIN10test_utils16custom_test_typeIiEELj1ELj61EENSt9enable_ifIXntsr10test_utilsE35device_test_enabled_for_warp_size_vIXT1_EEEvE4typeEPT_S7_
; %bb.0:
	s_endpgm
	.section	.rodata,"a",@progbits
	.p2align	6, 0x0
	.amdhsa_kernel _Z26warp_inclusive_scan_kernelIN10test_utils16custom_test_typeIiEELj1ELj61EENSt9enable_ifIXntsr10test_utilsE35device_test_enabled_for_warp_size_vIXT1_EEEvE4typeEPT_S7_
		.amdhsa_group_segment_fixed_size 0
		.amdhsa_private_segment_fixed_size 0
		.amdhsa_kernarg_size 16
		.amdhsa_user_sgpr_count 15
		.amdhsa_user_sgpr_dispatch_ptr 0
		.amdhsa_user_sgpr_queue_ptr 0
		.amdhsa_user_sgpr_kernarg_segment_ptr 1
		.amdhsa_user_sgpr_dispatch_id 0
		.amdhsa_user_sgpr_private_segment_size 0
		.amdhsa_wavefront_size32 1
		.amdhsa_uses_dynamic_stack 0
		.amdhsa_enable_private_segment 0
		.amdhsa_system_sgpr_workgroup_id_x 1
		.amdhsa_system_sgpr_workgroup_id_y 0
		.amdhsa_system_sgpr_workgroup_id_z 0
		.amdhsa_system_sgpr_workgroup_info 0
		.amdhsa_system_vgpr_workitem_id 0
		.amdhsa_next_free_vgpr 1
		.amdhsa_next_free_sgpr 1
		.amdhsa_reserve_vcc 0
		.amdhsa_float_round_mode_32 0
		.amdhsa_float_round_mode_16_64 0
		.amdhsa_float_denorm_mode_32 3
		.amdhsa_float_denorm_mode_16_64 3
		.amdhsa_dx10_clamp 1
		.amdhsa_ieee_mode 1
		.amdhsa_fp16_overflow 0
		.amdhsa_workgroup_processor_mode 1
		.amdhsa_memory_ordered 1
		.amdhsa_forward_progress 0
		.amdhsa_shared_vgpr_count 0
		.amdhsa_exception_fp_ieee_invalid_op 0
		.amdhsa_exception_fp_denorm_src 0
		.amdhsa_exception_fp_ieee_div_zero 0
		.amdhsa_exception_fp_ieee_overflow 0
		.amdhsa_exception_fp_ieee_underflow 0
		.amdhsa_exception_fp_ieee_inexact 0
		.amdhsa_exception_int_div_zero 0
	.end_amdhsa_kernel
	.section	.text._Z26warp_inclusive_scan_kernelIN10test_utils16custom_test_typeIiEELj1ELj61EENSt9enable_ifIXntsr10test_utilsE35device_test_enabled_for_warp_size_vIXT1_EEEvE4typeEPT_S7_,"axG",@progbits,_Z26warp_inclusive_scan_kernelIN10test_utils16custom_test_typeIiEELj1ELj61EENSt9enable_ifIXntsr10test_utilsE35device_test_enabled_for_warp_size_vIXT1_EEEvE4typeEPT_S7_,comdat
.Lfunc_end290:
	.size	_Z26warp_inclusive_scan_kernelIN10test_utils16custom_test_typeIiEELj1ELj61EENSt9enable_ifIXntsr10test_utilsE35device_test_enabled_for_warp_size_vIXT1_EEEvE4typeEPT_S7_, .Lfunc_end290-_Z26warp_inclusive_scan_kernelIN10test_utils16custom_test_typeIiEELj1ELj61EENSt9enable_ifIXntsr10test_utilsE35device_test_enabled_for_warp_size_vIXT1_EEEvE4typeEPT_S7_
                                        ; -- End function
	.section	.AMDGPU.csdata,"",@progbits
; Kernel info:
; codeLenInByte = 4
; NumSgprs: 0
; NumVgprs: 0
; ScratchSize: 0
; MemoryBound: 0
; FloatMode: 240
; IeeeMode: 1
; LDSByteSize: 0 bytes/workgroup (compile time only)
; SGPRBlocks: 0
; VGPRBlocks: 0
; NumSGPRsForWavesPerEU: 1
; NumVGPRsForWavesPerEU: 1
; Occupancy: 16
; WaveLimiterHint : 0
; COMPUTE_PGM_RSRC2:SCRATCH_EN: 0
; COMPUTE_PGM_RSRC2:USER_SGPR: 15
; COMPUTE_PGM_RSRC2:TRAP_HANDLER: 0
; COMPUTE_PGM_RSRC2:TGID_X_EN: 1
; COMPUTE_PGM_RSRC2:TGID_Y_EN: 0
; COMPUTE_PGM_RSRC2:TGID_Z_EN: 0
; COMPUTE_PGM_RSRC2:TIDIG_COMP_CNT: 0
	.section	.text._Z26warp_inclusive_scan_kernelIN10test_utils16custom_test_typeIiEELj61ELj61EENSt9enable_ifIXntsr10test_utilsE35device_test_enabled_for_warp_size_vIXT1_EEEvE4typeEPT_S7_,"axG",@progbits,_Z26warp_inclusive_scan_kernelIN10test_utils16custom_test_typeIiEELj61ELj61EENSt9enable_ifIXntsr10test_utilsE35device_test_enabled_for_warp_size_vIXT1_EEEvE4typeEPT_S7_,comdat
	.protected	_Z26warp_inclusive_scan_kernelIN10test_utils16custom_test_typeIiEELj61ELj61EENSt9enable_ifIXntsr10test_utilsE35device_test_enabled_for_warp_size_vIXT1_EEEvE4typeEPT_S7_ ; -- Begin function _Z26warp_inclusive_scan_kernelIN10test_utils16custom_test_typeIiEELj61ELj61EENSt9enable_ifIXntsr10test_utilsE35device_test_enabled_for_warp_size_vIXT1_EEEvE4typeEPT_S7_
	.globl	_Z26warp_inclusive_scan_kernelIN10test_utils16custom_test_typeIiEELj61ELj61EENSt9enable_ifIXntsr10test_utilsE35device_test_enabled_for_warp_size_vIXT1_EEEvE4typeEPT_S7_
	.p2align	8
	.type	_Z26warp_inclusive_scan_kernelIN10test_utils16custom_test_typeIiEELj61ELj61EENSt9enable_ifIXntsr10test_utilsE35device_test_enabled_for_warp_size_vIXT1_EEEvE4typeEPT_S7_,@function
_Z26warp_inclusive_scan_kernelIN10test_utils16custom_test_typeIiEELj61ELj61EENSt9enable_ifIXntsr10test_utilsE35device_test_enabled_for_warp_size_vIXT1_EEEvE4typeEPT_S7_: ; @_Z26warp_inclusive_scan_kernelIN10test_utils16custom_test_typeIiEELj61ELj61EENSt9enable_ifIXntsr10test_utilsE35device_test_enabled_for_warp_size_vIXT1_EEEvE4typeEPT_S7_
; %bb.0:
	s_endpgm
	.section	.rodata,"a",@progbits
	.p2align	6, 0x0
	.amdhsa_kernel _Z26warp_inclusive_scan_kernelIN10test_utils16custom_test_typeIiEELj61ELj61EENSt9enable_ifIXntsr10test_utilsE35device_test_enabled_for_warp_size_vIXT1_EEEvE4typeEPT_S7_
		.amdhsa_group_segment_fixed_size 0
		.amdhsa_private_segment_fixed_size 0
		.amdhsa_kernarg_size 16
		.amdhsa_user_sgpr_count 15
		.amdhsa_user_sgpr_dispatch_ptr 0
		.amdhsa_user_sgpr_queue_ptr 0
		.amdhsa_user_sgpr_kernarg_segment_ptr 1
		.amdhsa_user_sgpr_dispatch_id 0
		.amdhsa_user_sgpr_private_segment_size 0
		.amdhsa_wavefront_size32 1
		.amdhsa_uses_dynamic_stack 0
		.amdhsa_enable_private_segment 0
		.amdhsa_system_sgpr_workgroup_id_x 1
		.amdhsa_system_sgpr_workgroup_id_y 0
		.amdhsa_system_sgpr_workgroup_id_z 0
		.amdhsa_system_sgpr_workgroup_info 0
		.amdhsa_system_vgpr_workitem_id 0
		.amdhsa_next_free_vgpr 1
		.amdhsa_next_free_sgpr 1
		.amdhsa_reserve_vcc 0
		.amdhsa_float_round_mode_32 0
		.amdhsa_float_round_mode_16_64 0
		.amdhsa_float_denorm_mode_32 3
		.amdhsa_float_denorm_mode_16_64 3
		.amdhsa_dx10_clamp 1
		.amdhsa_ieee_mode 1
		.amdhsa_fp16_overflow 0
		.amdhsa_workgroup_processor_mode 1
		.amdhsa_memory_ordered 1
		.amdhsa_forward_progress 0
		.amdhsa_shared_vgpr_count 0
		.amdhsa_exception_fp_ieee_invalid_op 0
		.amdhsa_exception_fp_denorm_src 0
		.amdhsa_exception_fp_ieee_div_zero 0
		.amdhsa_exception_fp_ieee_overflow 0
		.amdhsa_exception_fp_ieee_underflow 0
		.amdhsa_exception_fp_ieee_inexact 0
		.amdhsa_exception_int_div_zero 0
	.end_amdhsa_kernel
	.section	.text._Z26warp_inclusive_scan_kernelIN10test_utils16custom_test_typeIiEELj61ELj61EENSt9enable_ifIXntsr10test_utilsE35device_test_enabled_for_warp_size_vIXT1_EEEvE4typeEPT_S7_,"axG",@progbits,_Z26warp_inclusive_scan_kernelIN10test_utils16custom_test_typeIiEELj61ELj61EENSt9enable_ifIXntsr10test_utilsE35device_test_enabled_for_warp_size_vIXT1_EEEvE4typeEPT_S7_,comdat
.Lfunc_end291:
	.size	_Z26warp_inclusive_scan_kernelIN10test_utils16custom_test_typeIiEELj61ELj61EENSt9enable_ifIXntsr10test_utilsE35device_test_enabled_for_warp_size_vIXT1_EEEvE4typeEPT_S7_, .Lfunc_end291-_Z26warp_inclusive_scan_kernelIN10test_utils16custom_test_typeIiEELj61ELj61EENSt9enable_ifIXntsr10test_utilsE35device_test_enabled_for_warp_size_vIXT1_EEEvE4typeEPT_S7_
                                        ; -- End function
	.section	.AMDGPU.csdata,"",@progbits
; Kernel info:
; codeLenInByte = 4
; NumSgprs: 0
; NumVgprs: 0
; ScratchSize: 0
; MemoryBound: 0
; FloatMode: 240
; IeeeMode: 1
; LDSByteSize: 0 bytes/workgroup (compile time only)
; SGPRBlocks: 0
; VGPRBlocks: 0
; NumSGPRsForWavesPerEU: 1
; NumVGPRsForWavesPerEU: 1
; Occupancy: 16
; WaveLimiterHint : 0
; COMPUTE_PGM_RSRC2:SCRATCH_EN: 0
; COMPUTE_PGM_RSRC2:USER_SGPR: 15
; COMPUTE_PGM_RSRC2:TRAP_HANDLER: 0
; COMPUTE_PGM_RSRC2:TGID_X_EN: 1
; COMPUTE_PGM_RSRC2:TGID_Y_EN: 0
; COMPUTE_PGM_RSRC2:TGID_Z_EN: 0
; COMPUTE_PGM_RSRC2:TIDIG_COMP_CNT: 0
	.section	.text._Z26warp_inclusive_scan_kernelIN10test_utils16custom_test_typeIiEELj1ELj37EENSt9enable_ifIXntsr10test_utilsE35device_test_enabled_for_warp_size_vIXT1_EEEvE4typeEPT_S7_,"axG",@progbits,_Z26warp_inclusive_scan_kernelIN10test_utils16custom_test_typeIiEELj1ELj37EENSt9enable_ifIXntsr10test_utilsE35device_test_enabled_for_warp_size_vIXT1_EEEvE4typeEPT_S7_,comdat
	.protected	_Z26warp_inclusive_scan_kernelIN10test_utils16custom_test_typeIiEELj1ELj37EENSt9enable_ifIXntsr10test_utilsE35device_test_enabled_for_warp_size_vIXT1_EEEvE4typeEPT_S7_ ; -- Begin function _Z26warp_inclusive_scan_kernelIN10test_utils16custom_test_typeIiEELj1ELj37EENSt9enable_ifIXntsr10test_utilsE35device_test_enabled_for_warp_size_vIXT1_EEEvE4typeEPT_S7_
	.globl	_Z26warp_inclusive_scan_kernelIN10test_utils16custom_test_typeIiEELj1ELj37EENSt9enable_ifIXntsr10test_utilsE35device_test_enabled_for_warp_size_vIXT1_EEEvE4typeEPT_S7_
	.p2align	8
	.type	_Z26warp_inclusive_scan_kernelIN10test_utils16custom_test_typeIiEELj1ELj37EENSt9enable_ifIXntsr10test_utilsE35device_test_enabled_for_warp_size_vIXT1_EEEvE4typeEPT_S7_,@function
_Z26warp_inclusive_scan_kernelIN10test_utils16custom_test_typeIiEELj1ELj37EENSt9enable_ifIXntsr10test_utilsE35device_test_enabled_for_warp_size_vIXT1_EEEvE4typeEPT_S7_: ; @_Z26warp_inclusive_scan_kernelIN10test_utils16custom_test_typeIiEELj1ELj37EENSt9enable_ifIXntsr10test_utilsE35device_test_enabled_for_warp_size_vIXT1_EEEvE4typeEPT_S7_
; %bb.0:
	s_endpgm
	.section	.rodata,"a",@progbits
	.p2align	6, 0x0
	.amdhsa_kernel _Z26warp_inclusive_scan_kernelIN10test_utils16custom_test_typeIiEELj1ELj37EENSt9enable_ifIXntsr10test_utilsE35device_test_enabled_for_warp_size_vIXT1_EEEvE4typeEPT_S7_
		.amdhsa_group_segment_fixed_size 0
		.amdhsa_private_segment_fixed_size 0
		.amdhsa_kernarg_size 16
		.amdhsa_user_sgpr_count 15
		.amdhsa_user_sgpr_dispatch_ptr 0
		.amdhsa_user_sgpr_queue_ptr 0
		.amdhsa_user_sgpr_kernarg_segment_ptr 1
		.amdhsa_user_sgpr_dispatch_id 0
		.amdhsa_user_sgpr_private_segment_size 0
		.amdhsa_wavefront_size32 1
		.amdhsa_uses_dynamic_stack 0
		.amdhsa_enable_private_segment 0
		.amdhsa_system_sgpr_workgroup_id_x 1
		.amdhsa_system_sgpr_workgroup_id_y 0
		.amdhsa_system_sgpr_workgroup_id_z 0
		.amdhsa_system_sgpr_workgroup_info 0
		.amdhsa_system_vgpr_workitem_id 0
		.amdhsa_next_free_vgpr 1
		.amdhsa_next_free_sgpr 1
		.amdhsa_reserve_vcc 0
		.amdhsa_float_round_mode_32 0
		.amdhsa_float_round_mode_16_64 0
		.amdhsa_float_denorm_mode_32 3
		.amdhsa_float_denorm_mode_16_64 3
		.amdhsa_dx10_clamp 1
		.amdhsa_ieee_mode 1
		.amdhsa_fp16_overflow 0
		.amdhsa_workgroup_processor_mode 1
		.amdhsa_memory_ordered 1
		.amdhsa_forward_progress 0
		.amdhsa_shared_vgpr_count 0
		.amdhsa_exception_fp_ieee_invalid_op 0
		.amdhsa_exception_fp_denorm_src 0
		.amdhsa_exception_fp_ieee_div_zero 0
		.amdhsa_exception_fp_ieee_overflow 0
		.amdhsa_exception_fp_ieee_underflow 0
		.amdhsa_exception_fp_ieee_inexact 0
		.amdhsa_exception_int_div_zero 0
	.end_amdhsa_kernel
	.section	.text._Z26warp_inclusive_scan_kernelIN10test_utils16custom_test_typeIiEELj1ELj37EENSt9enable_ifIXntsr10test_utilsE35device_test_enabled_for_warp_size_vIXT1_EEEvE4typeEPT_S7_,"axG",@progbits,_Z26warp_inclusive_scan_kernelIN10test_utils16custom_test_typeIiEELj1ELj37EENSt9enable_ifIXntsr10test_utilsE35device_test_enabled_for_warp_size_vIXT1_EEEvE4typeEPT_S7_,comdat
.Lfunc_end292:
	.size	_Z26warp_inclusive_scan_kernelIN10test_utils16custom_test_typeIiEELj1ELj37EENSt9enable_ifIXntsr10test_utilsE35device_test_enabled_for_warp_size_vIXT1_EEEvE4typeEPT_S7_, .Lfunc_end292-_Z26warp_inclusive_scan_kernelIN10test_utils16custom_test_typeIiEELj1ELj37EENSt9enable_ifIXntsr10test_utilsE35device_test_enabled_for_warp_size_vIXT1_EEEvE4typeEPT_S7_
                                        ; -- End function
	.section	.AMDGPU.csdata,"",@progbits
; Kernel info:
; codeLenInByte = 4
; NumSgprs: 0
; NumVgprs: 0
; ScratchSize: 0
; MemoryBound: 0
; FloatMode: 240
; IeeeMode: 1
; LDSByteSize: 0 bytes/workgroup (compile time only)
; SGPRBlocks: 0
; VGPRBlocks: 0
; NumSGPRsForWavesPerEU: 1
; NumVGPRsForWavesPerEU: 1
; Occupancy: 16
; WaveLimiterHint : 0
; COMPUTE_PGM_RSRC2:SCRATCH_EN: 0
; COMPUTE_PGM_RSRC2:USER_SGPR: 15
; COMPUTE_PGM_RSRC2:TRAP_HANDLER: 0
; COMPUTE_PGM_RSRC2:TGID_X_EN: 1
; COMPUTE_PGM_RSRC2:TGID_Y_EN: 0
; COMPUTE_PGM_RSRC2:TGID_Z_EN: 0
; COMPUTE_PGM_RSRC2:TIDIG_COMP_CNT: 0
	.section	.text._Z26warp_inclusive_scan_kernelIN10test_utils16custom_test_typeIiEELj37ELj37EENSt9enable_ifIXntsr10test_utilsE35device_test_enabled_for_warp_size_vIXT1_EEEvE4typeEPT_S7_,"axG",@progbits,_Z26warp_inclusive_scan_kernelIN10test_utils16custom_test_typeIiEELj37ELj37EENSt9enable_ifIXntsr10test_utilsE35device_test_enabled_for_warp_size_vIXT1_EEEvE4typeEPT_S7_,comdat
	.protected	_Z26warp_inclusive_scan_kernelIN10test_utils16custom_test_typeIiEELj37ELj37EENSt9enable_ifIXntsr10test_utilsE35device_test_enabled_for_warp_size_vIXT1_EEEvE4typeEPT_S7_ ; -- Begin function _Z26warp_inclusive_scan_kernelIN10test_utils16custom_test_typeIiEELj37ELj37EENSt9enable_ifIXntsr10test_utilsE35device_test_enabled_for_warp_size_vIXT1_EEEvE4typeEPT_S7_
	.globl	_Z26warp_inclusive_scan_kernelIN10test_utils16custom_test_typeIiEELj37ELj37EENSt9enable_ifIXntsr10test_utilsE35device_test_enabled_for_warp_size_vIXT1_EEEvE4typeEPT_S7_
	.p2align	8
	.type	_Z26warp_inclusive_scan_kernelIN10test_utils16custom_test_typeIiEELj37ELj37EENSt9enable_ifIXntsr10test_utilsE35device_test_enabled_for_warp_size_vIXT1_EEEvE4typeEPT_S7_,@function
_Z26warp_inclusive_scan_kernelIN10test_utils16custom_test_typeIiEELj37ELj37EENSt9enable_ifIXntsr10test_utilsE35device_test_enabled_for_warp_size_vIXT1_EEEvE4typeEPT_S7_: ; @_Z26warp_inclusive_scan_kernelIN10test_utils16custom_test_typeIiEELj37ELj37EENSt9enable_ifIXntsr10test_utilsE35device_test_enabled_for_warp_size_vIXT1_EEEvE4typeEPT_S7_
; %bb.0:
	s_endpgm
	.section	.rodata,"a",@progbits
	.p2align	6, 0x0
	.amdhsa_kernel _Z26warp_inclusive_scan_kernelIN10test_utils16custom_test_typeIiEELj37ELj37EENSt9enable_ifIXntsr10test_utilsE35device_test_enabled_for_warp_size_vIXT1_EEEvE4typeEPT_S7_
		.amdhsa_group_segment_fixed_size 0
		.amdhsa_private_segment_fixed_size 0
		.amdhsa_kernarg_size 16
		.amdhsa_user_sgpr_count 15
		.amdhsa_user_sgpr_dispatch_ptr 0
		.amdhsa_user_sgpr_queue_ptr 0
		.amdhsa_user_sgpr_kernarg_segment_ptr 1
		.amdhsa_user_sgpr_dispatch_id 0
		.amdhsa_user_sgpr_private_segment_size 0
		.amdhsa_wavefront_size32 1
		.amdhsa_uses_dynamic_stack 0
		.amdhsa_enable_private_segment 0
		.amdhsa_system_sgpr_workgroup_id_x 1
		.amdhsa_system_sgpr_workgroup_id_y 0
		.amdhsa_system_sgpr_workgroup_id_z 0
		.amdhsa_system_sgpr_workgroup_info 0
		.amdhsa_system_vgpr_workitem_id 0
		.amdhsa_next_free_vgpr 1
		.amdhsa_next_free_sgpr 1
		.amdhsa_reserve_vcc 0
		.amdhsa_float_round_mode_32 0
		.amdhsa_float_round_mode_16_64 0
		.amdhsa_float_denorm_mode_32 3
		.amdhsa_float_denorm_mode_16_64 3
		.amdhsa_dx10_clamp 1
		.amdhsa_ieee_mode 1
		.amdhsa_fp16_overflow 0
		.amdhsa_workgroup_processor_mode 1
		.amdhsa_memory_ordered 1
		.amdhsa_forward_progress 0
		.amdhsa_shared_vgpr_count 0
		.amdhsa_exception_fp_ieee_invalid_op 0
		.amdhsa_exception_fp_denorm_src 0
		.amdhsa_exception_fp_ieee_div_zero 0
		.amdhsa_exception_fp_ieee_overflow 0
		.amdhsa_exception_fp_ieee_underflow 0
		.amdhsa_exception_fp_ieee_inexact 0
		.amdhsa_exception_int_div_zero 0
	.end_amdhsa_kernel
	.section	.text._Z26warp_inclusive_scan_kernelIN10test_utils16custom_test_typeIiEELj37ELj37EENSt9enable_ifIXntsr10test_utilsE35device_test_enabled_for_warp_size_vIXT1_EEEvE4typeEPT_S7_,"axG",@progbits,_Z26warp_inclusive_scan_kernelIN10test_utils16custom_test_typeIiEELj37ELj37EENSt9enable_ifIXntsr10test_utilsE35device_test_enabled_for_warp_size_vIXT1_EEEvE4typeEPT_S7_,comdat
.Lfunc_end293:
	.size	_Z26warp_inclusive_scan_kernelIN10test_utils16custom_test_typeIiEELj37ELj37EENSt9enable_ifIXntsr10test_utilsE35device_test_enabled_for_warp_size_vIXT1_EEEvE4typeEPT_S7_, .Lfunc_end293-_Z26warp_inclusive_scan_kernelIN10test_utils16custom_test_typeIiEELj37ELj37EENSt9enable_ifIXntsr10test_utilsE35device_test_enabled_for_warp_size_vIXT1_EEEvE4typeEPT_S7_
                                        ; -- End function
	.section	.AMDGPU.csdata,"",@progbits
; Kernel info:
; codeLenInByte = 4
; NumSgprs: 0
; NumVgprs: 0
; ScratchSize: 0
; MemoryBound: 0
; FloatMode: 240
; IeeeMode: 1
; LDSByteSize: 0 bytes/workgroup (compile time only)
; SGPRBlocks: 0
; VGPRBlocks: 0
; NumSGPRsForWavesPerEU: 1
; NumVGPRsForWavesPerEU: 1
; Occupancy: 16
; WaveLimiterHint : 0
; COMPUTE_PGM_RSRC2:SCRATCH_EN: 0
; COMPUTE_PGM_RSRC2:USER_SGPR: 15
; COMPUTE_PGM_RSRC2:TRAP_HANDLER: 0
; COMPUTE_PGM_RSRC2:TGID_X_EN: 1
; COMPUTE_PGM_RSRC2:TGID_Y_EN: 0
; COMPUTE_PGM_RSRC2:TGID_Z_EN: 0
; COMPUTE_PGM_RSRC2:TIDIG_COMP_CNT: 0
	.section	.text._Z26warp_inclusive_scan_kernelIN10test_utils16custom_test_typeIiEELj30ELj15EENSt9enable_ifIXsr10test_utilsE35device_test_enabled_for_warp_size_vIXT1_EEEvE4typeEPT_S7_,"axG",@progbits,_Z26warp_inclusive_scan_kernelIN10test_utils16custom_test_typeIiEELj30ELj15EENSt9enable_ifIXsr10test_utilsE35device_test_enabled_for_warp_size_vIXT1_EEEvE4typeEPT_S7_,comdat
	.protected	_Z26warp_inclusive_scan_kernelIN10test_utils16custom_test_typeIiEELj30ELj15EENSt9enable_ifIXsr10test_utilsE35device_test_enabled_for_warp_size_vIXT1_EEEvE4typeEPT_S7_ ; -- Begin function _Z26warp_inclusive_scan_kernelIN10test_utils16custom_test_typeIiEELj30ELj15EENSt9enable_ifIXsr10test_utilsE35device_test_enabled_for_warp_size_vIXT1_EEEvE4typeEPT_S7_
	.globl	_Z26warp_inclusive_scan_kernelIN10test_utils16custom_test_typeIiEELj30ELj15EENSt9enable_ifIXsr10test_utilsE35device_test_enabled_for_warp_size_vIXT1_EEEvE4typeEPT_S7_
	.p2align	8
	.type	_Z26warp_inclusive_scan_kernelIN10test_utils16custom_test_typeIiEELj30ELj15EENSt9enable_ifIXsr10test_utilsE35device_test_enabled_for_warp_size_vIXT1_EEEvE4typeEPT_S7_,@function
_Z26warp_inclusive_scan_kernelIN10test_utils16custom_test_typeIiEELj30ELj15EENSt9enable_ifIXsr10test_utilsE35device_test_enabled_for_warp_size_vIXT1_EEEvE4typeEPT_S7_: ; @_Z26warp_inclusive_scan_kernelIN10test_utils16custom_test_typeIiEELj30ELj15EENSt9enable_ifIXsr10test_utilsE35device_test_enabled_for_warp_size_vIXT1_EEEvE4typeEPT_S7_
; %bb.0:
	s_clause 0x1
	s_load_b32 s4, s[0:1], 0x1c
	s_load_b128 s[0:3], s[0:1], 0x0
	v_mbcnt_lo_u32_b32 v5, -1, 0
	s_delay_alu instid0(VALU_DEP_1) | instskip(NEXT) | instid1(VALU_DEP_1)
	v_mul_hi_u32 v6, 0x11111112, v5
	v_mul_u32_u24_e32 v6, 15, v6
	s_delay_alu instid0(VALU_DEP_1) | instskip(SKIP_2) | instid1(SALU_CYCLE_1)
	v_sub_nc_u32_e32 v5, v5, v6
	s_waitcnt lgkmcnt(0)
	s_and_b32 s4, s4, 0xffff
	v_mad_u64_u32 v[1:2], null, s15, s4, v[0:1]
	v_mov_b32_e32 v2, 0
	v_mul_u32_u24_e32 v0, 0x1112, v0
	v_lshlrev_b32_e32 v6, 3, v5
	s_delay_alu instid0(VALU_DEP_2) | instskip(NEXT) | instid1(VALU_DEP_4)
	v_lshrrev_b32_e32 v0, 16, v0
	v_lshlrev_b64 v[3:4], 3, v[1:2]
	s_delay_alu instid0(VALU_DEP_2) | instskip(NEXT) | instid1(VALU_DEP_2)
	v_mad_u32_u24 v0, 0x78, v0, v6
	v_add_co_u32 v1, vcc_lo, s0, v3
	s_delay_alu instid0(VALU_DEP_3)
	v_add_co_ci_u32_e32 v2, vcc_lo, s1, v4, vcc_lo
	v_cmp_ne_u32_e32 vcc_lo, 0, v5
	global_load_b64 v[1:2], v[1:2], off
	s_waitcnt vmcnt(0)
	ds_store_2addr_b32 v0, v1, v2 offset1:1
	; wave barrier
	s_and_saveexec_b32 s0, vcc_lo
	s_cbranch_execz .LBB294_2
; %bb.1:
	v_add_nc_u32_e32 v6, -8, v0
	ds_load_2addr_b32 v[6:7], v6 offset1:1
	s_waitcnt lgkmcnt(0)
	v_add_nc_u32_e32 v1, v6, v1
	v_add_nc_u32_e32 v2, v7, v2
.LBB294_2:
	s_or_b32 exec_lo, exec_lo, s0
	; wave barrier
	s_and_saveexec_b32 s0, vcc_lo
	s_cbranch_execz .LBB294_4
; %bb.3:
	ds_store_2addr_b32 v0, v1, v2 offset1:1
.LBB294_4:
	s_or_b32 exec_lo, exec_lo, s0
	v_cmp_lt_u32_e32 vcc_lo, 1, v5
	; wave barrier
	s_and_saveexec_b32 s0, vcc_lo
	s_cbranch_execz .LBB294_6
; %bb.5:
	v_add_nc_u32_e32 v6, -16, v0
	ds_load_2addr_b32 v[6:7], v6 offset1:1
	s_waitcnt lgkmcnt(0)
	v_add_nc_u32_e32 v1, v1, v6
	v_add_nc_u32_e32 v2, v2, v7
.LBB294_6:
	s_or_b32 exec_lo, exec_lo, s0
	; wave barrier
	s_and_saveexec_b32 s0, vcc_lo
	s_cbranch_execz .LBB294_8
; %bb.7:
	ds_store_2addr_b32 v0, v1, v2 offset1:1
.LBB294_8:
	s_or_b32 exec_lo, exec_lo, s0
	v_cmp_lt_u32_e32 vcc_lo, 3, v5
	; wave barrier
	s_and_saveexec_b32 s0, vcc_lo
	s_cbranch_execz .LBB294_10
; %bb.9:
	v_subrev_nc_u32_e32 v6, 32, v0
	ds_load_2addr_b32 v[6:7], v6 offset1:1
	s_waitcnt lgkmcnt(0)
	v_add_nc_u32_e32 v1, v1, v6
	v_add_nc_u32_e32 v2, v2, v7
.LBB294_10:
	s_or_b32 exec_lo, exec_lo, s0
	; wave barrier
	s_and_saveexec_b32 s0, vcc_lo
	s_cbranch_execz .LBB294_12
; %bb.11:
	ds_store_2addr_b32 v0, v1, v2 offset1:1
.LBB294_12:
	s_or_b32 exec_lo, exec_lo, s0
	v_cmp_lt_u32_e32 vcc_lo, 7, v5
	; wave barrier
	s_and_saveexec_b32 s0, vcc_lo
	s_cbranch_execz .LBB294_14
; %bb.13:
	v_subrev_nc_u32_e32 v5, 64, v0
	ds_load_2addr_b32 v[5:6], v5 offset1:1
	s_waitcnt lgkmcnt(0)
	v_add_nc_u32_e32 v1, v1, v5
	v_add_nc_u32_e32 v2, v2, v6
.LBB294_14:
	s_or_b32 exec_lo, exec_lo, s0
	; wave barrier
	s_and_saveexec_b32 s0, vcc_lo
	s_cbranch_execz .LBB294_16
; %bb.15:
	ds_store_2addr_b32 v0, v1, v2 offset1:1
.LBB294_16:
	s_or_b32 exec_lo, exec_lo, s0
	v_add_co_u32 v3, vcc_lo, s2, v3
	v_add_co_ci_u32_e32 v4, vcc_lo, s3, v4, vcc_lo
	; wave barrier
	global_store_b64 v[3:4], v[1:2], off
	s_nop 0
	s_sendmsg sendmsg(MSG_DEALLOC_VGPRS)
	s_endpgm
	.section	.rodata,"a",@progbits
	.p2align	6, 0x0
	.amdhsa_kernel _Z26warp_inclusive_scan_kernelIN10test_utils16custom_test_typeIiEELj30ELj15EENSt9enable_ifIXsr10test_utilsE35device_test_enabled_for_warp_size_vIXT1_EEEvE4typeEPT_S7_
		.amdhsa_group_segment_fixed_size 240
		.amdhsa_private_segment_fixed_size 0
		.amdhsa_kernarg_size 272
		.amdhsa_user_sgpr_count 15
		.amdhsa_user_sgpr_dispatch_ptr 0
		.amdhsa_user_sgpr_queue_ptr 0
		.amdhsa_user_sgpr_kernarg_segment_ptr 1
		.amdhsa_user_sgpr_dispatch_id 0
		.amdhsa_user_sgpr_private_segment_size 0
		.amdhsa_wavefront_size32 1
		.amdhsa_uses_dynamic_stack 0
		.amdhsa_enable_private_segment 0
		.amdhsa_system_sgpr_workgroup_id_x 1
		.amdhsa_system_sgpr_workgroup_id_y 0
		.amdhsa_system_sgpr_workgroup_id_z 0
		.amdhsa_system_sgpr_workgroup_info 0
		.amdhsa_system_vgpr_workitem_id 0
		.amdhsa_next_free_vgpr 8
		.amdhsa_next_free_sgpr 16
		.amdhsa_reserve_vcc 1
		.amdhsa_float_round_mode_32 0
		.amdhsa_float_round_mode_16_64 0
		.amdhsa_float_denorm_mode_32 3
		.amdhsa_float_denorm_mode_16_64 3
		.amdhsa_dx10_clamp 1
		.amdhsa_ieee_mode 1
		.amdhsa_fp16_overflow 0
		.amdhsa_workgroup_processor_mode 1
		.amdhsa_memory_ordered 1
		.amdhsa_forward_progress 0
		.amdhsa_shared_vgpr_count 0
		.amdhsa_exception_fp_ieee_invalid_op 0
		.amdhsa_exception_fp_denorm_src 0
		.amdhsa_exception_fp_ieee_div_zero 0
		.amdhsa_exception_fp_ieee_overflow 0
		.amdhsa_exception_fp_ieee_underflow 0
		.amdhsa_exception_fp_ieee_inexact 0
		.amdhsa_exception_int_div_zero 0
	.end_amdhsa_kernel
	.section	.text._Z26warp_inclusive_scan_kernelIN10test_utils16custom_test_typeIiEELj30ELj15EENSt9enable_ifIXsr10test_utilsE35device_test_enabled_for_warp_size_vIXT1_EEEvE4typeEPT_S7_,"axG",@progbits,_Z26warp_inclusive_scan_kernelIN10test_utils16custom_test_typeIiEELj30ELj15EENSt9enable_ifIXsr10test_utilsE35device_test_enabled_for_warp_size_vIXT1_EEEvE4typeEPT_S7_,comdat
.Lfunc_end294:
	.size	_Z26warp_inclusive_scan_kernelIN10test_utils16custom_test_typeIiEELj30ELj15EENSt9enable_ifIXsr10test_utilsE35device_test_enabled_for_warp_size_vIXT1_EEEvE4typeEPT_S7_, .Lfunc_end294-_Z26warp_inclusive_scan_kernelIN10test_utils16custom_test_typeIiEELj30ELj15EENSt9enable_ifIXsr10test_utilsE35device_test_enabled_for_warp_size_vIXT1_EEEvE4typeEPT_S7_
                                        ; -- End function
	.section	.AMDGPU.csdata,"",@progbits
; Kernel info:
; codeLenInByte = 432
; NumSgprs: 18
; NumVgprs: 8
; ScratchSize: 0
; MemoryBound: 0
; FloatMode: 240
; IeeeMode: 1
; LDSByteSize: 240 bytes/workgroup (compile time only)
; SGPRBlocks: 2
; VGPRBlocks: 0
; NumSGPRsForWavesPerEU: 18
; NumVGPRsForWavesPerEU: 8
; Occupancy: 16
; WaveLimiterHint : 0
; COMPUTE_PGM_RSRC2:SCRATCH_EN: 0
; COMPUTE_PGM_RSRC2:USER_SGPR: 15
; COMPUTE_PGM_RSRC2:TRAP_HANDLER: 0
; COMPUTE_PGM_RSRC2:TGID_X_EN: 1
; COMPUTE_PGM_RSRC2:TGID_Y_EN: 0
; COMPUTE_PGM_RSRC2:TGID_Z_EN: 0
; COMPUTE_PGM_RSRC2:TIDIG_COMP_CNT: 0
	.section	.text._Z26warp_inclusive_scan_kernelIN10test_utils16custom_test_typeIiEELj60ELj15EENSt9enable_ifIXsr10test_utilsE35device_test_enabled_for_warp_size_vIXT1_EEEvE4typeEPT_S7_,"axG",@progbits,_Z26warp_inclusive_scan_kernelIN10test_utils16custom_test_typeIiEELj60ELj15EENSt9enable_ifIXsr10test_utilsE35device_test_enabled_for_warp_size_vIXT1_EEEvE4typeEPT_S7_,comdat
	.protected	_Z26warp_inclusive_scan_kernelIN10test_utils16custom_test_typeIiEELj60ELj15EENSt9enable_ifIXsr10test_utilsE35device_test_enabled_for_warp_size_vIXT1_EEEvE4typeEPT_S7_ ; -- Begin function _Z26warp_inclusive_scan_kernelIN10test_utils16custom_test_typeIiEELj60ELj15EENSt9enable_ifIXsr10test_utilsE35device_test_enabled_for_warp_size_vIXT1_EEEvE4typeEPT_S7_
	.globl	_Z26warp_inclusive_scan_kernelIN10test_utils16custom_test_typeIiEELj60ELj15EENSt9enable_ifIXsr10test_utilsE35device_test_enabled_for_warp_size_vIXT1_EEEvE4typeEPT_S7_
	.p2align	8
	.type	_Z26warp_inclusive_scan_kernelIN10test_utils16custom_test_typeIiEELj60ELj15EENSt9enable_ifIXsr10test_utilsE35device_test_enabled_for_warp_size_vIXT1_EEEvE4typeEPT_S7_,@function
_Z26warp_inclusive_scan_kernelIN10test_utils16custom_test_typeIiEELj60ELj15EENSt9enable_ifIXsr10test_utilsE35device_test_enabled_for_warp_size_vIXT1_EEEvE4typeEPT_S7_: ; @_Z26warp_inclusive_scan_kernelIN10test_utils16custom_test_typeIiEELj60ELj15EENSt9enable_ifIXsr10test_utilsE35device_test_enabled_for_warp_size_vIXT1_EEEvE4typeEPT_S7_
; %bb.0:
	s_clause 0x1
	s_load_b32 s4, s[0:1], 0x1c
	s_load_b128 s[0:3], s[0:1], 0x0
	v_mbcnt_lo_u32_b32 v5, -1, 0
	s_delay_alu instid0(VALU_DEP_1) | instskip(NEXT) | instid1(VALU_DEP_1)
	v_mul_hi_u32 v6, 0x11111112, v5
	v_mul_u32_u24_e32 v6, 15, v6
	s_delay_alu instid0(VALU_DEP_1) | instskip(SKIP_2) | instid1(SALU_CYCLE_1)
	v_sub_nc_u32_e32 v5, v5, v6
	s_waitcnt lgkmcnt(0)
	s_and_b32 s4, s4, 0xffff
	v_mad_u64_u32 v[1:2], null, s15, s4, v[0:1]
	v_mov_b32_e32 v2, 0
	v_mul_u32_u24_e32 v0, 0x1112, v0
	v_lshlrev_b32_e32 v6, 3, v5
	s_delay_alu instid0(VALU_DEP_2) | instskip(NEXT) | instid1(VALU_DEP_4)
	v_lshrrev_b32_e32 v0, 16, v0
	v_lshlrev_b64 v[3:4], 3, v[1:2]
	s_delay_alu instid0(VALU_DEP_2) | instskip(NEXT) | instid1(VALU_DEP_2)
	v_mad_u32_u24 v0, 0x78, v0, v6
	v_add_co_u32 v1, vcc_lo, s0, v3
	s_delay_alu instid0(VALU_DEP_3)
	v_add_co_ci_u32_e32 v2, vcc_lo, s1, v4, vcc_lo
	v_cmp_ne_u32_e32 vcc_lo, 0, v5
	global_load_b64 v[1:2], v[1:2], off
	s_waitcnt vmcnt(0)
	ds_store_2addr_b32 v0, v1, v2 offset1:1
	; wave barrier
	s_and_saveexec_b32 s0, vcc_lo
	s_cbranch_execz .LBB295_2
; %bb.1:
	v_add_nc_u32_e32 v6, -8, v0
	ds_load_2addr_b32 v[6:7], v6 offset1:1
	s_waitcnt lgkmcnt(0)
	v_add_nc_u32_e32 v1, v6, v1
	v_add_nc_u32_e32 v2, v7, v2
.LBB295_2:
	s_or_b32 exec_lo, exec_lo, s0
	; wave barrier
	s_and_saveexec_b32 s0, vcc_lo
	s_cbranch_execz .LBB295_4
; %bb.3:
	ds_store_2addr_b32 v0, v1, v2 offset1:1
.LBB295_4:
	s_or_b32 exec_lo, exec_lo, s0
	v_cmp_lt_u32_e32 vcc_lo, 1, v5
	; wave barrier
	s_and_saveexec_b32 s0, vcc_lo
	s_cbranch_execz .LBB295_6
; %bb.5:
	v_add_nc_u32_e32 v6, -16, v0
	ds_load_2addr_b32 v[6:7], v6 offset1:1
	s_waitcnt lgkmcnt(0)
	v_add_nc_u32_e32 v1, v1, v6
	v_add_nc_u32_e32 v2, v2, v7
.LBB295_6:
	s_or_b32 exec_lo, exec_lo, s0
	; wave barrier
	s_and_saveexec_b32 s0, vcc_lo
	s_cbranch_execz .LBB295_8
; %bb.7:
	ds_store_2addr_b32 v0, v1, v2 offset1:1
.LBB295_8:
	s_or_b32 exec_lo, exec_lo, s0
	v_cmp_lt_u32_e32 vcc_lo, 3, v5
	; wave barrier
	s_and_saveexec_b32 s0, vcc_lo
	s_cbranch_execz .LBB295_10
; %bb.9:
	v_subrev_nc_u32_e32 v6, 32, v0
	ds_load_2addr_b32 v[6:7], v6 offset1:1
	s_waitcnt lgkmcnt(0)
	v_add_nc_u32_e32 v1, v1, v6
	v_add_nc_u32_e32 v2, v2, v7
.LBB295_10:
	s_or_b32 exec_lo, exec_lo, s0
	; wave barrier
	s_and_saveexec_b32 s0, vcc_lo
	s_cbranch_execz .LBB295_12
; %bb.11:
	ds_store_2addr_b32 v0, v1, v2 offset1:1
.LBB295_12:
	s_or_b32 exec_lo, exec_lo, s0
	v_cmp_lt_u32_e32 vcc_lo, 7, v5
	; wave barrier
	s_and_saveexec_b32 s0, vcc_lo
	s_cbranch_execz .LBB295_14
; %bb.13:
	v_subrev_nc_u32_e32 v5, 64, v0
	ds_load_2addr_b32 v[5:6], v5 offset1:1
	s_waitcnt lgkmcnt(0)
	v_add_nc_u32_e32 v1, v1, v5
	v_add_nc_u32_e32 v2, v2, v6
.LBB295_14:
	s_or_b32 exec_lo, exec_lo, s0
	; wave barrier
	s_and_saveexec_b32 s0, vcc_lo
	s_cbranch_execz .LBB295_16
; %bb.15:
	ds_store_2addr_b32 v0, v1, v2 offset1:1
.LBB295_16:
	s_or_b32 exec_lo, exec_lo, s0
	v_add_co_u32 v3, vcc_lo, s2, v3
	v_add_co_ci_u32_e32 v4, vcc_lo, s3, v4, vcc_lo
	; wave barrier
	global_store_b64 v[3:4], v[1:2], off
	s_nop 0
	s_sendmsg sendmsg(MSG_DEALLOC_VGPRS)
	s_endpgm
	.section	.rodata,"a",@progbits
	.p2align	6, 0x0
	.amdhsa_kernel _Z26warp_inclusive_scan_kernelIN10test_utils16custom_test_typeIiEELj60ELj15EENSt9enable_ifIXsr10test_utilsE35device_test_enabled_for_warp_size_vIXT1_EEEvE4typeEPT_S7_
		.amdhsa_group_segment_fixed_size 480
		.amdhsa_private_segment_fixed_size 0
		.amdhsa_kernarg_size 272
		.amdhsa_user_sgpr_count 15
		.amdhsa_user_sgpr_dispatch_ptr 0
		.amdhsa_user_sgpr_queue_ptr 0
		.amdhsa_user_sgpr_kernarg_segment_ptr 1
		.amdhsa_user_sgpr_dispatch_id 0
		.amdhsa_user_sgpr_private_segment_size 0
		.amdhsa_wavefront_size32 1
		.amdhsa_uses_dynamic_stack 0
		.amdhsa_enable_private_segment 0
		.amdhsa_system_sgpr_workgroup_id_x 1
		.amdhsa_system_sgpr_workgroup_id_y 0
		.amdhsa_system_sgpr_workgroup_id_z 0
		.amdhsa_system_sgpr_workgroup_info 0
		.amdhsa_system_vgpr_workitem_id 0
		.amdhsa_next_free_vgpr 8
		.amdhsa_next_free_sgpr 16
		.amdhsa_reserve_vcc 1
		.amdhsa_float_round_mode_32 0
		.amdhsa_float_round_mode_16_64 0
		.amdhsa_float_denorm_mode_32 3
		.amdhsa_float_denorm_mode_16_64 3
		.amdhsa_dx10_clamp 1
		.amdhsa_ieee_mode 1
		.amdhsa_fp16_overflow 0
		.amdhsa_workgroup_processor_mode 1
		.amdhsa_memory_ordered 1
		.amdhsa_forward_progress 0
		.amdhsa_shared_vgpr_count 0
		.amdhsa_exception_fp_ieee_invalid_op 0
		.amdhsa_exception_fp_denorm_src 0
		.amdhsa_exception_fp_ieee_div_zero 0
		.amdhsa_exception_fp_ieee_overflow 0
		.amdhsa_exception_fp_ieee_underflow 0
		.amdhsa_exception_fp_ieee_inexact 0
		.amdhsa_exception_int_div_zero 0
	.end_amdhsa_kernel
	.section	.text._Z26warp_inclusive_scan_kernelIN10test_utils16custom_test_typeIiEELj60ELj15EENSt9enable_ifIXsr10test_utilsE35device_test_enabled_for_warp_size_vIXT1_EEEvE4typeEPT_S7_,"axG",@progbits,_Z26warp_inclusive_scan_kernelIN10test_utils16custom_test_typeIiEELj60ELj15EENSt9enable_ifIXsr10test_utilsE35device_test_enabled_for_warp_size_vIXT1_EEEvE4typeEPT_S7_,comdat
.Lfunc_end295:
	.size	_Z26warp_inclusive_scan_kernelIN10test_utils16custom_test_typeIiEELj60ELj15EENSt9enable_ifIXsr10test_utilsE35device_test_enabled_for_warp_size_vIXT1_EEEvE4typeEPT_S7_, .Lfunc_end295-_Z26warp_inclusive_scan_kernelIN10test_utils16custom_test_typeIiEELj60ELj15EENSt9enable_ifIXsr10test_utilsE35device_test_enabled_for_warp_size_vIXT1_EEEvE4typeEPT_S7_
                                        ; -- End function
	.section	.AMDGPU.csdata,"",@progbits
; Kernel info:
; codeLenInByte = 432
; NumSgprs: 18
; NumVgprs: 8
; ScratchSize: 0
; MemoryBound: 0
; FloatMode: 240
; IeeeMode: 1
; LDSByteSize: 480 bytes/workgroup (compile time only)
; SGPRBlocks: 2
; VGPRBlocks: 0
; NumSGPRsForWavesPerEU: 18
; NumVGPRsForWavesPerEU: 8
; Occupancy: 16
; WaveLimiterHint : 0
; COMPUTE_PGM_RSRC2:SCRATCH_EN: 0
; COMPUTE_PGM_RSRC2:USER_SGPR: 15
; COMPUTE_PGM_RSRC2:TRAP_HANDLER: 0
; COMPUTE_PGM_RSRC2:TGID_X_EN: 1
; COMPUTE_PGM_RSRC2:TGID_Y_EN: 0
; COMPUTE_PGM_RSRC2:TGID_Z_EN: 0
; COMPUTE_PGM_RSRC2:TIDIG_COMP_CNT: 0
	.section	.text._Z26warp_inclusive_scan_kernelIN10test_utils16custom_test_typeIiEELj28ELj7EENSt9enable_ifIXsr10test_utilsE35device_test_enabled_for_warp_size_vIXT1_EEEvE4typeEPT_S7_,"axG",@progbits,_Z26warp_inclusive_scan_kernelIN10test_utils16custom_test_typeIiEELj28ELj7EENSt9enable_ifIXsr10test_utilsE35device_test_enabled_for_warp_size_vIXT1_EEEvE4typeEPT_S7_,comdat
	.protected	_Z26warp_inclusive_scan_kernelIN10test_utils16custom_test_typeIiEELj28ELj7EENSt9enable_ifIXsr10test_utilsE35device_test_enabled_for_warp_size_vIXT1_EEEvE4typeEPT_S7_ ; -- Begin function _Z26warp_inclusive_scan_kernelIN10test_utils16custom_test_typeIiEELj28ELj7EENSt9enable_ifIXsr10test_utilsE35device_test_enabled_for_warp_size_vIXT1_EEEvE4typeEPT_S7_
	.globl	_Z26warp_inclusive_scan_kernelIN10test_utils16custom_test_typeIiEELj28ELj7EENSt9enable_ifIXsr10test_utilsE35device_test_enabled_for_warp_size_vIXT1_EEEvE4typeEPT_S7_
	.p2align	8
	.type	_Z26warp_inclusive_scan_kernelIN10test_utils16custom_test_typeIiEELj28ELj7EENSt9enable_ifIXsr10test_utilsE35device_test_enabled_for_warp_size_vIXT1_EEEvE4typeEPT_S7_,@function
_Z26warp_inclusive_scan_kernelIN10test_utils16custom_test_typeIiEELj28ELj7EENSt9enable_ifIXsr10test_utilsE35device_test_enabled_for_warp_size_vIXT1_EEEvE4typeEPT_S7_: ; @_Z26warp_inclusive_scan_kernelIN10test_utils16custom_test_typeIiEELj28ELj7EENSt9enable_ifIXsr10test_utilsE35device_test_enabled_for_warp_size_vIXT1_EEEvE4typeEPT_S7_
; %bb.0:
	s_clause 0x1
	s_load_b32 s4, s[0:1], 0x1c
	s_load_b128 s[0:3], s[0:1], 0x0
	v_mbcnt_lo_u32_b32 v5, -1, 0
	s_delay_alu instid0(VALU_DEP_1) | instskip(NEXT) | instid1(VALU_DEP_1)
	v_mul_hi_u32 v6, 0x24924925, v5
	v_mul_u32_u24_e32 v6, 7, v6
	s_delay_alu instid0(VALU_DEP_1) | instskip(SKIP_2) | instid1(SALU_CYCLE_1)
	v_sub_nc_u32_e32 v5, v5, v6
	s_waitcnt lgkmcnt(0)
	s_and_b32 s4, s4, 0xffff
	v_mad_u64_u32 v[1:2], null, s15, s4, v[0:1]
	v_mov_b32_e32 v2, 0
	v_mul_u32_u24_e32 v0, 0x2493, v0
	v_lshlrev_b32_e32 v6, 3, v5
	s_delay_alu instid0(VALU_DEP_2) | instskip(NEXT) | instid1(VALU_DEP_4)
	v_lshrrev_b32_e32 v0, 16, v0
	v_lshlrev_b64 v[3:4], 3, v[1:2]
	s_delay_alu instid0(VALU_DEP_2) | instskip(NEXT) | instid1(VALU_DEP_2)
	v_mad_u32_u24 v0, v0, 56, v6
	v_add_co_u32 v1, vcc_lo, s0, v3
	s_delay_alu instid0(VALU_DEP_3)
	v_add_co_ci_u32_e32 v2, vcc_lo, s1, v4, vcc_lo
	v_cmp_ne_u32_e32 vcc_lo, 0, v5
	global_load_b64 v[1:2], v[1:2], off
	s_waitcnt vmcnt(0)
	ds_store_2addr_b32 v0, v1, v2 offset1:1
	; wave barrier
	s_and_saveexec_b32 s0, vcc_lo
	s_cbranch_execz .LBB296_2
; %bb.1:
	v_add_nc_u32_e32 v6, -8, v0
	ds_load_2addr_b32 v[6:7], v6 offset1:1
	s_waitcnt lgkmcnt(0)
	v_add_nc_u32_e32 v1, v6, v1
	v_add_nc_u32_e32 v2, v7, v2
.LBB296_2:
	s_or_b32 exec_lo, exec_lo, s0
	; wave barrier
	s_and_saveexec_b32 s0, vcc_lo
	s_cbranch_execz .LBB296_4
; %bb.3:
	ds_store_2addr_b32 v0, v1, v2 offset1:1
.LBB296_4:
	s_or_b32 exec_lo, exec_lo, s0
	v_cmp_lt_u32_e32 vcc_lo, 1, v5
	; wave barrier
	s_and_saveexec_b32 s0, vcc_lo
	s_cbranch_execz .LBB296_6
; %bb.5:
	v_add_nc_u32_e32 v6, -16, v0
	ds_load_2addr_b32 v[6:7], v6 offset1:1
	s_waitcnt lgkmcnt(0)
	v_add_nc_u32_e32 v1, v1, v6
	v_add_nc_u32_e32 v2, v2, v7
.LBB296_6:
	s_or_b32 exec_lo, exec_lo, s0
	; wave barrier
	s_and_saveexec_b32 s0, vcc_lo
	s_cbranch_execz .LBB296_8
; %bb.7:
	ds_store_2addr_b32 v0, v1, v2 offset1:1
.LBB296_8:
	s_or_b32 exec_lo, exec_lo, s0
	v_cmp_lt_u32_e32 vcc_lo, 3, v5
	; wave barrier
	s_and_saveexec_b32 s0, vcc_lo
	s_cbranch_execz .LBB296_10
; %bb.9:
	v_subrev_nc_u32_e32 v5, 32, v0
	ds_load_2addr_b32 v[5:6], v5 offset1:1
	s_waitcnt lgkmcnt(0)
	v_add_nc_u32_e32 v1, v1, v5
	v_add_nc_u32_e32 v2, v2, v6
.LBB296_10:
	s_or_b32 exec_lo, exec_lo, s0
	; wave barrier
	s_and_saveexec_b32 s0, vcc_lo
	s_cbranch_execz .LBB296_12
; %bb.11:
	ds_store_2addr_b32 v0, v1, v2 offset1:1
.LBB296_12:
	s_or_b32 exec_lo, exec_lo, s0
	v_add_co_u32 v3, vcc_lo, s2, v3
	v_add_co_ci_u32_e32 v4, vcc_lo, s3, v4, vcc_lo
	; wave barrier
	global_store_b64 v[3:4], v[1:2], off
	s_nop 0
	s_sendmsg sendmsg(MSG_DEALLOC_VGPRS)
	s_endpgm
	.section	.rodata,"a",@progbits
	.p2align	6, 0x0
	.amdhsa_kernel _Z26warp_inclusive_scan_kernelIN10test_utils16custom_test_typeIiEELj28ELj7EENSt9enable_ifIXsr10test_utilsE35device_test_enabled_for_warp_size_vIXT1_EEEvE4typeEPT_S7_
		.amdhsa_group_segment_fixed_size 224
		.amdhsa_private_segment_fixed_size 0
		.amdhsa_kernarg_size 272
		.amdhsa_user_sgpr_count 15
		.amdhsa_user_sgpr_dispatch_ptr 0
		.amdhsa_user_sgpr_queue_ptr 0
		.amdhsa_user_sgpr_kernarg_segment_ptr 1
		.amdhsa_user_sgpr_dispatch_id 0
		.amdhsa_user_sgpr_private_segment_size 0
		.amdhsa_wavefront_size32 1
		.amdhsa_uses_dynamic_stack 0
		.amdhsa_enable_private_segment 0
		.amdhsa_system_sgpr_workgroup_id_x 1
		.amdhsa_system_sgpr_workgroup_id_y 0
		.amdhsa_system_sgpr_workgroup_id_z 0
		.amdhsa_system_sgpr_workgroup_info 0
		.amdhsa_system_vgpr_workitem_id 0
		.amdhsa_next_free_vgpr 8
		.amdhsa_next_free_sgpr 16
		.amdhsa_reserve_vcc 1
		.amdhsa_float_round_mode_32 0
		.amdhsa_float_round_mode_16_64 0
		.amdhsa_float_denorm_mode_32 3
		.amdhsa_float_denorm_mode_16_64 3
		.amdhsa_dx10_clamp 1
		.amdhsa_ieee_mode 1
		.amdhsa_fp16_overflow 0
		.amdhsa_workgroup_processor_mode 1
		.amdhsa_memory_ordered 1
		.amdhsa_forward_progress 0
		.amdhsa_shared_vgpr_count 0
		.amdhsa_exception_fp_ieee_invalid_op 0
		.amdhsa_exception_fp_denorm_src 0
		.amdhsa_exception_fp_ieee_div_zero 0
		.amdhsa_exception_fp_ieee_overflow 0
		.amdhsa_exception_fp_ieee_underflow 0
		.amdhsa_exception_fp_ieee_inexact 0
		.amdhsa_exception_int_div_zero 0
	.end_amdhsa_kernel
	.section	.text._Z26warp_inclusive_scan_kernelIN10test_utils16custom_test_typeIiEELj28ELj7EENSt9enable_ifIXsr10test_utilsE35device_test_enabled_for_warp_size_vIXT1_EEEvE4typeEPT_S7_,"axG",@progbits,_Z26warp_inclusive_scan_kernelIN10test_utils16custom_test_typeIiEELj28ELj7EENSt9enable_ifIXsr10test_utilsE35device_test_enabled_for_warp_size_vIXT1_EEEvE4typeEPT_S7_,comdat
.Lfunc_end296:
	.size	_Z26warp_inclusive_scan_kernelIN10test_utils16custom_test_typeIiEELj28ELj7EENSt9enable_ifIXsr10test_utilsE35device_test_enabled_for_warp_size_vIXT1_EEEvE4typeEPT_S7_, .Lfunc_end296-_Z26warp_inclusive_scan_kernelIN10test_utils16custom_test_typeIiEELj28ELj7EENSt9enable_ifIXsr10test_utilsE35device_test_enabled_for_warp_size_vIXT1_EEEvE4typeEPT_S7_
                                        ; -- End function
	.section	.AMDGPU.csdata,"",@progbits
; Kernel info:
; codeLenInByte = 368
; NumSgprs: 18
; NumVgprs: 8
; ScratchSize: 0
; MemoryBound: 0
; FloatMode: 240
; IeeeMode: 1
; LDSByteSize: 224 bytes/workgroup (compile time only)
; SGPRBlocks: 2
; VGPRBlocks: 0
; NumSGPRsForWavesPerEU: 18
; NumVGPRsForWavesPerEU: 8
; Occupancy: 16
; WaveLimiterHint : 0
; COMPUTE_PGM_RSRC2:SCRATCH_EN: 0
; COMPUTE_PGM_RSRC2:USER_SGPR: 15
; COMPUTE_PGM_RSRC2:TRAP_HANDLER: 0
; COMPUTE_PGM_RSRC2:TGID_X_EN: 1
; COMPUTE_PGM_RSRC2:TGID_Y_EN: 0
; COMPUTE_PGM_RSRC2:TGID_Z_EN: 0
; COMPUTE_PGM_RSRC2:TIDIG_COMP_CNT: 0
	.section	.text._Z26warp_inclusive_scan_kernelIN10test_utils16custom_test_typeIiEELj63ELj7EENSt9enable_ifIXsr10test_utilsE35device_test_enabled_for_warp_size_vIXT1_EEEvE4typeEPT_S7_,"axG",@progbits,_Z26warp_inclusive_scan_kernelIN10test_utils16custom_test_typeIiEELj63ELj7EENSt9enable_ifIXsr10test_utilsE35device_test_enabled_for_warp_size_vIXT1_EEEvE4typeEPT_S7_,comdat
	.protected	_Z26warp_inclusive_scan_kernelIN10test_utils16custom_test_typeIiEELj63ELj7EENSt9enable_ifIXsr10test_utilsE35device_test_enabled_for_warp_size_vIXT1_EEEvE4typeEPT_S7_ ; -- Begin function _Z26warp_inclusive_scan_kernelIN10test_utils16custom_test_typeIiEELj63ELj7EENSt9enable_ifIXsr10test_utilsE35device_test_enabled_for_warp_size_vIXT1_EEEvE4typeEPT_S7_
	.globl	_Z26warp_inclusive_scan_kernelIN10test_utils16custom_test_typeIiEELj63ELj7EENSt9enable_ifIXsr10test_utilsE35device_test_enabled_for_warp_size_vIXT1_EEEvE4typeEPT_S7_
	.p2align	8
	.type	_Z26warp_inclusive_scan_kernelIN10test_utils16custom_test_typeIiEELj63ELj7EENSt9enable_ifIXsr10test_utilsE35device_test_enabled_for_warp_size_vIXT1_EEEvE4typeEPT_S7_,@function
_Z26warp_inclusive_scan_kernelIN10test_utils16custom_test_typeIiEELj63ELj7EENSt9enable_ifIXsr10test_utilsE35device_test_enabled_for_warp_size_vIXT1_EEEvE4typeEPT_S7_: ; @_Z26warp_inclusive_scan_kernelIN10test_utils16custom_test_typeIiEELj63ELj7EENSt9enable_ifIXsr10test_utilsE35device_test_enabled_for_warp_size_vIXT1_EEEvE4typeEPT_S7_
; %bb.0:
	s_clause 0x1
	s_load_b32 s4, s[0:1], 0x1c
	s_load_b128 s[0:3], s[0:1], 0x0
	v_mbcnt_lo_u32_b32 v5, -1, 0
	s_delay_alu instid0(VALU_DEP_1) | instskip(NEXT) | instid1(VALU_DEP_1)
	v_mul_hi_u32 v6, 0x24924925, v5
	v_mul_u32_u24_e32 v6, 7, v6
	s_delay_alu instid0(VALU_DEP_1) | instskip(SKIP_2) | instid1(SALU_CYCLE_1)
	v_sub_nc_u32_e32 v5, v5, v6
	s_waitcnt lgkmcnt(0)
	s_and_b32 s4, s4, 0xffff
	v_mad_u64_u32 v[1:2], null, s15, s4, v[0:1]
	v_mov_b32_e32 v2, 0
	v_mul_u32_u24_e32 v0, 0x2493, v0
	v_lshlrev_b32_e32 v6, 3, v5
	s_delay_alu instid0(VALU_DEP_2) | instskip(NEXT) | instid1(VALU_DEP_4)
	v_lshrrev_b32_e32 v0, 16, v0
	v_lshlrev_b64 v[3:4], 3, v[1:2]
	s_delay_alu instid0(VALU_DEP_2) | instskip(NEXT) | instid1(VALU_DEP_2)
	v_mad_u32_u24 v0, v0, 56, v6
	v_add_co_u32 v1, vcc_lo, s0, v3
	s_delay_alu instid0(VALU_DEP_3)
	v_add_co_ci_u32_e32 v2, vcc_lo, s1, v4, vcc_lo
	v_cmp_ne_u32_e32 vcc_lo, 0, v5
	global_load_b64 v[1:2], v[1:2], off
	s_waitcnt vmcnt(0)
	ds_store_2addr_b32 v0, v1, v2 offset1:1
	; wave barrier
	s_and_saveexec_b32 s0, vcc_lo
	s_cbranch_execz .LBB297_2
; %bb.1:
	v_add_nc_u32_e32 v6, -8, v0
	ds_load_2addr_b32 v[6:7], v6 offset1:1
	s_waitcnt lgkmcnt(0)
	v_add_nc_u32_e32 v1, v6, v1
	v_add_nc_u32_e32 v2, v7, v2
.LBB297_2:
	s_or_b32 exec_lo, exec_lo, s0
	; wave barrier
	s_and_saveexec_b32 s0, vcc_lo
	s_cbranch_execz .LBB297_4
; %bb.3:
	ds_store_2addr_b32 v0, v1, v2 offset1:1
.LBB297_4:
	s_or_b32 exec_lo, exec_lo, s0
	v_cmp_lt_u32_e32 vcc_lo, 1, v5
	; wave barrier
	s_and_saveexec_b32 s0, vcc_lo
	s_cbranch_execz .LBB297_6
; %bb.5:
	v_add_nc_u32_e32 v6, -16, v0
	ds_load_2addr_b32 v[6:7], v6 offset1:1
	s_waitcnt lgkmcnt(0)
	v_add_nc_u32_e32 v1, v1, v6
	v_add_nc_u32_e32 v2, v2, v7
.LBB297_6:
	s_or_b32 exec_lo, exec_lo, s0
	; wave barrier
	s_and_saveexec_b32 s0, vcc_lo
	s_cbranch_execz .LBB297_8
; %bb.7:
	ds_store_2addr_b32 v0, v1, v2 offset1:1
.LBB297_8:
	s_or_b32 exec_lo, exec_lo, s0
	v_cmp_lt_u32_e32 vcc_lo, 3, v5
	; wave barrier
	s_and_saveexec_b32 s0, vcc_lo
	s_cbranch_execz .LBB297_10
; %bb.9:
	v_subrev_nc_u32_e32 v5, 32, v0
	ds_load_2addr_b32 v[5:6], v5 offset1:1
	s_waitcnt lgkmcnt(0)
	v_add_nc_u32_e32 v1, v1, v5
	v_add_nc_u32_e32 v2, v2, v6
.LBB297_10:
	s_or_b32 exec_lo, exec_lo, s0
	; wave barrier
	s_and_saveexec_b32 s0, vcc_lo
	s_cbranch_execz .LBB297_12
; %bb.11:
	ds_store_2addr_b32 v0, v1, v2 offset1:1
.LBB297_12:
	s_or_b32 exec_lo, exec_lo, s0
	v_add_co_u32 v3, vcc_lo, s2, v3
	v_add_co_ci_u32_e32 v4, vcc_lo, s3, v4, vcc_lo
	; wave barrier
	global_store_b64 v[3:4], v[1:2], off
	s_nop 0
	s_sendmsg sendmsg(MSG_DEALLOC_VGPRS)
	s_endpgm
	.section	.rodata,"a",@progbits
	.p2align	6, 0x0
	.amdhsa_kernel _Z26warp_inclusive_scan_kernelIN10test_utils16custom_test_typeIiEELj63ELj7EENSt9enable_ifIXsr10test_utilsE35device_test_enabled_for_warp_size_vIXT1_EEEvE4typeEPT_S7_
		.amdhsa_group_segment_fixed_size 504
		.amdhsa_private_segment_fixed_size 0
		.amdhsa_kernarg_size 272
		.amdhsa_user_sgpr_count 15
		.amdhsa_user_sgpr_dispatch_ptr 0
		.amdhsa_user_sgpr_queue_ptr 0
		.amdhsa_user_sgpr_kernarg_segment_ptr 1
		.amdhsa_user_sgpr_dispatch_id 0
		.amdhsa_user_sgpr_private_segment_size 0
		.amdhsa_wavefront_size32 1
		.amdhsa_uses_dynamic_stack 0
		.amdhsa_enable_private_segment 0
		.amdhsa_system_sgpr_workgroup_id_x 1
		.amdhsa_system_sgpr_workgroup_id_y 0
		.amdhsa_system_sgpr_workgroup_id_z 0
		.amdhsa_system_sgpr_workgroup_info 0
		.amdhsa_system_vgpr_workitem_id 0
		.amdhsa_next_free_vgpr 8
		.amdhsa_next_free_sgpr 16
		.amdhsa_reserve_vcc 1
		.amdhsa_float_round_mode_32 0
		.amdhsa_float_round_mode_16_64 0
		.amdhsa_float_denorm_mode_32 3
		.amdhsa_float_denorm_mode_16_64 3
		.amdhsa_dx10_clamp 1
		.amdhsa_ieee_mode 1
		.amdhsa_fp16_overflow 0
		.amdhsa_workgroup_processor_mode 1
		.amdhsa_memory_ordered 1
		.amdhsa_forward_progress 0
		.amdhsa_shared_vgpr_count 0
		.amdhsa_exception_fp_ieee_invalid_op 0
		.amdhsa_exception_fp_denorm_src 0
		.amdhsa_exception_fp_ieee_div_zero 0
		.amdhsa_exception_fp_ieee_overflow 0
		.amdhsa_exception_fp_ieee_underflow 0
		.amdhsa_exception_fp_ieee_inexact 0
		.amdhsa_exception_int_div_zero 0
	.end_amdhsa_kernel
	.section	.text._Z26warp_inclusive_scan_kernelIN10test_utils16custom_test_typeIiEELj63ELj7EENSt9enable_ifIXsr10test_utilsE35device_test_enabled_for_warp_size_vIXT1_EEEvE4typeEPT_S7_,"axG",@progbits,_Z26warp_inclusive_scan_kernelIN10test_utils16custom_test_typeIiEELj63ELj7EENSt9enable_ifIXsr10test_utilsE35device_test_enabled_for_warp_size_vIXT1_EEEvE4typeEPT_S7_,comdat
.Lfunc_end297:
	.size	_Z26warp_inclusive_scan_kernelIN10test_utils16custom_test_typeIiEELj63ELj7EENSt9enable_ifIXsr10test_utilsE35device_test_enabled_for_warp_size_vIXT1_EEEvE4typeEPT_S7_, .Lfunc_end297-_Z26warp_inclusive_scan_kernelIN10test_utils16custom_test_typeIiEELj63ELj7EENSt9enable_ifIXsr10test_utilsE35device_test_enabled_for_warp_size_vIXT1_EEEvE4typeEPT_S7_
                                        ; -- End function
	.section	.AMDGPU.csdata,"",@progbits
; Kernel info:
; codeLenInByte = 368
; NumSgprs: 18
; NumVgprs: 8
; ScratchSize: 0
; MemoryBound: 0
; FloatMode: 240
; IeeeMode: 1
; LDSByteSize: 504 bytes/workgroup (compile time only)
; SGPRBlocks: 2
; VGPRBlocks: 0
; NumSGPRsForWavesPerEU: 18
; NumVGPRsForWavesPerEU: 8
; Occupancy: 16
; WaveLimiterHint : 0
; COMPUTE_PGM_RSRC2:SCRATCH_EN: 0
; COMPUTE_PGM_RSRC2:USER_SGPR: 15
; COMPUTE_PGM_RSRC2:TRAP_HANDLER: 0
; COMPUTE_PGM_RSRC2:TGID_X_EN: 1
; COMPUTE_PGM_RSRC2:TGID_Y_EN: 0
; COMPUTE_PGM_RSRC2:TGID_Z_EN: 0
; COMPUTE_PGM_RSRC2:TIDIG_COMP_CNT: 0
	.section	.text._Z26warp_inclusive_scan_kernelIN10test_utils16custom_test_typeIiEELj30ELj3EENSt9enable_ifIXsr10test_utilsE35device_test_enabled_for_warp_size_vIXT1_EEEvE4typeEPT_S7_,"axG",@progbits,_Z26warp_inclusive_scan_kernelIN10test_utils16custom_test_typeIiEELj30ELj3EENSt9enable_ifIXsr10test_utilsE35device_test_enabled_for_warp_size_vIXT1_EEEvE4typeEPT_S7_,comdat
	.protected	_Z26warp_inclusive_scan_kernelIN10test_utils16custom_test_typeIiEELj30ELj3EENSt9enable_ifIXsr10test_utilsE35device_test_enabled_for_warp_size_vIXT1_EEEvE4typeEPT_S7_ ; -- Begin function _Z26warp_inclusive_scan_kernelIN10test_utils16custom_test_typeIiEELj30ELj3EENSt9enable_ifIXsr10test_utilsE35device_test_enabled_for_warp_size_vIXT1_EEEvE4typeEPT_S7_
	.globl	_Z26warp_inclusive_scan_kernelIN10test_utils16custom_test_typeIiEELj30ELj3EENSt9enable_ifIXsr10test_utilsE35device_test_enabled_for_warp_size_vIXT1_EEEvE4typeEPT_S7_
	.p2align	8
	.type	_Z26warp_inclusive_scan_kernelIN10test_utils16custom_test_typeIiEELj30ELj3EENSt9enable_ifIXsr10test_utilsE35device_test_enabled_for_warp_size_vIXT1_EEEvE4typeEPT_S7_,@function
_Z26warp_inclusive_scan_kernelIN10test_utils16custom_test_typeIiEELj30ELj3EENSt9enable_ifIXsr10test_utilsE35device_test_enabled_for_warp_size_vIXT1_EEEvE4typeEPT_S7_: ; @_Z26warp_inclusive_scan_kernelIN10test_utils16custom_test_typeIiEELj30ELj3EENSt9enable_ifIXsr10test_utilsE35device_test_enabled_for_warp_size_vIXT1_EEEvE4typeEPT_S7_
; %bb.0:
	s_clause 0x1
	s_load_b32 s4, s[0:1], 0x1c
	s_load_b128 s[0:3], s[0:1], 0x0
	v_mbcnt_lo_u32_b32 v5, -1, 0
	s_delay_alu instid0(VALU_DEP_1) | instskip(NEXT) | instid1(VALU_DEP_1)
	v_mul_hi_u32 v6, 0x55555556, v5
	v_mul_u32_u24_e32 v6, 3, v6
	s_delay_alu instid0(VALU_DEP_1) | instskip(SKIP_2) | instid1(SALU_CYCLE_1)
	v_sub_nc_u32_e32 v5, v5, v6
	s_waitcnt lgkmcnt(0)
	s_and_b32 s4, s4, 0xffff
	v_mad_u64_u32 v[1:2], null, s15, s4, v[0:1]
	v_mov_b32_e32 v2, 0
	v_mul_u32_u24_e32 v0, 0x5556, v0
	v_lshlrev_b32_e32 v6, 3, v5
	s_delay_alu instid0(VALU_DEP_2) | instskip(NEXT) | instid1(VALU_DEP_4)
	v_lshrrev_b32_e32 v0, 16, v0
	v_lshlrev_b64 v[3:4], 3, v[1:2]
	s_delay_alu instid0(VALU_DEP_2) | instskip(NEXT) | instid1(VALU_DEP_2)
	v_mad_u32_u24 v0, v0, 24, v6
	v_add_co_u32 v1, vcc_lo, s0, v3
	s_delay_alu instid0(VALU_DEP_3)
	v_add_co_ci_u32_e32 v2, vcc_lo, s1, v4, vcc_lo
	v_cmp_ne_u32_e32 vcc_lo, 0, v5
	global_load_b64 v[1:2], v[1:2], off
	s_waitcnt vmcnt(0)
	ds_store_2addr_b32 v0, v1, v2 offset1:1
	; wave barrier
	s_and_saveexec_b32 s0, vcc_lo
	s_cbranch_execz .LBB298_2
; %bb.1:
	v_add_nc_u32_e32 v6, -8, v0
	ds_load_2addr_b32 v[6:7], v6 offset1:1
	s_waitcnt lgkmcnt(0)
	v_add_nc_u32_e32 v1, v6, v1
	v_add_nc_u32_e32 v2, v7, v2
.LBB298_2:
	s_or_b32 exec_lo, exec_lo, s0
	; wave barrier
	s_and_saveexec_b32 s0, vcc_lo
	s_cbranch_execz .LBB298_4
; %bb.3:
	ds_store_2addr_b32 v0, v1, v2 offset1:1
.LBB298_4:
	s_or_b32 exec_lo, exec_lo, s0
	v_cmp_lt_u32_e32 vcc_lo, 1, v5
	; wave barrier
	s_and_saveexec_b32 s0, vcc_lo
	s_cbranch_execz .LBB298_6
; %bb.5:
	v_add_nc_u32_e32 v5, -16, v0
	ds_load_2addr_b32 v[5:6], v5 offset1:1
	s_waitcnt lgkmcnt(0)
	v_add_nc_u32_e32 v1, v1, v5
	v_add_nc_u32_e32 v2, v2, v6
.LBB298_6:
	s_or_b32 exec_lo, exec_lo, s0
	; wave barrier
	s_and_saveexec_b32 s0, vcc_lo
	s_cbranch_execz .LBB298_8
; %bb.7:
	ds_store_2addr_b32 v0, v1, v2 offset1:1
.LBB298_8:
	s_or_b32 exec_lo, exec_lo, s0
	v_add_co_u32 v3, vcc_lo, s2, v3
	v_add_co_ci_u32_e32 v4, vcc_lo, s3, v4, vcc_lo
	; wave barrier
	global_store_b64 v[3:4], v[1:2], off
	s_nop 0
	s_sendmsg sendmsg(MSG_DEALLOC_VGPRS)
	s_endpgm
	.section	.rodata,"a",@progbits
	.p2align	6, 0x0
	.amdhsa_kernel _Z26warp_inclusive_scan_kernelIN10test_utils16custom_test_typeIiEELj30ELj3EENSt9enable_ifIXsr10test_utilsE35device_test_enabled_for_warp_size_vIXT1_EEEvE4typeEPT_S7_
		.amdhsa_group_segment_fixed_size 240
		.amdhsa_private_segment_fixed_size 0
		.amdhsa_kernarg_size 272
		.amdhsa_user_sgpr_count 15
		.amdhsa_user_sgpr_dispatch_ptr 0
		.amdhsa_user_sgpr_queue_ptr 0
		.amdhsa_user_sgpr_kernarg_segment_ptr 1
		.amdhsa_user_sgpr_dispatch_id 0
		.amdhsa_user_sgpr_private_segment_size 0
		.amdhsa_wavefront_size32 1
		.amdhsa_uses_dynamic_stack 0
		.amdhsa_enable_private_segment 0
		.amdhsa_system_sgpr_workgroup_id_x 1
		.amdhsa_system_sgpr_workgroup_id_y 0
		.amdhsa_system_sgpr_workgroup_id_z 0
		.amdhsa_system_sgpr_workgroup_info 0
		.amdhsa_system_vgpr_workitem_id 0
		.amdhsa_next_free_vgpr 8
		.amdhsa_next_free_sgpr 16
		.amdhsa_reserve_vcc 1
		.amdhsa_float_round_mode_32 0
		.amdhsa_float_round_mode_16_64 0
		.amdhsa_float_denorm_mode_32 3
		.amdhsa_float_denorm_mode_16_64 3
		.amdhsa_dx10_clamp 1
		.amdhsa_ieee_mode 1
		.amdhsa_fp16_overflow 0
		.amdhsa_workgroup_processor_mode 1
		.amdhsa_memory_ordered 1
		.amdhsa_forward_progress 0
		.amdhsa_shared_vgpr_count 0
		.amdhsa_exception_fp_ieee_invalid_op 0
		.amdhsa_exception_fp_denorm_src 0
		.amdhsa_exception_fp_ieee_div_zero 0
		.amdhsa_exception_fp_ieee_overflow 0
		.amdhsa_exception_fp_ieee_underflow 0
		.amdhsa_exception_fp_ieee_inexact 0
		.amdhsa_exception_int_div_zero 0
	.end_amdhsa_kernel
	.section	.text._Z26warp_inclusive_scan_kernelIN10test_utils16custom_test_typeIiEELj30ELj3EENSt9enable_ifIXsr10test_utilsE35device_test_enabled_for_warp_size_vIXT1_EEEvE4typeEPT_S7_,"axG",@progbits,_Z26warp_inclusive_scan_kernelIN10test_utils16custom_test_typeIiEELj30ELj3EENSt9enable_ifIXsr10test_utilsE35device_test_enabled_for_warp_size_vIXT1_EEEvE4typeEPT_S7_,comdat
.Lfunc_end298:
	.size	_Z26warp_inclusive_scan_kernelIN10test_utils16custom_test_typeIiEELj30ELj3EENSt9enable_ifIXsr10test_utilsE35device_test_enabled_for_warp_size_vIXT1_EEEvE4typeEPT_S7_, .Lfunc_end298-_Z26warp_inclusive_scan_kernelIN10test_utils16custom_test_typeIiEELj30ELj3EENSt9enable_ifIXsr10test_utilsE35device_test_enabled_for_warp_size_vIXT1_EEEvE4typeEPT_S7_
                                        ; -- End function
	.section	.AMDGPU.csdata,"",@progbits
; Kernel info:
; codeLenInByte = 308
; NumSgprs: 18
; NumVgprs: 8
; ScratchSize: 0
; MemoryBound: 0
; FloatMode: 240
; IeeeMode: 1
; LDSByteSize: 240 bytes/workgroup (compile time only)
; SGPRBlocks: 2
; VGPRBlocks: 0
; NumSGPRsForWavesPerEU: 18
; NumVGPRsForWavesPerEU: 8
; Occupancy: 16
; WaveLimiterHint : 0
; COMPUTE_PGM_RSRC2:SCRATCH_EN: 0
; COMPUTE_PGM_RSRC2:USER_SGPR: 15
; COMPUTE_PGM_RSRC2:TRAP_HANDLER: 0
; COMPUTE_PGM_RSRC2:TGID_X_EN: 1
; COMPUTE_PGM_RSRC2:TGID_Y_EN: 0
; COMPUTE_PGM_RSRC2:TGID_Z_EN: 0
; COMPUTE_PGM_RSRC2:TIDIG_COMP_CNT: 0
	.section	.text._Z26warp_inclusive_scan_kernelIN10test_utils16custom_test_typeIiEELj63ELj3EENSt9enable_ifIXsr10test_utilsE35device_test_enabled_for_warp_size_vIXT1_EEEvE4typeEPT_S7_,"axG",@progbits,_Z26warp_inclusive_scan_kernelIN10test_utils16custom_test_typeIiEELj63ELj3EENSt9enable_ifIXsr10test_utilsE35device_test_enabled_for_warp_size_vIXT1_EEEvE4typeEPT_S7_,comdat
	.protected	_Z26warp_inclusive_scan_kernelIN10test_utils16custom_test_typeIiEELj63ELj3EENSt9enable_ifIXsr10test_utilsE35device_test_enabled_for_warp_size_vIXT1_EEEvE4typeEPT_S7_ ; -- Begin function _Z26warp_inclusive_scan_kernelIN10test_utils16custom_test_typeIiEELj63ELj3EENSt9enable_ifIXsr10test_utilsE35device_test_enabled_for_warp_size_vIXT1_EEEvE4typeEPT_S7_
	.globl	_Z26warp_inclusive_scan_kernelIN10test_utils16custom_test_typeIiEELj63ELj3EENSt9enable_ifIXsr10test_utilsE35device_test_enabled_for_warp_size_vIXT1_EEEvE4typeEPT_S7_
	.p2align	8
	.type	_Z26warp_inclusive_scan_kernelIN10test_utils16custom_test_typeIiEELj63ELj3EENSt9enable_ifIXsr10test_utilsE35device_test_enabled_for_warp_size_vIXT1_EEEvE4typeEPT_S7_,@function
_Z26warp_inclusive_scan_kernelIN10test_utils16custom_test_typeIiEELj63ELj3EENSt9enable_ifIXsr10test_utilsE35device_test_enabled_for_warp_size_vIXT1_EEEvE4typeEPT_S7_: ; @_Z26warp_inclusive_scan_kernelIN10test_utils16custom_test_typeIiEELj63ELj3EENSt9enable_ifIXsr10test_utilsE35device_test_enabled_for_warp_size_vIXT1_EEEvE4typeEPT_S7_
; %bb.0:
	s_clause 0x1
	s_load_b32 s4, s[0:1], 0x1c
	s_load_b128 s[0:3], s[0:1], 0x0
	v_mbcnt_lo_u32_b32 v5, -1, 0
	s_delay_alu instid0(VALU_DEP_1) | instskip(NEXT) | instid1(VALU_DEP_1)
	v_mul_hi_u32 v6, 0x55555556, v5
	v_mul_u32_u24_e32 v6, 3, v6
	s_delay_alu instid0(VALU_DEP_1) | instskip(SKIP_2) | instid1(SALU_CYCLE_1)
	v_sub_nc_u32_e32 v5, v5, v6
	s_waitcnt lgkmcnt(0)
	s_and_b32 s4, s4, 0xffff
	v_mad_u64_u32 v[1:2], null, s15, s4, v[0:1]
	v_mov_b32_e32 v2, 0
	v_mul_u32_u24_e32 v0, 0x5556, v0
	v_lshlrev_b32_e32 v6, 3, v5
	s_delay_alu instid0(VALU_DEP_2) | instskip(NEXT) | instid1(VALU_DEP_4)
	v_lshrrev_b32_e32 v0, 16, v0
	v_lshlrev_b64 v[3:4], 3, v[1:2]
	s_delay_alu instid0(VALU_DEP_2) | instskip(NEXT) | instid1(VALU_DEP_2)
	v_mad_u32_u24 v0, v0, 24, v6
	v_add_co_u32 v1, vcc_lo, s0, v3
	s_delay_alu instid0(VALU_DEP_3)
	v_add_co_ci_u32_e32 v2, vcc_lo, s1, v4, vcc_lo
	v_cmp_ne_u32_e32 vcc_lo, 0, v5
	global_load_b64 v[1:2], v[1:2], off
	s_waitcnt vmcnt(0)
	ds_store_2addr_b32 v0, v1, v2 offset1:1
	; wave barrier
	s_and_saveexec_b32 s0, vcc_lo
	s_cbranch_execz .LBB299_2
; %bb.1:
	v_add_nc_u32_e32 v6, -8, v0
	ds_load_2addr_b32 v[6:7], v6 offset1:1
	s_waitcnt lgkmcnt(0)
	v_add_nc_u32_e32 v1, v6, v1
	v_add_nc_u32_e32 v2, v7, v2
.LBB299_2:
	s_or_b32 exec_lo, exec_lo, s0
	; wave barrier
	s_and_saveexec_b32 s0, vcc_lo
	s_cbranch_execz .LBB299_4
; %bb.3:
	ds_store_2addr_b32 v0, v1, v2 offset1:1
.LBB299_4:
	s_or_b32 exec_lo, exec_lo, s0
	v_cmp_lt_u32_e32 vcc_lo, 1, v5
	; wave barrier
	s_and_saveexec_b32 s0, vcc_lo
	s_cbranch_execz .LBB299_6
; %bb.5:
	v_add_nc_u32_e32 v5, -16, v0
	ds_load_2addr_b32 v[5:6], v5 offset1:1
	s_waitcnt lgkmcnt(0)
	v_add_nc_u32_e32 v1, v1, v5
	v_add_nc_u32_e32 v2, v2, v6
.LBB299_6:
	s_or_b32 exec_lo, exec_lo, s0
	; wave barrier
	s_and_saveexec_b32 s0, vcc_lo
	s_cbranch_execz .LBB299_8
; %bb.7:
	ds_store_2addr_b32 v0, v1, v2 offset1:1
.LBB299_8:
	s_or_b32 exec_lo, exec_lo, s0
	v_add_co_u32 v3, vcc_lo, s2, v3
	v_add_co_ci_u32_e32 v4, vcc_lo, s3, v4, vcc_lo
	; wave barrier
	global_store_b64 v[3:4], v[1:2], off
	s_nop 0
	s_sendmsg sendmsg(MSG_DEALLOC_VGPRS)
	s_endpgm
	.section	.rodata,"a",@progbits
	.p2align	6, 0x0
	.amdhsa_kernel _Z26warp_inclusive_scan_kernelIN10test_utils16custom_test_typeIiEELj63ELj3EENSt9enable_ifIXsr10test_utilsE35device_test_enabled_for_warp_size_vIXT1_EEEvE4typeEPT_S7_
		.amdhsa_group_segment_fixed_size 504
		.amdhsa_private_segment_fixed_size 0
		.amdhsa_kernarg_size 272
		.amdhsa_user_sgpr_count 15
		.amdhsa_user_sgpr_dispatch_ptr 0
		.amdhsa_user_sgpr_queue_ptr 0
		.amdhsa_user_sgpr_kernarg_segment_ptr 1
		.amdhsa_user_sgpr_dispatch_id 0
		.amdhsa_user_sgpr_private_segment_size 0
		.amdhsa_wavefront_size32 1
		.amdhsa_uses_dynamic_stack 0
		.amdhsa_enable_private_segment 0
		.amdhsa_system_sgpr_workgroup_id_x 1
		.amdhsa_system_sgpr_workgroup_id_y 0
		.amdhsa_system_sgpr_workgroup_id_z 0
		.amdhsa_system_sgpr_workgroup_info 0
		.amdhsa_system_vgpr_workitem_id 0
		.amdhsa_next_free_vgpr 8
		.amdhsa_next_free_sgpr 16
		.amdhsa_reserve_vcc 1
		.amdhsa_float_round_mode_32 0
		.amdhsa_float_round_mode_16_64 0
		.amdhsa_float_denorm_mode_32 3
		.amdhsa_float_denorm_mode_16_64 3
		.amdhsa_dx10_clamp 1
		.amdhsa_ieee_mode 1
		.amdhsa_fp16_overflow 0
		.amdhsa_workgroup_processor_mode 1
		.amdhsa_memory_ordered 1
		.amdhsa_forward_progress 0
		.amdhsa_shared_vgpr_count 0
		.amdhsa_exception_fp_ieee_invalid_op 0
		.amdhsa_exception_fp_denorm_src 0
		.amdhsa_exception_fp_ieee_div_zero 0
		.amdhsa_exception_fp_ieee_overflow 0
		.amdhsa_exception_fp_ieee_underflow 0
		.amdhsa_exception_fp_ieee_inexact 0
		.amdhsa_exception_int_div_zero 0
	.end_amdhsa_kernel
	.section	.text._Z26warp_inclusive_scan_kernelIN10test_utils16custom_test_typeIiEELj63ELj3EENSt9enable_ifIXsr10test_utilsE35device_test_enabled_for_warp_size_vIXT1_EEEvE4typeEPT_S7_,"axG",@progbits,_Z26warp_inclusive_scan_kernelIN10test_utils16custom_test_typeIiEELj63ELj3EENSt9enable_ifIXsr10test_utilsE35device_test_enabled_for_warp_size_vIXT1_EEEvE4typeEPT_S7_,comdat
.Lfunc_end299:
	.size	_Z26warp_inclusive_scan_kernelIN10test_utils16custom_test_typeIiEELj63ELj3EENSt9enable_ifIXsr10test_utilsE35device_test_enabled_for_warp_size_vIXT1_EEEvE4typeEPT_S7_, .Lfunc_end299-_Z26warp_inclusive_scan_kernelIN10test_utils16custom_test_typeIiEELj63ELj3EENSt9enable_ifIXsr10test_utilsE35device_test_enabled_for_warp_size_vIXT1_EEEvE4typeEPT_S7_
                                        ; -- End function
	.section	.AMDGPU.csdata,"",@progbits
; Kernel info:
; codeLenInByte = 308
; NumSgprs: 18
; NumVgprs: 8
; ScratchSize: 0
; MemoryBound: 0
; FloatMode: 240
; IeeeMode: 1
; LDSByteSize: 504 bytes/workgroup (compile time only)
; SGPRBlocks: 2
; VGPRBlocks: 0
; NumSGPRsForWavesPerEU: 18
; NumVGPRsForWavesPerEU: 8
; Occupancy: 16
; WaveLimiterHint : 0
; COMPUTE_PGM_RSRC2:SCRATCH_EN: 0
; COMPUTE_PGM_RSRC2:USER_SGPR: 15
; COMPUTE_PGM_RSRC2:TRAP_HANDLER: 0
; COMPUTE_PGM_RSRC2:TGID_X_EN: 1
; COMPUTE_PGM_RSRC2:TGID_Y_EN: 0
; COMPUTE_PGM_RSRC2:TGID_Z_EN: 0
; COMPUTE_PGM_RSRC2:TIDIG_COMP_CNT: 0
	.section	.text._Z26warp_inclusive_scan_kernelIN10test_utils16custom_test_typeI12hip_bfloat16EELj256ELj64EENSt9enable_ifIXntsr10test_utilsE35device_test_enabled_for_warp_size_vIXT1_EEEvE4typeEPT_S8_,"axG",@progbits,_Z26warp_inclusive_scan_kernelIN10test_utils16custom_test_typeI12hip_bfloat16EELj256ELj64EENSt9enable_ifIXntsr10test_utilsE35device_test_enabled_for_warp_size_vIXT1_EEEvE4typeEPT_S8_,comdat
	.protected	_Z26warp_inclusive_scan_kernelIN10test_utils16custom_test_typeI12hip_bfloat16EELj256ELj64EENSt9enable_ifIXntsr10test_utilsE35device_test_enabled_for_warp_size_vIXT1_EEEvE4typeEPT_S8_ ; -- Begin function _Z26warp_inclusive_scan_kernelIN10test_utils16custom_test_typeI12hip_bfloat16EELj256ELj64EENSt9enable_ifIXntsr10test_utilsE35device_test_enabled_for_warp_size_vIXT1_EEEvE4typeEPT_S8_
	.globl	_Z26warp_inclusive_scan_kernelIN10test_utils16custom_test_typeI12hip_bfloat16EELj256ELj64EENSt9enable_ifIXntsr10test_utilsE35device_test_enabled_for_warp_size_vIXT1_EEEvE4typeEPT_S8_
	.p2align	8
	.type	_Z26warp_inclusive_scan_kernelIN10test_utils16custom_test_typeI12hip_bfloat16EELj256ELj64EENSt9enable_ifIXntsr10test_utilsE35device_test_enabled_for_warp_size_vIXT1_EEEvE4typeEPT_S8_,@function
_Z26warp_inclusive_scan_kernelIN10test_utils16custom_test_typeI12hip_bfloat16EELj256ELj64EENSt9enable_ifIXntsr10test_utilsE35device_test_enabled_for_warp_size_vIXT1_EEEvE4typeEPT_S8_: ; @_Z26warp_inclusive_scan_kernelIN10test_utils16custom_test_typeI12hip_bfloat16EELj256ELj64EENSt9enable_ifIXntsr10test_utilsE35device_test_enabled_for_warp_size_vIXT1_EEEvE4typeEPT_S8_
; %bb.0:
	s_endpgm
	.section	.rodata,"a",@progbits
	.p2align	6, 0x0
	.amdhsa_kernel _Z26warp_inclusive_scan_kernelIN10test_utils16custom_test_typeI12hip_bfloat16EELj256ELj64EENSt9enable_ifIXntsr10test_utilsE35device_test_enabled_for_warp_size_vIXT1_EEEvE4typeEPT_S8_
		.amdhsa_group_segment_fixed_size 0
		.amdhsa_private_segment_fixed_size 0
		.amdhsa_kernarg_size 16
		.amdhsa_user_sgpr_count 15
		.amdhsa_user_sgpr_dispatch_ptr 0
		.amdhsa_user_sgpr_queue_ptr 0
		.amdhsa_user_sgpr_kernarg_segment_ptr 1
		.amdhsa_user_sgpr_dispatch_id 0
		.amdhsa_user_sgpr_private_segment_size 0
		.amdhsa_wavefront_size32 1
		.amdhsa_uses_dynamic_stack 0
		.amdhsa_enable_private_segment 0
		.amdhsa_system_sgpr_workgroup_id_x 1
		.amdhsa_system_sgpr_workgroup_id_y 0
		.amdhsa_system_sgpr_workgroup_id_z 0
		.amdhsa_system_sgpr_workgroup_info 0
		.amdhsa_system_vgpr_workitem_id 0
		.amdhsa_next_free_vgpr 1
		.amdhsa_next_free_sgpr 1
		.amdhsa_reserve_vcc 0
		.amdhsa_float_round_mode_32 0
		.amdhsa_float_round_mode_16_64 0
		.amdhsa_float_denorm_mode_32 3
		.amdhsa_float_denorm_mode_16_64 3
		.amdhsa_dx10_clamp 1
		.amdhsa_ieee_mode 1
		.amdhsa_fp16_overflow 0
		.amdhsa_workgroup_processor_mode 1
		.amdhsa_memory_ordered 1
		.amdhsa_forward_progress 0
		.amdhsa_shared_vgpr_count 0
		.amdhsa_exception_fp_ieee_invalid_op 0
		.amdhsa_exception_fp_denorm_src 0
		.amdhsa_exception_fp_ieee_div_zero 0
		.amdhsa_exception_fp_ieee_overflow 0
		.amdhsa_exception_fp_ieee_underflow 0
		.amdhsa_exception_fp_ieee_inexact 0
		.amdhsa_exception_int_div_zero 0
	.end_amdhsa_kernel
	.section	.text._Z26warp_inclusive_scan_kernelIN10test_utils16custom_test_typeI12hip_bfloat16EELj256ELj64EENSt9enable_ifIXntsr10test_utilsE35device_test_enabled_for_warp_size_vIXT1_EEEvE4typeEPT_S8_,"axG",@progbits,_Z26warp_inclusive_scan_kernelIN10test_utils16custom_test_typeI12hip_bfloat16EELj256ELj64EENSt9enable_ifIXntsr10test_utilsE35device_test_enabled_for_warp_size_vIXT1_EEEvE4typeEPT_S8_,comdat
.Lfunc_end300:
	.size	_Z26warp_inclusive_scan_kernelIN10test_utils16custom_test_typeI12hip_bfloat16EELj256ELj64EENSt9enable_ifIXntsr10test_utilsE35device_test_enabled_for_warp_size_vIXT1_EEEvE4typeEPT_S8_, .Lfunc_end300-_Z26warp_inclusive_scan_kernelIN10test_utils16custom_test_typeI12hip_bfloat16EELj256ELj64EENSt9enable_ifIXntsr10test_utilsE35device_test_enabled_for_warp_size_vIXT1_EEEvE4typeEPT_S8_
                                        ; -- End function
	.section	.AMDGPU.csdata,"",@progbits
; Kernel info:
; codeLenInByte = 4
; NumSgprs: 0
; NumVgprs: 0
; ScratchSize: 0
; MemoryBound: 0
; FloatMode: 240
; IeeeMode: 1
; LDSByteSize: 0 bytes/workgroup (compile time only)
; SGPRBlocks: 0
; VGPRBlocks: 0
; NumSGPRsForWavesPerEU: 1
; NumVGPRsForWavesPerEU: 1
; Occupancy: 16
; WaveLimiterHint : 0
; COMPUTE_PGM_RSRC2:SCRATCH_EN: 0
; COMPUTE_PGM_RSRC2:USER_SGPR: 15
; COMPUTE_PGM_RSRC2:TRAP_HANDLER: 0
; COMPUTE_PGM_RSRC2:TGID_X_EN: 1
; COMPUTE_PGM_RSRC2:TGID_Y_EN: 0
; COMPUTE_PGM_RSRC2:TGID_Z_EN: 0
; COMPUTE_PGM_RSRC2:TIDIG_COMP_CNT: 0
	.section	.text._Z26warp_inclusive_scan_kernelIN10test_utils16custom_test_typeI12hip_bfloat16EELj128ELj32EENSt9enable_ifIXsr10test_utilsE35device_test_enabled_for_warp_size_vIXT1_EEEvE4typeEPT_S8_,"axG",@progbits,_Z26warp_inclusive_scan_kernelIN10test_utils16custom_test_typeI12hip_bfloat16EELj128ELj32EENSt9enable_ifIXsr10test_utilsE35device_test_enabled_for_warp_size_vIXT1_EEEvE4typeEPT_S8_,comdat
	.protected	_Z26warp_inclusive_scan_kernelIN10test_utils16custom_test_typeI12hip_bfloat16EELj128ELj32EENSt9enable_ifIXsr10test_utilsE35device_test_enabled_for_warp_size_vIXT1_EEEvE4typeEPT_S8_ ; -- Begin function _Z26warp_inclusive_scan_kernelIN10test_utils16custom_test_typeI12hip_bfloat16EELj128ELj32EENSt9enable_ifIXsr10test_utilsE35device_test_enabled_for_warp_size_vIXT1_EEEvE4typeEPT_S8_
	.globl	_Z26warp_inclusive_scan_kernelIN10test_utils16custom_test_typeI12hip_bfloat16EELj128ELj32EENSt9enable_ifIXsr10test_utilsE35device_test_enabled_for_warp_size_vIXT1_EEEvE4typeEPT_S8_
	.p2align	8
	.type	_Z26warp_inclusive_scan_kernelIN10test_utils16custom_test_typeI12hip_bfloat16EELj128ELj32EENSt9enable_ifIXsr10test_utilsE35device_test_enabled_for_warp_size_vIXT1_EEEvE4typeEPT_S8_,@function
_Z26warp_inclusive_scan_kernelIN10test_utils16custom_test_typeI12hip_bfloat16EELj128ELj32EENSt9enable_ifIXsr10test_utilsE35device_test_enabled_for_warp_size_vIXT1_EEEvE4typeEPT_S8_: ; @_Z26warp_inclusive_scan_kernelIN10test_utils16custom_test_typeI12hip_bfloat16EELj128ELj32EENSt9enable_ifIXsr10test_utilsE35device_test_enabled_for_warp_size_vIXT1_EEEvE4typeEPT_S8_
; %bb.0:
	s_clause 0x1
	s_load_b32 s4, s[0:1], 0x1c
	s_load_b128 s[0:3], s[0:1], 0x0
                                        ; implicit-def: $vgpr8
	s_waitcnt lgkmcnt(0)
	s_and_b32 s4, s4, 0xffff
	s_delay_alu instid0(SALU_CYCLE_1) | instskip(SKIP_1) | instid1(VALU_DEP_1)
	v_mad_u64_u32 v[1:2], null, s15, s4, v[0:1]
	v_mov_b32_e32 v2, 0
	v_lshlrev_b64 v[0:1], 2, v[1:2]
	s_delay_alu instid0(VALU_DEP_1) | instskip(NEXT) | instid1(VALU_DEP_2)
	v_add_co_u32 v2, vcc_lo, s0, v0
	v_add_co_ci_u32_e32 v3, vcc_lo, s1, v1, vcc_lo
	s_mov_b32 s0, exec_lo
	global_load_b32 v2, v[2:3], off
	s_waitcnt vmcnt(0)
	v_mov_b32_dpp v3, v2 row_shr:1 row_mask:0xf bank_mask:0xf
	v_lshlrev_b32_e32 v4, 16, v2
	s_delay_alu instid0(VALU_DEP_2) | instskip(NEXT) | instid1(VALU_DEP_1)
	v_lshlrev_b32_e32 v5, 16, v3
	v_add_f32_e32 v5, v4, v5
	s_delay_alu instid0(VALU_DEP_1) | instskip(NEXT) | instid1(VALU_DEP_1)
	v_and_b32_e32 v6, 0x7f800000, v5
	v_cmpx_ne_u32_e32 0x7f800000, v6
	s_xor_b32 s0, exec_lo, s0
; %bb.1:
	v_bfe_u32 v6, v5, 16, 1
	s_delay_alu instid0(VALU_DEP_1)
	v_add3_u32 v8, v5, v6, 0x7fff
                                        ; implicit-def: $vgpr5
; %bb.2:
	s_and_not1_saveexec_b32 s0, s0
; %bb.3:
	v_and_b32_e32 v6, 0xffff, v5
	v_or_b32_e32 v7, 0x10000, v5
	s_delay_alu instid0(VALU_DEP_2) | instskip(NEXT) | instid1(VALU_DEP_2)
	v_cmp_eq_u32_e32 vcc_lo, 0, v6
	v_cndmask_b32_e32 v8, v7, v5, vcc_lo
; %bb.4:
	s_or_b32 exec_lo, exec_lo, s0
	v_and_b32_e32 v3, 0xffff0000, v3
	v_and_b32_e32 v5, 0xffff0000, v2
	s_mov_b32 s0, exec_lo
                                        ; implicit-def: $vgpr9
	s_delay_alu instid0(VALU_DEP_1) | instskip(NEXT) | instid1(VALU_DEP_1)
	v_add_f32_e32 v3, v5, v3
	v_and_b32_e32 v5, 0x7f800000, v3
	s_delay_alu instid0(VALU_DEP_1)
	v_cmpx_ne_u32_e32 0x7f800000, v5
	s_xor_b32 s0, exec_lo, s0
; %bb.5:
	v_bfe_u32 v5, v3, 16, 1
	s_delay_alu instid0(VALU_DEP_1)
	v_add3_u32 v9, v3, v5, 0x7fff
                                        ; implicit-def: $vgpr3
; %bb.6:
	s_and_not1_saveexec_b32 s0, s0
; %bb.7:
	v_and_b32_e32 v5, 0xffff, v3
	v_or_b32_e32 v6, 0x10000, v3
	s_delay_alu instid0(VALU_DEP_2) | instskip(NEXT) | instid1(VALU_DEP_2)
	v_cmp_eq_u32_e32 vcc_lo, 0, v5
	v_cndmask_b32_e32 v9, v6, v3, vcc_lo
; %bb.8:
	s_or_b32 exec_lo, exec_lo, s0
	v_mbcnt_lo_u32_b32 v3, -1, 0
	v_mov_b32_e32 v5, v2
	s_mov_b32 s0, exec_lo
	s_delay_alu instid0(VALU_DEP_2) | instskip(NEXT) | instid1(VALU_DEP_1)
	v_dual_mov_b32 v6, v2 :: v_dual_and_b32 v7, 15, v3
	v_cmpx_ne_u32_e32 0, v7
; %bb.9:
	v_lshrrev_b32_e32 v2, 16, v8
	v_dual_mov_b32 v5, v9 :: v_dual_and_b32 v4, 0xffff0000, v8
	s_delay_alu instid0(VALU_DEP_2)
	v_and_or_b32 v6, 0xffff0000, v9, v2
; %bb.10:
	s_or_b32 exec_lo, exec_lo, s0
	s_delay_alu instid0(VALU_DEP_1) | instskip(NEXT) | instid1(VALU_DEP_1)
	v_mov_b32_dpp v9, v6 row_shr:2 row_mask:0xf bank_mask:0xf
	v_lshlrev_b32_e32 v8, 16, v9
	s_delay_alu instid0(VALU_DEP_1) | instskip(NEXT) | instid1(VALU_DEP_1)
	v_add_f32_e32 v10, v4, v8
	v_and_b32_e32 v8, 0x7f800000, v10
	s_delay_alu instid0(VALU_DEP_1) | instskip(SKIP_1) | instid1(SALU_CYCLE_1)
	v_cmp_ne_u32_e32 vcc_lo, 0x7f800000, v8
                                        ; implicit-def: $vgpr8
	s_and_saveexec_b32 s0, vcc_lo
	s_xor_b32 s0, exec_lo, s0
; %bb.11:
	v_bfe_u32 v8, v10, 16, 1
	s_delay_alu instid0(VALU_DEP_1)
	v_add3_u32 v8, v10, v8, 0x7fff
                                        ; implicit-def: $vgpr10
; %bb.12:
	s_and_not1_saveexec_b32 s0, s0
; %bb.13:
	v_and_b32_e32 v8, 0xffff, v10
	v_or_b32_e32 v11, 0x10000, v10
	s_delay_alu instid0(VALU_DEP_2) | instskip(NEXT) | instid1(VALU_DEP_2)
	v_cmp_eq_u32_e32 vcc_lo, 0, v8
	v_cndmask_b32_e32 v8, v11, v10, vcc_lo
; %bb.14:
	s_or_b32 exec_lo, exec_lo, s0
	v_and_b32_e32 v9, 0xffff0000, v9
	v_and_b32_e32 v10, 0xffff0000, v6
	s_delay_alu instid0(VALU_DEP_1) | instskip(NEXT) | instid1(VALU_DEP_1)
	v_add_f32_e32 v10, v10, v9
	v_and_b32_e32 v9, 0x7f800000, v10
	s_delay_alu instid0(VALU_DEP_1) | instskip(SKIP_1) | instid1(SALU_CYCLE_1)
	v_cmp_ne_u32_e32 vcc_lo, 0x7f800000, v9
                                        ; implicit-def: $vgpr9
	s_and_saveexec_b32 s0, vcc_lo
	s_xor_b32 s0, exec_lo, s0
; %bb.15:
	v_bfe_u32 v9, v10, 16, 1
	s_delay_alu instid0(VALU_DEP_1)
	v_add3_u32 v9, v10, v9, 0x7fff
                                        ; implicit-def: $vgpr10
; %bb.16:
	s_and_not1_saveexec_b32 s0, s0
; %bb.17:
	v_and_b32_e32 v9, 0xffff, v10
	v_or_b32_e32 v11, 0x10000, v10
	s_delay_alu instid0(VALU_DEP_2) | instskip(NEXT) | instid1(VALU_DEP_2)
	v_cmp_eq_u32_e32 vcc_lo, 0, v9
	v_cndmask_b32_e32 v9, v11, v10, vcc_lo
; %bb.18:
	s_or_b32 exec_lo, exec_lo, s0
	s_delay_alu instid0(SALU_CYCLE_1)
	s_mov_b32 s0, exec_lo
	v_cmpx_lt_u32_e32 1, v7
; %bb.19:
	v_lshrrev_b32_e32 v2, 16, v8
	v_dual_mov_b32 v5, v9 :: v_dual_and_b32 v4, 0xffff0000, v8
	s_delay_alu instid0(VALU_DEP_2)
	v_and_or_b32 v6, 0xffff0000, v9, v2
; %bb.20:
	s_or_b32 exec_lo, exec_lo, s0
	s_delay_alu instid0(VALU_DEP_1) | instskip(NEXT) | instid1(VALU_DEP_1)
	v_mov_b32_dpp v9, v6 row_shr:4 row_mask:0xf bank_mask:0xf
	v_lshlrev_b32_e32 v8, 16, v9
	s_delay_alu instid0(VALU_DEP_1) | instskip(NEXT) | instid1(VALU_DEP_1)
	v_add_f32_e32 v10, v4, v8
	v_and_b32_e32 v8, 0x7f800000, v10
	s_delay_alu instid0(VALU_DEP_1) | instskip(SKIP_1) | instid1(SALU_CYCLE_1)
	v_cmp_ne_u32_e32 vcc_lo, 0x7f800000, v8
                                        ; implicit-def: $vgpr8
	s_and_saveexec_b32 s0, vcc_lo
	s_xor_b32 s0, exec_lo, s0
; %bb.21:
	v_bfe_u32 v8, v10, 16, 1
	s_delay_alu instid0(VALU_DEP_1)
	v_add3_u32 v8, v10, v8, 0x7fff
                                        ; implicit-def: $vgpr10
; %bb.22:
	s_and_not1_saveexec_b32 s0, s0
; %bb.23:
	v_and_b32_e32 v8, 0xffff, v10
	v_or_b32_e32 v11, 0x10000, v10
	s_delay_alu instid0(VALU_DEP_2) | instskip(NEXT) | instid1(VALU_DEP_2)
	v_cmp_eq_u32_e32 vcc_lo, 0, v8
	v_cndmask_b32_e32 v8, v11, v10, vcc_lo
; %bb.24:
	s_or_b32 exec_lo, exec_lo, s0
	v_and_b32_e32 v9, 0xffff0000, v9
	v_and_b32_e32 v10, 0xffff0000, v6
	s_delay_alu instid0(VALU_DEP_1) | instskip(NEXT) | instid1(VALU_DEP_1)
	v_add_f32_e32 v10, v10, v9
	v_and_b32_e32 v9, 0x7f800000, v10
	s_delay_alu instid0(VALU_DEP_1) | instskip(SKIP_1) | instid1(SALU_CYCLE_1)
	v_cmp_ne_u32_e32 vcc_lo, 0x7f800000, v9
                                        ; implicit-def: $vgpr9
	s_and_saveexec_b32 s0, vcc_lo
	s_xor_b32 s0, exec_lo, s0
; %bb.25:
	v_bfe_u32 v9, v10, 16, 1
	s_delay_alu instid0(VALU_DEP_1)
	v_add3_u32 v9, v10, v9, 0x7fff
                                        ; implicit-def: $vgpr10
; %bb.26:
	s_and_not1_saveexec_b32 s0, s0
; %bb.27:
	v_and_b32_e32 v9, 0xffff, v10
	v_or_b32_e32 v11, 0x10000, v10
	s_delay_alu instid0(VALU_DEP_2) | instskip(NEXT) | instid1(VALU_DEP_2)
	v_cmp_eq_u32_e32 vcc_lo, 0, v9
	v_cndmask_b32_e32 v9, v11, v10, vcc_lo
; %bb.28:
	s_or_b32 exec_lo, exec_lo, s0
	s_delay_alu instid0(SALU_CYCLE_1)
	s_mov_b32 s0, exec_lo
	v_cmpx_lt_u32_e32 3, v7
; %bb.29:
	v_lshrrev_b32_e32 v2, 16, v8
	v_dual_mov_b32 v5, v9 :: v_dual_and_b32 v4, 0xffff0000, v8
	s_delay_alu instid0(VALU_DEP_2)
	v_and_or_b32 v6, 0xffff0000, v9, v2
; %bb.30:
	s_or_b32 exec_lo, exec_lo, s0
	s_delay_alu instid0(VALU_DEP_1) | instskip(NEXT) | instid1(VALU_DEP_1)
	v_mov_b32_dpp v8, v6 row_shr:8 row_mask:0xf bank_mask:0xf
	v_lshlrev_b32_e32 v9, 16, v8
	s_delay_alu instid0(VALU_DEP_1) | instskip(NEXT) | instid1(VALU_DEP_1)
	v_add_f32_e32 v10, v4, v9
	v_and_b32_e32 v9, 0x7f800000, v10
	s_delay_alu instid0(VALU_DEP_1) | instskip(SKIP_1) | instid1(SALU_CYCLE_1)
	v_cmp_ne_u32_e32 vcc_lo, 0x7f800000, v9
                                        ; implicit-def: $vgpr9
	s_and_saveexec_b32 s0, vcc_lo
	s_xor_b32 s0, exec_lo, s0
; %bb.31:
	v_bfe_u32 v9, v10, 16, 1
	s_delay_alu instid0(VALU_DEP_1)
	v_add3_u32 v9, v10, v9, 0x7fff
                                        ; implicit-def: $vgpr10
; %bb.32:
	s_and_not1_saveexec_b32 s0, s0
; %bb.33:
	v_and_b32_e32 v9, 0xffff, v10
	v_or_b32_e32 v11, 0x10000, v10
	s_delay_alu instid0(VALU_DEP_2) | instskip(NEXT) | instid1(VALU_DEP_2)
	v_cmp_eq_u32_e32 vcc_lo, 0, v9
	v_cndmask_b32_e32 v9, v11, v10, vcc_lo
; %bb.34:
	s_or_b32 exec_lo, exec_lo, s0
	v_and_b32_e32 v10, 0xffff0000, v8
	v_and_b32_e32 v8, 0xffff0000, v6
	s_delay_alu instid0(VALU_DEP_1) | instskip(NEXT) | instid1(VALU_DEP_1)
	v_add_f32_e32 v11, v8, v10
	v_and_b32_e32 v10, 0x7f800000, v11
	s_delay_alu instid0(VALU_DEP_1) | instskip(SKIP_1) | instid1(SALU_CYCLE_1)
	v_cmp_ne_u32_e32 vcc_lo, 0x7f800000, v10
                                        ; implicit-def: $vgpr10
	s_and_saveexec_b32 s0, vcc_lo
	s_xor_b32 s0, exec_lo, s0
; %bb.35:
	v_bfe_u32 v10, v11, 16, 1
	s_delay_alu instid0(VALU_DEP_1)
	v_add3_u32 v10, v11, v10, 0x7fff
                                        ; implicit-def: $vgpr11
; %bb.36:
	s_and_not1_saveexec_b32 s0, s0
; %bb.37:
	v_and_b32_e32 v10, 0xffff, v11
	v_or_b32_e32 v12, 0x10000, v11
	s_delay_alu instid0(VALU_DEP_2) | instskip(NEXT) | instid1(VALU_DEP_2)
	v_cmp_eq_u32_e32 vcc_lo, 0, v10
	v_cndmask_b32_e32 v10, v12, v11, vcc_lo
; %bb.38:
	s_or_b32 exec_lo, exec_lo, s0
	s_delay_alu instid0(SALU_CYCLE_1)
	s_mov_b32 s0, exec_lo
	v_cmpx_lt_u32_e32 7, v7
; %bb.39:
	v_lshrrev_b32_e32 v2, 16, v9
	v_dual_mov_b32 v5, v10 :: v_dual_and_b32 v8, 0xffff0000, v10
	v_and_b32_e32 v4, 0xffff0000, v9
	s_delay_alu instid0(VALU_DEP_2)
	v_or_b32_e32 v6, v8, v2
; %bb.40:
	s_or_b32 exec_lo, exec_lo, s0
	ds_swizzle_b32 v6, v6 offset:swizzle(BROADCAST,32,15)
	s_waitcnt lgkmcnt(0)
	v_lshlrev_b32_e32 v7, 16, v6
	s_delay_alu instid0(VALU_DEP_1) | instskip(NEXT) | instid1(VALU_DEP_1)
	v_add_f32_e32 v7, v4, v7
	v_and_b32_e32 v4, 0x7f800000, v7
	s_delay_alu instid0(VALU_DEP_1) | instskip(SKIP_1) | instid1(SALU_CYCLE_1)
	v_cmp_ne_u32_e32 vcc_lo, 0x7f800000, v4
                                        ; implicit-def: $vgpr4
	s_and_saveexec_b32 s0, vcc_lo
	s_xor_b32 s0, exec_lo, s0
; %bb.41:
	v_bfe_u32 v4, v7, 16, 1
	s_delay_alu instid0(VALU_DEP_1)
	v_add3_u32 v4, v7, v4, 0x7fff
                                        ; implicit-def: $vgpr7
; %bb.42:
	s_and_not1_saveexec_b32 s0, s0
; %bb.43:
	v_and_b32_e32 v4, 0xffff, v7
	v_or_b32_e32 v9, 0x10000, v7
	s_delay_alu instid0(VALU_DEP_2) | instskip(NEXT) | instid1(VALU_DEP_2)
	v_cmp_eq_u32_e32 vcc_lo, 0, v4
	v_cndmask_b32_e32 v4, v9, v7, vcc_lo
; %bb.44:
	s_or_b32 exec_lo, exec_lo, s0
	v_and_b32_e32 v6, 0xffff0000, v6
	s_delay_alu instid0(VALU_DEP_1) | instskip(NEXT) | instid1(VALU_DEP_1)
	v_add_f32_e32 v7, v8, v6
	v_and_b32_e32 v6, 0x7f800000, v7
	s_delay_alu instid0(VALU_DEP_1) | instskip(SKIP_1) | instid1(SALU_CYCLE_1)
	v_cmp_ne_u32_e32 vcc_lo, 0x7f800000, v6
                                        ; implicit-def: $vgpr6
	s_and_saveexec_b32 s0, vcc_lo
	s_xor_b32 s0, exec_lo, s0
; %bb.45:
	v_bfe_u32 v6, v7, 16, 1
	s_delay_alu instid0(VALU_DEP_1)
	v_add3_u32 v6, v7, v6, 0x7fff
                                        ; implicit-def: $vgpr7
; %bb.46:
	s_and_not1_saveexec_b32 s0, s0
; %bb.47:
	v_and_b32_e32 v6, 0xffff, v7
	v_or_b32_e32 v8, 0x10000, v7
	s_delay_alu instid0(VALU_DEP_2) | instskip(NEXT) | instid1(VALU_DEP_2)
	v_cmp_eq_u32_e32 vcc_lo, 0, v6
	v_cndmask_b32_e32 v6, v8, v7, vcc_lo
; %bb.48:
	s_or_b32 exec_lo, exec_lo, s0
	v_lshrrev_b32_e32 v4, 16, v4
	v_and_b32_e32 v3, 16, v3
	s_delay_alu instid0(VALU_DEP_1) | instskip(NEXT) | instid1(VALU_DEP_3)
	v_cmp_eq_u32_e32 vcc_lo, 0, v3
	v_dual_cndmask_b32 v2, v4, v2 :: v_dual_cndmask_b32 v3, v6, v5
	v_add_co_u32 v0, vcc_lo, s2, v0
	v_add_co_ci_u32_e32 v1, vcc_lo, s3, v1, vcc_lo
	s_delay_alu instid0(VALU_DEP_3)
	v_bfi_b32 v2, 0xffff, v2, v3
	global_store_b32 v[0:1], v2, off
	s_nop 0
	s_sendmsg sendmsg(MSG_DEALLOC_VGPRS)
	s_endpgm
	.section	.rodata,"a",@progbits
	.p2align	6, 0x0
	.amdhsa_kernel _Z26warp_inclusive_scan_kernelIN10test_utils16custom_test_typeI12hip_bfloat16EELj128ELj32EENSt9enable_ifIXsr10test_utilsE35device_test_enabled_for_warp_size_vIXT1_EEEvE4typeEPT_S8_
		.amdhsa_group_segment_fixed_size 0
		.amdhsa_private_segment_fixed_size 0
		.amdhsa_kernarg_size 272
		.amdhsa_user_sgpr_count 15
		.amdhsa_user_sgpr_dispatch_ptr 0
		.amdhsa_user_sgpr_queue_ptr 0
		.amdhsa_user_sgpr_kernarg_segment_ptr 1
		.amdhsa_user_sgpr_dispatch_id 0
		.amdhsa_user_sgpr_private_segment_size 0
		.amdhsa_wavefront_size32 1
		.amdhsa_uses_dynamic_stack 0
		.amdhsa_enable_private_segment 0
		.amdhsa_system_sgpr_workgroup_id_x 1
		.amdhsa_system_sgpr_workgroup_id_y 0
		.amdhsa_system_sgpr_workgroup_id_z 0
		.amdhsa_system_sgpr_workgroup_info 0
		.amdhsa_system_vgpr_workitem_id 0
		.amdhsa_next_free_vgpr 13
		.amdhsa_next_free_sgpr 16
		.amdhsa_reserve_vcc 1
		.amdhsa_float_round_mode_32 0
		.amdhsa_float_round_mode_16_64 0
		.amdhsa_float_denorm_mode_32 3
		.amdhsa_float_denorm_mode_16_64 3
		.amdhsa_dx10_clamp 1
		.amdhsa_ieee_mode 1
		.amdhsa_fp16_overflow 0
		.amdhsa_workgroup_processor_mode 1
		.amdhsa_memory_ordered 1
		.amdhsa_forward_progress 0
		.amdhsa_shared_vgpr_count 0
		.amdhsa_exception_fp_ieee_invalid_op 0
		.amdhsa_exception_fp_denorm_src 0
		.amdhsa_exception_fp_ieee_div_zero 0
		.amdhsa_exception_fp_ieee_overflow 0
		.amdhsa_exception_fp_ieee_underflow 0
		.amdhsa_exception_fp_ieee_inexact 0
		.amdhsa_exception_int_div_zero 0
	.end_amdhsa_kernel
	.section	.text._Z26warp_inclusive_scan_kernelIN10test_utils16custom_test_typeI12hip_bfloat16EELj128ELj32EENSt9enable_ifIXsr10test_utilsE35device_test_enabled_for_warp_size_vIXT1_EEEvE4typeEPT_S8_,"axG",@progbits,_Z26warp_inclusive_scan_kernelIN10test_utils16custom_test_typeI12hip_bfloat16EELj128ELj32EENSt9enable_ifIXsr10test_utilsE35device_test_enabled_for_warp_size_vIXT1_EEEvE4typeEPT_S8_,comdat
.Lfunc_end301:
	.size	_Z26warp_inclusive_scan_kernelIN10test_utils16custom_test_typeI12hip_bfloat16EELj128ELj32EENSt9enable_ifIXsr10test_utilsE35device_test_enabled_for_warp_size_vIXT1_EEEvE4typeEPT_S8_, .Lfunc_end301-_Z26warp_inclusive_scan_kernelIN10test_utils16custom_test_typeI12hip_bfloat16EELj128ELj32EENSt9enable_ifIXsr10test_utilsE35device_test_enabled_for_warp_size_vIXT1_EEEvE4typeEPT_S8_
                                        ; -- End function
	.section	.AMDGPU.csdata,"",@progbits
; Kernel info:
; codeLenInByte = 1480
; NumSgprs: 18
; NumVgprs: 13
; ScratchSize: 0
; MemoryBound: 0
; FloatMode: 240
; IeeeMode: 1
; LDSByteSize: 0 bytes/workgroup (compile time only)
; SGPRBlocks: 2
; VGPRBlocks: 1
; NumSGPRsForWavesPerEU: 18
; NumVGPRsForWavesPerEU: 13
; Occupancy: 16
; WaveLimiterHint : 0
; COMPUTE_PGM_RSRC2:SCRATCH_EN: 0
; COMPUTE_PGM_RSRC2:USER_SGPR: 15
; COMPUTE_PGM_RSRC2:TRAP_HANDLER: 0
; COMPUTE_PGM_RSRC2:TGID_X_EN: 1
; COMPUTE_PGM_RSRC2:TGID_Y_EN: 0
; COMPUTE_PGM_RSRC2:TGID_Z_EN: 0
; COMPUTE_PGM_RSRC2:TIDIG_COMP_CNT: 0
	.section	.text._Z26warp_inclusive_scan_kernelIN10test_utils16custom_test_typeI12hip_bfloat16EELj64ELj16EENSt9enable_ifIXsr10test_utilsE35device_test_enabled_for_warp_size_vIXT1_EEEvE4typeEPT_S8_,"axG",@progbits,_Z26warp_inclusive_scan_kernelIN10test_utils16custom_test_typeI12hip_bfloat16EELj64ELj16EENSt9enable_ifIXsr10test_utilsE35device_test_enabled_for_warp_size_vIXT1_EEEvE4typeEPT_S8_,comdat
	.protected	_Z26warp_inclusive_scan_kernelIN10test_utils16custom_test_typeI12hip_bfloat16EELj64ELj16EENSt9enable_ifIXsr10test_utilsE35device_test_enabled_for_warp_size_vIXT1_EEEvE4typeEPT_S8_ ; -- Begin function _Z26warp_inclusive_scan_kernelIN10test_utils16custom_test_typeI12hip_bfloat16EELj64ELj16EENSt9enable_ifIXsr10test_utilsE35device_test_enabled_for_warp_size_vIXT1_EEEvE4typeEPT_S8_
	.globl	_Z26warp_inclusive_scan_kernelIN10test_utils16custom_test_typeI12hip_bfloat16EELj64ELj16EENSt9enable_ifIXsr10test_utilsE35device_test_enabled_for_warp_size_vIXT1_EEEvE4typeEPT_S8_
	.p2align	8
	.type	_Z26warp_inclusive_scan_kernelIN10test_utils16custom_test_typeI12hip_bfloat16EELj64ELj16EENSt9enable_ifIXsr10test_utilsE35device_test_enabled_for_warp_size_vIXT1_EEEvE4typeEPT_S8_,@function
_Z26warp_inclusive_scan_kernelIN10test_utils16custom_test_typeI12hip_bfloat16EELj64ELj16EENSt9enable_ifIXsr10test_utilsE35device_test_enabled_for_warp_size_vIXT1_EEEvE4typeEPT_S8_: ; @_Z26warp_inclusive_scan_kernelIN10test_utils16custom_test_typeI12hip_bfloat16EELj64ELj16EENSt9enable_ifIXsr10test_utilsE35device_test_enabled_for_warp_size_vIXT1_EEEvE4typeEPT_S8_
; %bb.0:
	s_clause 0x1
	s_load_b32 s4, s[0:1], 0x1c
	s_load_b128 s[0:3], s[0:1], 0x0
                                        ; implicit-def: $vgpr7
	s_waitcnt lgkmcnt(0)
	s_and_b32 s4, s4, 0xffff
	s_delay_alu instid0(SALU_CYCLE_1) | instskip(SKIP_1) | instid1(VALU_DEP_1)
	v_mad_u64_u32 v[1:2], null, s15, s4, v[0:1]
	v_mov_b32_e32 v2, 0
	v_lshlrev_b64 v[0:1], 2, v[1:2]
	s_delay_alu instid0(VALU_DEP_1) | instskip(NEXT) | instid1(VALU_DEP_2)
	v_add_co_u32 v2, vcc_lo, s0, v0
	v_add_co_ci_u32_e32 v3, vcc_lo, s1, v1, vcc_lo
	s_mov_b32 s0, exec_lo
	global_load_b32 v2, v[2:3], off
	s_waitcnt vmcnt(0)
	v_mov_b32_dpp v3, v2 row_shr:1 row_mask:0xf bank_mask:0xf
	v_lshlrev_b32_e32 v4, 16, v2
	s_delay_alu instid0(VALU_DEP_2) | instskip(NEXT) | instid1(VALU_DEP_1)
	v_lshlrev_b32_e32 v5, 16, v3
	v_add_f32_e32 v5, v4, v5
	s_delay_alu instid0(VALU_DEP_1) | instskip(NEXT) | instid1(VALU_DEP_1)
	v_and_b32_e32 v6, 0x7f800000, v5
	v_cmpx_ne_u32_e32 0x7f800000, v6
	s_xor_b32 s0, exec_lo, s0
; %bb.1:
	v_bfe_u32 v6, v5, 16, 1
	s_delay_alu instid0(VALU_DEP_1)
	v_add3_u32 v7, v5, v6, 0x7fff
                                        ; implicit-def: $vgpr5
; %bb.2:
	s_and_not1_saveexec_b32 s0, s0
; %bb.3:
	v_and_b32_e32 v6, 0xffff, v5
	v_or_b32_e32 v7, 0x10000, v5
	s_delay_alu instid0(VALU_DEP_2) | instskip(NEXT) | instid1(VALU_DEP_2)
	v_cmp_eq_u32_e32 vcc_lo, 0, v6
	v_cndmask_b32_e32 v7, v7, v5, vcc_lo
; %bb.4:
	s_or_b32 exec_lo, exec_lo, s0
	v_and_b32_e32 v3, 0xffff0000, v3
	v_and_b32_e32 v5, 0xffff0000, v2
	s_mov_b32 s0, exec_lo
                                        ; implicit-def: $vgpr8
	s_delay_alu instid0(VALU_DEP_1) | instskip(NEXT) | instid1(VALU_DEP_1)
	v_add_f32_e32 v3, v5, v3
	v_and_b32_e32 v5, 0x7f800000, v3
	s_delay_alu instid0(VALU_DEP_1)
	v_cmpx_ne_u32_e32 0x7f800000, v5
	s_xor_b32 s0, exec_lo, s0
; %bb.5:
	v_bfe_u32 v5, v3, 16, 1
	s_delay_alu instid0(VALU_DEP_1)
	v_add3_u32 v8, v3, v5, 0x7fff
                                        ; implicit-def: $vgpr3
; %bb.6:
	s_and_not1_saveexec_b32 s0, s0
; %bb.7:
	v_and_b32_e32 v5, 0xffff, v3
	v_or_b32_e32 v6, 0x10000, v3
	s_delay_alu instid0(VALU_DEP_2) | instskip(NEXT) | instid1(VALU_DEP_2)
	v_cmp_eq_u32_e32 vcc_lo, 0, v5
	v_cndmask_b32_e32 v8, v6, v3, vcc_lo
; %bb.8:
	s_or_b32 exec_lo, exec_lo, s0
	v_mbcnt_lo_u32_b32 v3, -1, 0
	v_mov_b32_e32 v5, v2
	s_mov_b32 s0, exec_lo
	s_delay_alu instid0(VALU_DEP_2) | instskip(NEXT) | instid1(VALU_DEP_1)
	v_dual_mov_b32 v6, v2 :: v_dual_and_b32 v3, 15, v3
	v_cmpx_ne_u32_e32 0, v3
; %bb.9:
	v_lshrrev_b32_e32 v2, 16, v7
	v_dual_mov_b32 v5, v8 :: v_dual_and_b32 v4, 0xffff0000, v7
	s_delay_alu instid0(VALU_DEP_2)
	v_and_or_b32 v6, 0xffff0000, v8, v2
; %bb.10:
	s_or_b32 exec_lo, exec_lo, s0
	s_delay_alu instid0(VALU_DEP_1) | instskip(NEXT) | instid1(VALU_DEP_1)
	v_mov_b32_dpp v8, v6 row_shr:2 row_mask:0xf bank_mask:0xf
	v_lshlrev_b32_e32 v7, 16, v8
	s_delay_alu instid0(VALU_DEP_1) | instskip(NEXT) | instid1(VALU_DEP_1)
	v_add_f32_e32 v9, v4, v7
	v_and_b32_e32 v7, 0x7f800000, v9
	s_delay_alu instid0(VALU_DEP_1) | instskip(SKIP_1) | instid1(SALU_CYCLE_1)
	v_cmp_ne_u32_e32 vcc_lo, 0x7f800000, v7
                                        ; implicit-def: $vgpr7
	s_and_saveexec_b32 s0, vcc_lo
	s_xor_b32 s0, exec_lo, s0
; %bb.11:
	v_bfe_u32 v7, v9, 16, 1
	s_delay_alu instid0(VALU_DEP_1)
	v_add3_u32 v7, v9, v7, 0x7fff
                                        ; implicit-def: $vgpr9
; %bb.12:
	s_and_not1_saveexec_b32 s0, s0
; %bb.13:
	v_and_b32_e32 v7, 0xffff, v9
	v_or_b32_e32 v10, 0x10000, v9
	s_delay_alu instid0(VALU_DEP_2) | instskip(NEXT) | instid1(VALU_DEP_2)
	v_cmp_eq_u32_e32 vcc_lo, 0, v7
	v_cndmask_b32_e32 v7, v10, v9, vcc_lo
; %bb.14:
	s_or_b32 exec_lo, exec_lo, s0
	v_and_b32_e32 v8, 0xffff0000, v8
	v_and_b32_e32 v9, 0xffff0000, v6
	s_delay_alu instid0(VALU_DEP_1) | instskip(NEXT) | instid1(VALU_DEP_1)
	v_add_f32_e32 v9, v9, v8
	v_and_b32_e32 v8, 0x7f800000, v9
	s_delay_alu instid0(VALU_DEP_1) | instskip(SKIP_1) | instid1(SALU_CYCLE_1)
	v_cmp_ne_u32_e32 vcc_lo, 0x7f800000, v8
                                        ; implicit-def: $vgpr8
	s_and_saveexec_b32 s0, vcc_lo
	s_xor_b32 s0, exec_lo, s0
; %bb.15:
	v_bfe_u32 v8, v9, 16, 1
	s_delay_alu instid0(VALU_DEP_1)
	v_add3_u32 v8, v9, v8, 0x7fff
                                        ; implicit-def: $vgpr9
; %bb.16:
	s_and_not1_saveexec_b32 s0, s0
; %bb.17:
	v_and_b32_e32 v8, 0xffff, v9
	v_or_b32_e32 v10, 0x10000, v9
	s_delay_alu instid0(VALU_DEP_2) | instskip(NEXT) | instid1(VALU_DEP_2)
	v_cmp_eq_u32_e32 vcc_lo, 0, v8
	v_cndmask_b32_e32 v8, v10, v9, vcc_lo
; %bb.18:
	s_or_b32 exec_lo, exec_lo, s0
	s_delay_alu instid0(SALU_CYCLE_1)
	s_mov_b32 s0, exec_lo
	v_cmpx_lt_u32_e32 1, v3
; %bb.19:
	v_lshrrev_b32_e32 v2, 16, v7
	v_dual_mov_b32 v5, v8 :: v_dual_and_b32 v4, 0xffff0000, v7
	s_delay_alu instid0(VALU_DEP_2)
	v_and_or_b32 v6, 0xffff0000, v8, v2
; %bb.20:
	s_or_b32 exec_lo, exec_lo, s0
	s_delay_alu instid0(VALU_DEP_1) | instskip(NEXT) | instid1(VALU_DEP_1)
	v_mov_b32_dpp v7, v6 row_shr:4 row_mask:0xf bank_mask:0xf
	v_lshlrev_b32_e32 v8, 16, v7
	s_delay_alu instid0(VALU_DEP_1) | instskip(NEXT) | instid1(VALU_DEP_1)
	v_add_f32_e32 v9, v4, v8
	v_and_b32_e32 v8, 0x7f800000, v9
	s_delay_alu instid0(VALU_DEP_1) | instskip(SKIP_1) | instid1(SALU_CYCLE_1)
	v_cmp_ne_u32_e32 vcc_lo, 0x7f800000, v8
                                        ; implicit-def: $vgpr8
	s_and_saveexec_b32 s0, vcc_lo
	s_xor_b32 s0, exec_lo, s0
; %bb.21:
	v_bfe_u32 v8, v9, 16, 1
	s_delay_alu instid0(VALU_DEP_1)
	v_add3_u32 v8, v9, v8, 0x7fff
                                        ; implicit-def: $vgpr9
; %bb.22:
	s_and_not1_saveexec_b32 s0, s0
; %bb.23:
	v_and_b32_e32 v8, 0xffff, v9
	v_or_b32_e32 v10, 0x10000, v9
	s_delay_alu instid0(VALU_DEP_2) | instskip(NEXT) | instid1(VALU_DEP_2)
	v_cmp_eq_u32_e32 vcc_lo, 0, v8
	v_cndmask_b32_e32 v8, v10, v9, vcc_lo
; %bb.24:
	s_or_b32 exec_lo, exec_lo, s0
	v_and_b32_e32 v9, 0xffff0000, v7
	v_and_b32_e32 v7, 0xffff0000, v6
	s_delay_alu instid0(VALU_DEP_1) | instskip(NEXT) | instid1(VALU_DEP_1)
	v_add_f32_e32 v10, v7, v9
	v_and_b32_e32 v9, 0x7f800000, v10
	s_delay_alu instid0(VALU_DEP_1) | instskip(SKIP_1) | instid1(SALU_CYCLE_1)
	v_cmp_ne_u32_e32 vcc_lo, 0x7f800000, v9
                                        ; implicit-def: $vgpr9
	s_and_saveexec_b32 s0, vcc_lo
	s_xor_b32 s0, exec_lo, s0
; %bb.25:
	v_bfe_u32 v9, v10, 16, 1
	s_delay_alu instid0(VALU_DEP_1)
	v_add3_u32 v9, v10, v9, 0x7fff
                                        ; implicit-def: $vgpr10
; %bb.26:
	s_and_not1_saveexec_b32 s0, s0
; %bb.27:
	v_and_b32_e32 v9, 0xffff, v10
	v_or_b32_e32 v11, 0x10000, v10
	s_delay_alu instid0(VALU_DEP_2) | instskip(NEXT) | instid1(VALU_DEP_2)
	v_cmp_eq_u32_e32 vcc_lo, 0, v9
	v_cndmask_b32_e32 v9, v11, v10, vcc_lo
; %bb.28:
	s_or_b32 exec_lo, exec_lo, s0
	s_delay_alu instid0(SALU_CYCLE_1)
	s_mov_b32 s0, exec_lo
	v_cmpx_lt_u32_e32 3, v3
; %bb.29:
	v_lshrrev_b32_e32 v2, 16, v8
	v_and_b32_e32 v7, 0xffff0000, v9
	v_dual_mov_b32 v5, v9 :: v_dual_and_b32 v4, 0xffff0000, v8
	s_delay_alu instid0(VALU_DEP_2)
	v_or_b32_e32 v6, v7, v2
; %bb.30:
	s_or_b32 exec_lo, exec_lo, s0
	s_delay_alu instid0(VALU_DEP_1) | instskip(NEXT) | instid1(VALU_DEP_1)
	v_mov_b32_dpp v6, v6 row_shr:8 row_mask:0xf bank_mask:0xf
	v_lshlrev_b32_e32 v8, 16, v6
	s_delay_alu instid0(VALU_DEP_1) | instskip(NEXT) | instid1(VALU_DEP_1)
	v_add_f32_e32 v8, v4, v8
	v_and_b32_e32 v4, 0x7f800000, v8
	s_delay_alu instid0(VALU_DEP_1) | instskip(SKIP_1) | instid1(SALU_CYCLE_1)
	v_cmp_ne_u32_e32 vcc_lo, 0x7f800000, v4
                                        ; implicit-def: $vgpr4
	s_and_saveexec_b32 s0, vcc_lo
	s_xor_b32 s0, exec_lo, s0
; %bb.31:
	v_bfe_u32 v4, v8, 16, 1
	s_delay_alu instid0(VALU_DEP_1)
	v_add3_u32 v4, v8, v4, 0x7fff
                                        ; implicit-def: $vgpr8
; %bb.32:
	s_and_not1_saveexec_b32 s0, s0
; %bb.33:
	v_and_b32_e32 v4, 0xffff, v8
	v_or_b32_e32 v9, 0x10000, v8
	s_delay_alu instid0(VALU_DEP_2) | instskip(NEXT) | instid1(VALU_DEP_2)
	v_cmp_eq_u32_e32 vcc_lo, 0, v4
	v_cndmask_b32_e32 v4, v9, v8, vcc_lo
; %bb.34:
	s_or_b32 exec_lo, exec_lo, s0
	v_and_b32_e32 v6, 0xffff0000, v6
	s_delay_alu instid0(VALU_DEP_1) | instskip(NEXT) | instid1(VALU_DEP_1)
	v_add_f32_e32 v7, v7, v6
	v_and_b32_e32 v6, 0x7f800000, v7
	s_delay_alu instid0(VALU_DEP_1) | instskip(SKIP_1) | instid1(SALU_CYCLE_1)
	v_cmp_ne_u32_e32 vcc_lo, 0x7f800000, v6
                                        ; implicit-def: $vgpr6
	s_and_saveexec_b32 s0, vcc_lo
	s_xor_b32 s0, exec_lo, s0
; %bb.35:
	v_bfe_u32 v6, v7, 16, 1
	s_delay_alu instid0(VALU_DEP_1)
	v_add3_u32 v6, v7, v6, 0x7fff
                                        ; implicit-def: $vgpr7
; %bb.36:
	s_and_not1_saveexec_b32 s0, s0
; %bb.37:
	v_and_b32_e32 v6, 0xffff, v7
	v_or_b32_e32 v8, 0x10000, v7
	s_delay_alu instid0(VALU_DEP_2) | instskip(NEXT) | instid1(VALU_DEP_2)
	v_cmp_eq_u32_e32 vcc_lo, 0, v6
	v_cndmask_b32_e32 v6, v8, v7, vcc_lo
; %bb.38:
	s_or_b32 exec_lo, exec_lo, s0
	v_lshrrev_b32_e32 v4, 16, v4
	v_cmp_lt_u32_e32 vcc_lo, 7, v3
	s_delay_alu instid0(VALU_DEP_2) | instskip(SKIP_2) | instid1(VALU_DEP_3)
	v_dual_cndmask_b32 v2, v2, v4 :: v_dual_cndmask_b32 v3, v5, v6
	v_add_co_u32 v0, vcc_lo, s2, v0
	v_add_co_ci_u32_e32 v1, vcc_lo, s3, v1, vcc_lo
	v_bfi_b32 v2, 0xffff, v2, v3
	global_store_b32 v[0:1], v2, off
	s_nop 0
	s_sendmsg sendmsg(MSG_DEALLOC_VGPRS)
	s_endpgm
	.section	.rodata,"a",@progbits
	.p2align	6, 0x0
	.amdhsa_kernel _Z26warp_inclusive_scan_kernelIN10test_utils16custom_test_typeI12hip_bfloat16EELj64ELj16EENSt9enable_ifIXsr10test_utilsE35device_test_enabled_for_warp_size_vIXT1_EEEvE4typeEPT_S8_
		.amdhsa_group_segment_fixed_size 0
		.amdhsa_private_segment_fixed_size 0
		.amdhsa_kernarg_size 272
		.amdhsa_user_sgpr_count 15
		.amdhsa_user_sgpr_dispatch_ptr 0
		.amdhsa_user_sgpr_queue_ptr 0
		.amdhsa_user_sgpr_kernarg_segment_ptr 1
		.amdhsa_user_sgpr_dispatch_id 0
		.amdhsa_user_sgpr_private_segment_size 0
		.amdhsa_wavefront_size32 1
		.amdhsa_uses_dynamic_stack 0
		.amdhsa_enable_private_segment 0
		.amdhsa_system_sgpr_workgroup_id_x 1
		.amdhsa_system_sgpr_workgroup_id_y 0
		.amdhsa_system_sgpr_workgroup_id_z 0
		.amdhsa_system_sgpr_workgroup_info 0
		.amdhsa_system_vgpr_workitem_id 0
		.amdhsa_next_free_vgpr 12
		.amdhsa_next_free_sgpr 16
		.amdhsa_reserve_vcc 1
		.amdhsa_float_round_mode_32 0
		.amdhsa_float_round_mode_16_64 0
		.amdhsa_float_denorm_mode_32 3
		.amdhsa_float_denorm_mode_16_64 3
		.amdhsa_dx10_clamp 1
		.amdhsa_ieee_mode 1
		.amdhsa_fp16_overflow 0
		.amdhsa_workgroup_processor_mode 1
		.amdhsa_memory_ordered 1
		.amdhsa_forward_progress 0
		.amdhsa_shared_vgpr_count 0
		.amdhsa_exception_fp_ieee_invalid_op 0
		.amdhsa_exception_fp_denorm_src 0
		.amdhsa_exception_fp_ieee_div_zero 0
		.amdhsa_exception_fp_ieee_overflow 0
		.amdhsa_exception_fp_ieee_underflow 0
		.amdhsa_exception_fp_ieee_inexact 0
		.amdhsa_exception_int_div_zero 0
	.end_amdhsa_kernel
	.section	.text._Z26warp_inclusive_scan_kernelIN10test_utils16custom_test_typeI12hip_bfloat16EELj64ELj16EENSt9enable_ifIXsr10test_utilsE35device_test_enabled_for_warp_size_vIXT1_EEEvE4typeEPT_S8_,"axG",@progbits,_Z26warp_inclusive_scan_kernelIN10test_utils16custom_test_typeI12hip_bfloat16EELj64ELj16EENSt9enable_ifIXsr10test_utilsE35device_test_enabled_for_warp_size_vIXT1_EEEvE4typeEPT_S8_,comdat
.Lfunc_end302:
	.size	_Z26warp_inclusive_scan_kernelIN10test_utils16custom_test_typeI12hip_bfloat16EELj64ELj16EENSt9enable_ifIXsr10test_utilsE35device_test_enabled_for_warp_size_vIXT1_EEEvE4typeEPT_S8_, .Lfunc_end302-_Z26warp_inclusive_scan_kernelIN10test_utils16custom_test_typeI12hip_bfloat16EELj64ELj16EENSt9enable_ifIXsr10test_utilsE35device_test_enabled_for_warp_size_vIXT1_EEEvE4typeEPT_S8_
                                        ; -- End function
	.section	.AMDGPU.csdata,"",@progbits
; Kernel info:
; codeLenInByte = 1200
; NumSgprs: 18
; NumVgprs: 12
; ScratchSize: 0
; MemoryBound: 0
; FloatMode: 240
; IeeeMode: 1
; LDSByteSize: 0 bytes/workgroup (compile time only)
; SGPRBlocks: 2
; VGPRBlocks: 1
; NumSGPRsForWavesPerEU: 18
; NumVGPRsForWavesPerEU: 12
; Occupancy: 16
; WaveLimiterHint : 0
; COMPUTE_PGM_RSRC2:SCRATCH_EN: 0
; COMPUTE_PGM_RSRC2:USER_SGPR: 15
; COMPUTE_PGM_RSRC2:TRAP_HANDLER: 0
; COMPUTE_PGM_RSRC2:TGID_X_EN: 1
; COMPUTE_PGM_RSRC2:TGID_Y_EN: 0
; COMPUTE_PGM_RSRC2:TGID_Z_EN: 0
; COMPUTE_PGM_RSRC2:TIDIG_COMP_CNT: 0
	.section	.text._Z26warp_inclusive_scan_kernelIN10test_utils16custom_test_typeI12hip_bfloat16EELj32ELj8EENSt9enable_ifIXsr10test_utilsE35device_test_enabled_for_warp_size_vIXT1_EEEvE4typeEPT_S8_,"axG",@progbits,_Z26warp_inclusive_scan_kernelIN10test_utils16custom_test_typeI12hip_bfloat16EELj32ELj8EENSt9enable_ifIXsr10test_utilsE35device_test_enabled_for_warp_size_vIXT1_EEEvE4typeEPT_S8_,comdat
	.protected	_Z26warp_inclusive_scan_kernelIN10test_utils16custom_test_typeI12hip_bfloat16EELj32ELj8EENSt9enable_ifIXsr10test_utilsE35device_test_enabled_for_warp_size_vIXT1_EEEvE4typeEPT_S8_ ; -- Begin function _Z26warp_inclusive_scan_kernelIN10test_utils16custom_test_typeI12hip_bfloat16EELj32ELj8EENSt9enable_ifIXsr10test_utilsE35device_test_enabled_for_warp_size_vIXT1_EEEvE4typeEPT_S8_
	.globl	_Z26warp_inclusive_scan_kernelIN10test_utils16custom_test_typeI12hip_bfloat16EELj32ELj8EENSt9enable_ifIXsr10test_utilsE35device_test_enabled_for_warp_size_vIXT1_EEEvE4typeEPT_S8_
	.p2align	8
	.type	_Z26warp_inclusive_scan_kernelIN10test_utils16custom_test_typeI12hip_bfloat16EELj32ELj8EENSt9enable_ifIXsr10test_utilsE35device_test_enabled_for_warp_size_vIXT1_EEEvE4typeEPT_S8_,@function
_Z26warp_inclusive_scan_kernelIN10test_utils16custom_test_typeI12hip_bfloat16EELj32ELj8EENSt9enable_ifIXsr10test_utilsE35device_test_enabled_for_warp_size_vIXT1_EEEvE4typeEPT_S8_: ; @_Z26warp_inclusive_scan_kernelIN10test_utils16custom_test_typeI12hip_bfloat16EELj32ELj8EENSt9enable_ifIXsr10test_utilsE35device_test_enabled_for_warp_size_vIXT1_EEEvE4typeEPT_S8_
; %bb.0:
	s_clause 0x1
	s_load_b32 s4, s[0:1], 0x1c
	s_load_b128 s[0:3], s[0:1], 0x0
                                        ; implicit-def: $vgpr7
	s_waitcnt lgkmcnt(0)
	s_and_b32 s4, s4, 0xffff
	s_delay_alu instid0(SALU_CYCLE_1) | instskip(SKIP_1) | instid1(VALU_DEP_1)
	v_mad_u64_u32 v[1:2], null, s15, s4, v[0:1]
	v_mov_b32_e32 v2, 0
	v_lshlrev_b64 v[0:1], 2, v[1:2]
	s_delay_alu instid0(VALU_DEP_1) | instskip(NEXT) | instid1(VALU_DEP_2)
	v_add_co_u32 v2, vcc_lo, s0, v0
	v_add_co_ci_u32_e32 v3, vcc_lo, s1, v1, vcc_lo
	s_mov_b32 s0, exec_lo
	global_load_b32 v2, v[2:3], off
	s_waitcnt vmcnt(0)
	v_mov_b32_dpp v3, v2 row_shr:1 row_mask:0xf bank_mask:0xf
	v_lshlrev_b32_e32 v4, 16, v2
	s_delay_alu instid0(VALU_DEP_2) | instskip(NEXT) | instid1(VALU_DEP_1)
	v_lshlrev_b32_e32 v5, 16, v3
	v_add_f32_e32 v5, v4, v5
	s_delay_alu instid0(VALU_DEP_1) | instskip(NEXT) | instid1(VALU_DEP_1)
	v_and_b32_e32 v6, 0x7f800000, v5
	v_cmpx_ne_u32_e32 0x7f800000, v6
	s_xor_b32 s0, exec_lo, s0
; %bb.1:
	v_bfe_u32 v6, v5, 16, 1
	s_delay_alu instid0(VALU_DEP_1)
	v_add3_u32 v7, v5, v6, 0x7fff
                                        ; implicit-def: $vgpr5
; %bb.2:
	s_and_not1_saveexec_b32 s0, s0
; %bb.3:
	v_and_b32_e32 v6, 0xffff, v5
	v_or_b32_e32 v7, 0x10000, v5
	s_delay_alu instid0(VALU_DEP_2) | instskip(NEXT) | instid1(VALU_DEP_2)
	v_cmp_eq_u32_e32 vcc_lo, 0, v6
	v_cndmask_b32_e32 v7, v7, v5, vcc_lo
; %bb.4:
	s_or_b32 exec_lo, exec_lo, s0
	v_and_b32_e32 v3, 0xffff0000, v3
	v_and_b32_e32 v5, 0xffff0000, v2
	s_mov_b32 s0, exec_lo
                                        ; implicit-def: $vgpr8
	s_delay_alu instid0(VALU_DEP_1) | instskip(NEXT) | instid1(VALU_DEP_1)
	v_add_f32_e32 v3, v5, v3
	v_and_b32_e32 v5, 0x7f800000, v3
	s_delay_alu instid0(VALU_DEP_1)
	v_cmpx_ne_u32_e32 0x7f800000, v5
	s_xor_b32 s0, exec_lo, s0
; %bb.5:
	v_bfe_u32 v5, v3, 16, 1
	s_delay_alu instid0(VALU_DEP_1)
	v_add3_u32 v8, v3, v5, 0x7fff
                                        ; implicit-def: $vgpr3
; %bb.6:
	s_and_not1_saveexec_b32 s0, s0
; %bb.7:
	v_and_b32_e32 v5, 0xffff, v3
	v_or_b32_e32 v6, 0x10000, v3
	s_delay_alu instid0(VALU_DEP_2) | instskip(NEXT) | instid1(VALU_DEP_2)
	v_cmp_eq_u32_e32 vcc_lo, 0, v5
	v_cndmask_b32_e32 v8, v6, v3, vcc_lo
; %bb.8:
	s_or_b32 exec_lo, exec_lo, s0
	v_mbcnt_lo_u32_b32 v3, -1, 0
	v_mov_b32_e32 v5, v2
	s_mov_b32 s0, exec_lo
	s_delay_alu instid0(VALU_DEP_2) | instskip(NEXT) | instid1(VALU_DEP_1)
	v_dual_mov_b32 v6, v2 :: v_dual_and_b32 v3, 7, v3
	v_cmpx_ne_u32_e32 0, v3
; %bb.9:
	v_lshrrev_b32_e32 v2, 16, v7
	v_dual_mov_b32 v5, v8 :: v_dual_and_b32 v4, 0xffff0000, v7
	s_delay_alu instid0(VALU_DEP_2)
	v_and_or_b32 v6, 0xffff0000, v8, v2
; %bb.10:
	s_or_b32 exec_lo, exec_lo, s0
	s_delay_alu instid0(VALU_DEP_1) | instskip(NEXT) | instid1(VALU_DEP_1)
	v_mov_b32_dpp v7, v6 row_shr:2 row_mask:0xf bank_mask:0xf
	v_lshlrev_b32_e32 v8, 16, v7
	s_delay_alu instid0(VALU_DEP_1) | instskip(NEXT) | instid1(VALU_DEP_1)
	v_add_f32_e32 v9, v4, v8
	v_and_b32_e32 v8, 0x7f800000, v9
	s_delay_alu instid0(VALU_DEP_1) | instskip(SKIP_1) | instid1(SALU_CYCLE_1)
	v_cmp_ne_u32_e32 vcc_lo, 0x7f800000, v8
                                        ; implicit-def: $vgpr8
	s_and_saveexec_b32 s0, vcc_lo
	s_xor_b32 s0, exec_lo, s0
; %bb.11:
	v_bfe_u32 v8, v9, 16, 1
	s_delay_alu instid0(VALU_DEP_1)
	v_add3_u32 v8, v9, v8, 0x7fff
                                        ; implicit-def: $vgpr9
; %bb.12:
	s_and_not1_saveexec_b32 s0, s0
; %bb.13:
	v_and_b32_e32 v8, 0xffff, v9
	v_or_b32_e32 v10, 0x10000, v9
	s_delay_alu instid0(VALU_DEP_2) | instskip(NEXT) | instid1(VALU_DEP_2)
	v_cmp_eq_u32_e32 vcc_lo, 0, v8
	v_cndmask_b32_e32 v8, v10, v9, vcc_lo
; %bb.14:
	s_or_b32 exec_lo, exec_lo, s0
	v_and_b32_e32 v9, 0xffff0000, v7
	v_and_b32_e32 v7, 0xffff0000, v6
	s_delay_alu instid0(VALU_DEP_1) | instskip(NEXT) | instid1(VALU_DEP_1)
	v_add_f32_e32 v10, v7, v9
	v_and_b32_e32 v9, 0x7f800000, v10
	s_delay_alu instid0(VALU_DEP_1) | instskip(SKIP_1) | instid1(SALU_CYCLE_1)
	v_cmp_ne_u32_e32 vcc_lo, 0x7f800000, v9
                                        ; implicit-def: $vgpr9
	s_and_saveexec_b32 s0, vcc_lo
	s_xor_b32 s0, exec_lo, s0
; %bb.15:
	v_bfe_u32 v9, v10, 16, 1
	s_delay_alu instid0(VALU_DEP_1)
	v_add3_u32 v9, v10, v9, 0x7fff
                                        ; implicit-def: $vgpr10
; %bb.16:
	s_and_not1_saveexec_b32 s0, s0
; %bb.17:
	v_and_b32_e32 v9, 0xffff, v10
	v_or_b32_e32 v11, 0x10000, v10
	s_delay_alu instid0(VALU_DEP_2) | instskip(NEXT) | instid1(VALU_DEP_2)
	v_cmp_eq_u32_e32 vcc_lo, 0, v9
	v_cndmask_b32_e32 v9, v11, v10, vcc_lo
; %bb.18:
	s_or_b32 exec_lo, exec_lo, s0
	s_delay_alu instid0(SALU_CYCLE_1)
	s_mov_b32 s0, exec_lo
	v_cmpx_lt_u32_e32 1, v3
; %bb.19:
	v_lshrrev_b32_e32 v2, 16, v8
	v_and_b32_e32 v7, 0xffff0000, v9
	v_dual_mov_b32 v5, v9 :: v_dual_and_b32 v4, 0xffff0000, v8
	s_delay_alu instid0(VALU_DEP_2)
	v_or_b32_e32 v6, v7, v2
; %bb.20:
	s_or_b32 exec_lo, exec_lo, s0
	s_delay_alu instid0(VALU_DEP_1) | instskip(NEXT) | instid1(VALU_DEP_1)
	v_mov_b32_dpp v6, v6 row_shr:4 row_mask:0xf bank_mask:0xf
	v_lshlrev_b32_e32 v8, 16, v6
	s_delay_alu instid0(VALU_DEP_1) | instskip(NEXT) | instid1(VALU_DEP_1)
	v_add_f32_e32 v8, v4, v8
	v_and_b32_e32 v4, 0x7f800000, v8
	s_delay_alu instid0(VALU_DEP_1) | instskip(SKIP_1) | instid1(SALU_CYCLE_1)
	v_cmp_ne_u32_e32 vcc_lo, 0x7f800000, v4
                                        ; implicit-def: $vgpr4
	s_and_saveexec_b32 s0, vcc_lo
	s_xor_b32 s0, exec_lo, s0
; %bb.21:
	v_bfe_u32 v4, v8, 16, 1
	s_delay_alu instid0(VALU_DEP_1)
	v_add3_u32 v4, v8, v4, 0x7fff
                                        ; implicit-def: $vgpr8
; %bb.22:
	s_and_not1_saveexec_b32 s0, s0
; %bb.23:
	v_and_b32_e32 v4, 0xffff, v8
	v_or_b32_e32 v9, 0x10000, v8
	s_delay_alu instid0(VALU_DEP_2) | instskip(NEXT) | instid1(VALU_DEP_2)
	v_cmp_eq_u32_e32 vcc_lo, 0, v4
	v_cndmask_b32_e32 v4, v9, v8, vcc_lo
; %bb.24:
	s_or_b32 exec_lo, exec_lo, s0
	v_and_b32_e32 v6, 0xffff0000, v6
	s_delay_alu instid0(VALU_DEP_1) | instskip(NEXT) | instid1(VALU_DEP_1)
	v_add_f32_e32 v7, v7, v6
	v_and_b32_e32 v6, 0x7f800000, v7
	s_delay_alu instid0(VALU_DEP_1) | instskip(SKIP_1) | instid1(SALU_CYCLE_1)
	v_cmp_ne_u32_e32 vcc_lo, 0x7f800000, v6
                                        ; implicit-def: $vgpr6
	s_and_saveexec_b32 s0, vcc_lo
	s_xor_b32 s0, exec_lo, s0
; %bb.25:
	v_bfe_u32 v6, v7, 16, 1
	s_delay_alu instid0(VALU_DEP_1)
	v_add3_u32 v6, v7, v6, 0x7fff
                                        ; implicit-def: $vgpr7
; %bb.26:
	s_and_not1_saveexec_b32 s0, s0
; %bb.27:
	v_and_b32_e32 v6, 0xffff, v7
	v_or_b32_e32 v8, 0x10000, v7
	s_delay_alu instid0(VALU_DEP_2) | instskip(NEXT) | instid1(VALU_DEP_2)
	v_cmp_eq_u32_e32 vcc_lo, 0, v6
	v_cndmask_b32_e32 v6, v8, v7, vcc_lo
; %bb.28:
	s_or_b32 exec_lo, exec_lo, s0
	v_lshrrev_b32_e32 v4, 16, v4
	v_cmp_lt_u32_e32 vcc_lo, 3, v3
	s_delay_alu instid0(VALU_DEP_2) | instskip(SKIP_2) | instid1(VALU_DEP_3)
	v_dual_cndmask_b32 v2, v2, v4 :: v_dual_cndmask_b32 v3, v5, v6
	v_add_co_u32 v0, vcc_lo, s2, v0
	v_add_co_ci_u32_e32 v1, vcc_lo, s3, v1, vcc_lo
	v_bfi_b32 v2, 0xffff, v2, v3
	global_store_b32 v[0:1], v2, off
	s_nop 0
	s_sendmsg sendmsg(MSG_DEALLOC_VGPRS)
	s_endpgm
	.section	.rodata,"a",@progbits
	.p2align	6, 0x0
	.amdhsa_kernel _Z26warp_inclusive_scan_kernelIN10test_utils16custom_test_typeI12hip_bfloat16EELj32ELj8EENSt9enable_ifIXsr10test_utilsE35device_test_enabled_for_warp_size_vIXT1_EEEvE4typeEPT_S8_
		.amdhsa_group_segment_fixed_size 0
		.amdhsa_private_segment_fixed_size 0
		.amdhsa_kernarg_size 272
		.amdhsa_user_sgpr_count 15
		.amdhsa_user_sgpr_dispatch_ptr 0
		.amdhsa_user_sgpr_queue_ptr 0
		.amdhsa_user_sgpr_kernarg_segment_ptr 1
		.amdhsa_user_sgpr_dispatch_id 0
		.amdhsa_user_sgpr_private_segment_size 0
		.amdhsa_wavefront_size32 1
		.amdhsa_uses_dynamic_stack 0
		.amdhsa_enable_private_segment 0
		.amdhsa_system_sgpr_workgroup_id_x 1
		.amdhsa_system_sgpr_workgroup_id_y 0
		.amdhsa_system_sgpr_workgroup_id_z 0
		.amdhsa_system_sgpr_workgroup_info 0
		.amdhsa_system_vgpr_workitem_id 0
		.amdhsa_next_free_vgpr 12
		.amdhsa_next_free_sgpr 16
		.amdhsa_reserve_vcc 1
		.amdhsa_float_round_mode_32 0
		.amdhsa_float_round_mode_16_64 0
		.amdhsa_float_denorm_mode_32 3
		.amdhsa_float_denorm_mode_16_64 3
		.amdhsa_dx10_clamp 1
		.amdhsa_ieee_mode 1
		.amdhsa_fp16_overflow 0
		.amdhsa_workgroup_processor_mode 1
		.amdhsa_memory_ordered 1
		.amdhsa_forward_progress 0
		.amdhsa_shared_vgpr_count 0
		.amdhsa_exception_fp_ieee_invalid_op 0
		.amdhsa_exception_fp_denorm_src 0
		.amdhsa_exception_fp_ieee_div_zero 0
		.amdhsa_exception_fp_ieee_overflow 0
		.amdhsa_exception_fp_ieee_underflow 0
		.amdhsa_exception_fp_ieee_inexact 0
		.amdhsa_exception_int_div_zero 0
	.end_amdhsa_kernel
	.section	.text._Z26warp_inclusive_scan_kernelIN10test_utils16custom_test_typeI12hip_bfloat16EELj32ELj8EENSt9enable_ifIXsr10test_utilsE35device_test_enabled_for_warp_size_vIXT1_EEEvE4typeEPT_S8_,"axG",@progbits,_Z26warp_inclusive_scan_kernelIN10test_utils16custom_test_typeI12hip_bfloat16EELj32ELj8EENSt9enable_ifIXsr10test_utilsE35device_test_enabled_for_warp_size_vIXT1_EEEvE4typeEPT_S8_,comdat
.Lfunc_end303:
	.size	_Z26warp_inclusive_scan_kernelIN10test_utils16custom_test_typeI12hip_bfloat16EELj32ELj8EENSt9enable_ifIXsr10test_utilsE35device_test_enabled_for_warp_size_vIXT1_EEEvE4typeEPT_S8_, .Lfunc_end303-_Z26warp_inclusive_scan_kernelIN10test_utils16custom_test_typeI12hip_bfloat16EELj32ELj8EENSt9enable_ifIXsr10test_utilsE35device_test_enabled_for_warp_size_vIXT1_EEEvE4typeEPT_S8_
                                        ; -- End function
	.section	.AMDGPU.csdata,"",@progbits
; Kernel info:
; codeLenInByte = 928
; NumSgprs: 18
; NumVgprs: 12
; ScratchSize: 0
; MemoryBound: 0
; FloatMode: 240
; IeeeMode: 1
; LDSByteSize: 0 bytes/workgroup (compile time only)
; SGPRBlocks: 2
; VGPRBlocks: 1
; NumSGPRsForWavesPerEU: 18
; NumVGPRsForWavesPerEU: 12
; Occupancy: 16
; WaveLimiterHint : 0
; COMPUTE_PGM_RSRC2:SCRATCH_EN: 0
; COMPUTE_PGM_RSRC2:USER_SGPR: 15
; COMPUTE_PGM_RSRC2:TRAP_HANDLER: 0
; COMPUTE_PGM_RSRC2:TGID_X_EN: 1
; COMPUTE_PGM_RSRC2:TGID_Y_EN: 0
; COMPUTE_PGM_RSRC2:TGID_Z_EN: 0
; COMPUTE_PGM_RSRC2:TIDIG_COMP_CNT: 0
	.section	.text._Z26warp_inclusive_scan_kernelIN10test_utils16custom_test_typeI12hip_bfloat16EELj64ELj8EENSt9enable_ifIXsr10test_utilsE35device_test_enabled_for_warp_size_vIXT1_EEEvE4typeEPT_S8_,"axG",@progbits,_Z26warp_inclusive_scan_kernelIN10test_utils16custom_test_typeI12hip_bfloat16EELj64ELj8EENSt9enable_ifIXsr10test_utilsE35device_test_enabled_for_warp_size_vIXT1_EEEvE4typeEPT_S8_,comdat
	.protected	_Z26warp_inclusive_scan_kernelIN10test_utils16custom_test_typeI12hip_bfloat16EELj64ELj8EENSt9enable_ifIXsr10test_utilsE35device_test_enabled_for_warp_size_vIXT1_EEEvE4typeEPT_S8_ ; -- Begin function _Z26warp_inclusive_scan_kernelIN10test_utils16custom_test_typeI12hip_bfloat16EELj64ELj8EENSt9enable_ifIXsr10test_utilsE35device_test_enabled_for_warp_size_vIXT1_EEEvE4typeEPT_S8_
	.globl	_Z26warp_inclusive_scan_kernelIN10test_utils16custom_test_typeI12hip_bfloat16EELj64ELj8EENSt9enable_ifIXsr10test_utilsE35device_test_enabled_for_warp_size_vIXT1_EEEvE4typeEPT_S8_
	.p2align	8
	.type	_Z26warp_inclusive_scan_kernelIN10test_utils16custom_test_typeI12hip_bfloat16EELj64ELj8EENSt9enable_ifIXsr10test_utilsE35device_test_enabled_for_warp_size_vIXT1_EEEvE4typeEPT_S8_,@function
_Z26warp_inclusive_scan_kernelIN10test_utils16custom_test_typeI12hip_bfloat16EELj64ELj8EENSt9enable_ifIXsr10test_utilsE35device_test_enabled_for_warp_size_vIXT1_EEEvE4typeEPT_S8_: ; @_Z26warp_inclusive_scan_kernelIN10test_utils16custom_test_typeI12hip_bfloat16EELj64ELj8EENSt9enable_ifIXsr10test_utilsE35device_test_enabled_for_warp_size_vIXT1_EEEvE4typeEPT_S8_
; %bb.0:
	s_clause 0x1
	s_load_b32 s4, s[0:1], 0x1c
	s_load_b128 s[0:3], s[0:1], 0x0
                                        ; implicit-def: $vgpr7
	s_waitcnt lgkmcnt(0)
	s_and_b32 s4, s4, 0xffff
	s_delay_alu instid0(SALU_CYCLE_1) | instskip(SKIP_1) | instid1(VALU_DEP_1)
	v_mad_u64_u32 v[1:2], null, s15, s4, v[0:1]
	v_mov_b32_e32 v2, 0
	v_lshlrev_b64 v[0:1], 2, v[1:2]
	s_delay_alu instid0(VALU_DEP_1) | instskip(NEXT) | instid1(VALU_DEP_2)
	v_add_co_u32 v2, vcc_lo, s0, v0
	v_add_co_ci_u32_e32 v3, vcc_lo, s1, v1, vcc_lo
	s_mov_b32 s0, exec_lo
	global_load_b32 v2, v[2:3], off
	s_waitcnt vmcnt(0)
	v_mov_b32_dpp v3, v2 row_shr:1 row_mask:0xf bank_mask:0xf
	v_lshlrev_b32_e32 v4, 16, v2
	s_delay_alu instid0(VALU_DEP_2) | instskip(NEXT) | instid1(VALU_DEP_1)
	v_lshlrev_b32_e32 v5, 16, v3
	v_add_f32_e32 v5, v4, v5
	s_delay_alu instid0(VALU_DEP_1) | instskip(NEXT) | instid1(VALU_DEP_1)
	v_and_b32_e32 v6, 0x7f800000, v5
	v_cmpx_ne_u32_e32 0x7f800000, v6
	s_xor_b32 s0, exec_lo, s0
; %bb.1:
	v_bfe_u32 v6, v5, 16, 1
	s_delay_alu instid0(VALU_DEP_1)
	v_add3_u32 v7, v5, v6, 0x7fff
                                        ; implicit-def: $vgpr5
; %bb.2:
	s_and_not1_saveexec_b32 s0, s0
; %bb.3:
	v_and_b32_e32 v6, 0xffff, v5
	v_or_b32_e32 v7, 0x10000, v5
	s_delay_alu instid0(VALU_DEP_2) | instskip(NEXT) | instid1(VALU_DEP_2)
	v_cmp_eq_u32_e32 vcc_lo, 0, v6
	v_cndmask_b32_e32 v7, v7, v5, vcc_lo
; %bb.4:
	s_or_b32 exec_lo, exec_lo, s0
	v_and_b32_e32 v3, 0xffff0000, v3
	v_and_b32_e32 v5, 0xffff0000, v2
	s_mov_b32 s0, exec_lo
                                        ; implicit-def: $vgpr8
	s_delay_alu instid0(VALU_DEP_1) | instskip(NEXT) | instid1(VALU_DEP_1)
	v_add_f32_e32 v3, v5, v3
	v_and_b32_e32 v5, 0x7f800000, v3
	s_delay_alu instid0(VALU_DEP_1)
	v_cmpx_ne_u32_e32 0x7f800000, v5
	s_xor_b32 s0, exec_lo, s0
; %bb.5:
	v_bfe_u32 v5, v3, 16, 1
	s_delay_alu instid0(VALU_DEP_1)
	v_add3_u32 v8, v3, v5, 0x7fff
                                        ; implicit-def: $vgpr3
; %bb.6:
	s_and_not1_saveexec_b32 s0, s0
; %bb.7:
	v_and_b32_e32 v5, 0xffff, v3
	v_or_b32_e32 v6, 0x10000, v3
	s_delay_alu instid0(VALU_DEP_2) | instskip(NEXT) | instid1(VALU_DEP_2)
	v_cmp_eq_u32_e32 vcc_lo, 0, v5
	v_cndmask_b32_e32 v8, v6, v3, vcc_lo
; %bb.8:
	s_or_b32 exec_lo, exec_lo, s0
	v_mbcnt_lo_u32_b32 v3, -1, 0
	v_mov_b32_e32 v5, v2
	s_mov_b32 s0, exec_lo
	s_delay_alu instid0(VALU_DEP_2) | instskip(NEXT) | instid1(VALU_DEP_1)
	v_dual_mov_b32 v6, v2 :: v_dual_and_b32 v3, 7, v3
	v_cmpx_ne_u32_e32 0, v3
; %bb.9:
	v_lshrrev_b32_e32 v2, 16, v7
	v_dual_mov_b32 v5, v8 :: v_dual_and_b32 v4, 0xffff0000, v7
	s_delay_alu instid0(VALU_DEP_2)
	v_and_or_b32 v6, 0xffff0000, v8, v2
; %bb.10:
	s_or_b32 exec_lo, exec_lo, s0
	s_delay_alu instid0(VALU_DEP_1) | instskip(NEXT) | instid1(VALU_DEP_1)
	v_mov_b32_dpp v7, v6 row_shr:2 row_mask:0xf bank_mask:0xf
	v_lshlrev_b32_e32 v8, 16, v7
	s_delay_alu instid0(VALU_DEP_1) | instskip(NEXT) | instid1(VALU_DEP_1)
	v_add_f32_e32 v9, v4, v8
	v_and_b32_e32 v8, 0x7f800000, v9
	s_delay_alu instid0(VALU_DEP_1) | instskip(SKIP_1) | instid1(SALU_CYCLE_1)
	v_cmp_ne_u32_e32 vcc_lo, 0x7f800000, v8
                                        ; implicit-def: $vgpr8
	s_and_saveexec_b32 s0, vcc_lo
	s_xor_b32 s0, exec_lo, s0
; %bb.11:
	v_bfe_u32 v8, v9, 16, 1
	s_delay_alu instid0(VALU_DEP_1)
	v_add3_u32 v8, v9, v8, 0x7fff
                                        ; implicit-def: $vgpr9
; %bb.12:
	s_and_not1_saveexec_b32 s0, s0
; %bb.13:
	v_and_b32_e32 v8, 0xffff, v9
	v_or_b32_e32 v10, 0x10000, v9
	s_delay_alu instid0(VALU_DEP_2) | instskip(NEXT) | instid1(VALU_DEP_2)
	v_cmp_eq_u32_e32 vcc_lo, 0, v8
	v_cndmask_b32_e32 v8, v10, v9, vcc_lo
; %bb.14:
	s_or_b32 exec_lo, exec_lo, s0
	v_and_b32_e32 v9, 0xffff0000, v7
	v_and_b32_e32 v7, 0xffff0000, v6
	s_delay_alu instid0(VALU_DEP_1) | instskip(NEXT) | instid1(VALU_DEP_1)
	v_add_f32_e32 v10, v7, v9
	v_and_b32_e32 v9, 0x7f800000, v10
	s_delay_alu instid0(VALU_DEP_1) | instskip(SKIP_1) | instid1(SALU_CYCLE_1)
	v_cmp_ne_u32_e32 vcc_lo, 0x7f800000, v9
                                        ; implicit-def: $vgpr9
	s_and_saveexec_b32 s0, vcc_lo
	s_xor_b32 s0, exec_lo, s0
; %bb.15:
	v_bfe_u32 v9, v10, 16, 1
	s_delay_alu instid0(VALU_DEP_1)
	v_add3_u32 v9, v10, v9, 0x7fff
                                        ; implicit-def: $vgpr10
; %bb.16:
	s_and_not1_saveexec_b32 s0, s0
; %bb.17:
	v_and_b32_e32 v9, 0xffff, v10
	v_or_b32_e32 v11, 0x10000, v10
	s_delay_alu instid0(VALU_DEP_2) | instskip(NEXT) | instid1(VALU_DEP_2)
	v_cmp_eq_u32_e32 vcc_lo, 0, v9
	v_cndmask_b32_e32 v9, v11, v10, vcc_lo
; %bb.18:
	s_or_b32 exec_lo, exec_lo, s0
	s_delay_alu instid0(SALU_CYCLE_1)
	s_mov_b32 s0, exec_lo
	v_cmpx_lt_u32_e32 1, v3
; %bb.19:
	v_lshrrev_b32_e32 v2, 16, v8
	v_and_b32_e32 v7, 0xffff0000, v9
	v_dual_mov_b32 v5, v9 :: v_dual_and_b32 v4, 0xffff0000, v8
	s_delay_alu instid0(VALU_DEP_2)
	v_or_b32_e32 v6, v7, v2
; %bb.20:
	s_or_b32 exec_lo, exec_lo, s0
	s_delay_alu instid0(VALU_DEP_1) | instskip(NEXT) | instid1(VALU_DEP_1)
	v_mov_b32_dpp v6, v6 row_shr:4 row_mask:0xf bank_mask:0xf
	v_lshlrev_b32_e32 v8, 16, v6
	s_delay_alu instid0(VALU_DEP_1) | instskip(NEXT) | instid1(VALU_DEP_1)
	v_add_f32_e32 v8, v4, v8
	v_and_b32_e32 v4, 0x7f800000, v8
	s_delay_alu instid0(VALU_DEP_1) | instskip(SKIP_1) | instid1(SALU_CYCLE_1)
	v_cmp_ne_u32_e32 vcc_lo, 0x7f800000, v4
                                        ; implicit-def: $vgpr4
	s_and_saveexec_b32 s0, vcc_lo
	s_xor_b32 s0, exec_lo, s0
; %bb.21:
	v_bfe_u32 v4, v8, 16, 1
	s_delay_alu instid0(VALU_DEP_1)
	v_add3_u32 v4, v8, v4, 0x7fff
                                        ; implicit-def: $vgpr8
; %bb.22:
	s_and_not1_saveexec_b32 s0, s0
; %bb.23:
	v_and_b32_e32 v4, 0xffff, v8
	v_or_b32_e32 v9, 0x10000, v8
	s_delay_alu instid0(VALU_DEP_2) | instskip(NEXT) | instid1(VALU_DEP_2)
	v_cmp_eq_u32_e32 vcc_lo, 0, v4
	v_cndmask_b32_e32 v4, v9, v8, vcc_lo
; %bb.24:
	s_or_b32 exec_lo, exec_lo, s0
	v_and_b32_e32 v6, 0xffff0000, v6
	s_delay_alu instid0(VALU_DEP_1) | instskip(NEXT) | instid1(VALU_DEP_1)
	v_add_f32_e32 v7, v7, v6
	v_and_b32_e32 v6, 0x7f800000, v7
	s_delay_alu instid0(VALU_DEP_1) | instskip(SKIP_1) | instid1(SALU_CYCLE_1)
	v_cmp_ne_u32_e32 vcc_lo, 0x7f800000, v6
                                        ; implicit-def: $vgpr6
	s_and_saveexec_b32 s0, vcc_lo
	s_xor_b32 s0, exec_lo, s0
; %bb.25:
	v_bfe_u32 v6, v7, 16, 1
	s_delay_alu instid0(VALU_DEP_1)
	v_add3_u32 v6, v7, v6, 0x7fff
                                        ; implicit-def: $vgpr7
; %bb.26:
	s_and_not1_saveexec_b32 s0, s0
; %bb.27:
	v_and_b32_e32 v6, 0xffff, v7
	v_or_b32_e32 v8, 0x10000, v7
	s_delay_alu instid0(VALU_DEP_2) | instskip(NEXT) | instid1(VALU_DEP_2)
	v_cmp_eq_u32_e32 vcc_lo, 0, v6
	v_cndmask_b32_e32 v6, v8, v7, vcc_lo
; %bb.28:
	s_or_b32 exec_lo, exec_lo, s0
	v_lshrrev_b32_e32 v4, 16, v4
	v_cmp_lt_u32_e32 vcc_lo, 3, v3
	s_delay_alu instid0(VALU_DEP_2) | instskip(SKIP_2) | instid1(VALU_DEP_3)
	v_dual_cndmask_b32 v2, v2, v4 :: v_dual_cndmask_b32 v3, v5, v6
	v_add_co_u32 v0, vcc_lo, s2, v0
	v_add_co_ci_u32_e32 v1, vcc_lo, s3, v1, vcc_lo
	v_bfi_b32 v2, 0xffff, v2, v3
	global_store_b32 v[0:1], v2, off
	s_nop 0
	s_sendmsg sendmsg(MSG_DEALLOC_VGPRS)
	s_endpgm
	.section	.rodata,"a",@progbits
	.p2align	6, 0x0
	.amdhsa_kernel _Z26warp_inclusive_scan_kernelIN10test_utils16custom_test_typeI12hip_bfloat16EELj64ELj8EENSt9enable_ifIXsr10test_utilsE35device_test_enabled_for_warp_size_vIXT1_EEEvE4typeEPT_S8_
		.amdhsa_group_segment_fixed_size 0
		.amdhsa_private_segment_fixed_size 0
		.amdhsa_kernarg_size 272
		.amdhsa_user_sgpr_count 15
		.amdhsa_user_sgpr_dispatch_ptr 0
		.amdhsa_user_sgpr_queue_ptr 0
		.amdhsa_user_sgpr_kernarg_segment_ptr 1
		.amdhsa_user_sgpr_dispatch_id 0
		.amdhsa_user_sgpr_private_segment_size 0
		.amdhsa_wavefront_size32 1
		.amdhsa_uses_dynamic_stack 0
		.amdhsa_enable_private_segment 0
		.amdhsa_system_sgpr_workgroup_id_x 1
		.amdhsa_system_sgpr_workgroup_id_y 0
		.amdhsa_system_sgpr_workgroup_id_z 0
		.amdhsa_system_sgpr_workgroup_info 0
		.amdhsa_system_vgpr_workitem_id 0
		.amdhsa_next_free_vgpr 12
		.amdhsa_next_free_sgpr 16
		.amdhsa_reserve_vcc 1
		.amdhsa_float_round_mode_32 0
		.amdhsa_float_round_mode_16_64 0
		.amdhsa_float_denorm_mode_32 3
		.amdhsa_float_denorm_mode_16_64 3
		.amdhsa_dx10_clamp 1
		.amdhsa_ieee_mode 1
		.amdhsa_fp16_overflow 0
		.amdhsa_workgroup_processor_mode 1
		.amdhsa_memory_ordered 1
		.amdhsa_forward_progress 0
		.amdhsa_shared_vgpr_count 0
		.amdhsa_exception_fp_ieee_invalid_op 0
		.amdhsa_exception_fp_denorm_src 0
		.amdhsa_exception_fp_ieee_div_zero 0
		.amdhsa_exception_fp_ieee_overflow 0
		.amdhsa_exception_fp_ieee_underflow 0
		.amdhsa_exception_fp_ieee_inexact 0
		.amdhsa_exception_int_div_zero 0
	.end_amdhsa_kernel
	.section	.text._Z26warp_inclusive_scan_kernelIN10test_utils16custom_test_typeI12hip_bfloat16EELj64ELj8EENSt9enable_ifIXsr10test_utilsE35device_test_enabled_for_warp_size_vIXT1_EEEvE4typeEPT_S8_,"axG",@progbits,_Z26warp_inclusive_scan_kernelIN10test_utils16custom_test_typeI12hip_bfloat16EELj64ELj8EENSt9enable_ifIXsr10test_utilsE35device_test_enabled_for_warp_size_vIXT1_EEEvE4typeEPT_S8_,comdat
.Lfunc_end304:
	.size	_Z26warp_inclusive_scan_kernelIN10test_utils16custom_test_typeI12hip_bfloat16EELj64ELj8EENSt9enable_ifIXsr10test_utilsE35device_test_enabled_for_warp_size_vIXT1_EEEvE4typeEPT_S8_, .Lfunc_end304-_Z26warp_inclusive_scan_kernelIN10test_utils16custom_test_typeI12hip_bfloat16EELj64ELj8EENSt9enable_ifIXsr10test_utilsE35device_test_enabled_for_warp_size_vIXT1_EEEvE4typeEPT_S8_
                                        ; -- End function
	.section	.AMDGPU.csdata,"",@progbits
; Kernel info:
; codeLenInByte = 928
; NumSgprs: 18
; NumVgprs: 12
; ScratchSize: 0
; MemoryBound: 0
; FloatMode: 240
; IeeeMode: 1
; LDSByteSize: 0 bytes/workgroup (compile time only)
; SGPRBlocks: 2
; VGPRBlocks: 1
; NumSGPRsForWavesPerEU: 18
; NumVGPRsForWavesPerEU: 12
; Occupancy: 16
; WaveLimiterHint : 0
; COMPUTE_PGM_RSRC2:SCRATCH_EN: 0
; COMPUTE_PGM_RSRC2:USER_SGPR: 15
; COMPUTE_PGM_RSRC2:TRAP_HANDLER: 0
; COMPUTE_PGM_RSRC2:TGID_X_EN: 1
; COMPUTE_PGM_RSRC2:TGID_Y_EN: 0
; COMPUTE_PGM_RSRC2:TGID_Z_EN: 0
; COMPUTE_PGM_RSRC2:TIDIG_COMP_CNT: 0
	.section	.text._Z26warp_inclusive_scan_kernelIN10test_utils16custom_test_typeI12hip_bfloat16EELj32ELj4EENSt9enable_ifIXsr10test_utilsE35device_test_enabled_for_warp_size_vIXT1_EEEvE4typeEPT_S8_,"axG",@progbits,_Z26warp_inclusive_scan_kernelIN10test_utils16custom_test_typeI12hip_bfloat16EELj32ELj4EENSt9enable_ifIXsr10test_utilsE35device_test_enabled_for_warp_size_vIXT1_EEEvE4typeEPT_S8_,comdat
	.protected	_Z26warp_inclusive_scan_kernelIN10test_utils16custom_test_typeI12hip_bfloat16EELj32ELj4EENSt9enable_ifIXsr10test_utilsE35device_test_enabled_for_warp_size_vIXT1_EEEvE4typeEPT_S8_ ; -- Begin function _Z26warp_inclusive_scan_kernelIN10test_utils16custom_test_typeI12hip_bfloat16EELj32ELj4EENSt9enable_ifIXsr10test_utilsE35device_test_enabled_for_warp_size_vIXT1_EEEvE4typeEPT_S8_
	.globl	_Z26warp_inclusive_scan_kernelIN10test_utils16custom_test_typeI12hip_bfloat16EELj32ELj4EENSt9enable_ifIXsr10test_utilsE35device_test_enabled_for_warp_size_vIXT1_EEEvE4typeEPT_S8_
	.p2align	8
	.type	_Z26warp_inclusive_scan_kernelIN10test_utils16custom_test_typeI12hip_bfloat16EELj32ELj4EENSt9enable_ifIXsr10test_utilsE35device_test_enabled_for_warp_size_vIXT1_EEEvE4typeEPT_S8_,@function
_Z26warp_inclusive_scan_kernelIN10test_utils16custom_test_typeI12hip_bfloat16EELj32ELj4EENSt9enable_ifIXsr10test_utilsE35device_test_enabled_for_warp_size_vIXT1_EEEvE4typeEPT_S8_: ; @_Z26warp_inclusive_scan_kernelIN10test_utils16custom_test_typeI12hip_bfloat16EELj32ELj4EENSt9enable_ifIXsr10test_utilsE35device_test_enabled_for_warp_size_vIXT1_EEEvE4typeEPT_S8_
; %bb.0:
	s_clause 0x1
	s_load_b32 s4, s[0:1], 0x1c
	s_load_b128 s[0:3], s[0:1], 0x0
                                        ; implicit-def: $vgpr7
	s_waitcnt lgkmcnt(0)
	s_and_b32 s4, s4, 0xffff
	s_delay_alu instid0(SALU_CYCLE_1) | instskip(SKIP_1) | instid1(VALU_DEP_1)
	v_mad_u64_u32 v[1:2], null, s15, s4, v[0:1]
	v_mov_b32_e32 v2, 0
	v_lshlrev_b64 v[0:1], 2, v[1:2]
	s_delay_alu instid0(VALU_DEP_1) | instskip(NEXT) | instid1(VALU_DEP_2)
	v_add_co_u32 v2, vcc_lo, s0, v0
	v_add_co_ci_u32_e32 v3, vcc_lo, s1, v1, vcc_lo
	s_mov_b32 s0, exec_lo
	global_load_b32 v2, v[2:3], off
	s_waitcnt vmcnt(0)
	v_mov_b32_dpp v3, v2 row_shr:1 row_mask:0xf bank_mask:0xf
	v_lshlrev_b32_e32 v5, 16, v2
	s_delay_alu instid0(VALU_DEP_2) | instskip(NEXT) | instid1(VALU_DEP_1)
	v_lshlrev_b32_e32 v4, 16, v3
	v_add_f32_e32 v4, v5, v4
	s_delay_alu instid0(VALU_DEP_1) | instskip(NEXT) | instid1(VALU_DEP_1)
	v_and_b32_e32 v6, 0x7f800000, v4
	v_cmpx_ne_u32_e32 0x7f800000, v6
	s_xor_b32 s0, exec_lo, s0
; %bb.1:
	v_bfe_u32 v6, v4, 16, 1
	s_delay_alu instid0(VALU_DEP_1)
	v_add3_u32 v7, v4, v6, 0x7fff
                                        ; implicit-def: $vgpr4
; %bb.2:
	s_and_not1_saveexec_b32 s0, s0
; %bb.3:
	v_and_b32_e32 v6, 0xffff, v4
	v_or_b32_e32 v7, 0x10000, v4
	s_delay_alu instid0(VALU_DEP_2) | instskip(NEXT) | instid1(VALU_DEP_2)
	v_cmp_eq_u32_e32 vcc_lo, 0, v6
	v_cndmask_b32_e32 v7, v7, v4, vcc_lo
; %bb.4:
	s_or_b32 exec_lo, exec_lo, s0
	v_and_b32_e32 v3, 0xffff0000, v3
	v_and_b32_e32 v4, 0xffff0000, v2
	s_mov_b32 s0, exec_lo
                                        ; implicit-def: $vgpr8
	s_delay_alu instid0(VALU_DEP_1) | instskip(NEXT) | instid1(VALU_DEP_1)
	v_add_f32_e32 v3, v4, v3
	v_and_b32_e32 v6, 0x7f800000, v3
	s_delay_alu instid0(VALU_DEP_1)
	v_cmpx_ne_u32_e32 0x7f800000, v6
	s_xor_b32 s0, exec_lo, s0
; %bb.5:
	v_bfe_u32 v6, v3, 16, 1
	s_delay_alu instid0(VALU_DEP_1)
	v_add3_u32 v8, v3, v6, 0x7fff
                                        ; implicit-def: $vgpr3
; %bb.6:
	s_and_not1_saveexec_b32 s0, s0
; %bb.7:
	v_and_b32_e32 v6, 0xffff, v3
	v_or_b32_e32 v8, 0x10000, v3
	s_delay_alu instid0(VALU_DEP_2) | instskip(NEXT) | instid1(VALU_DEP_2)
	v_cmp_eq_u32_e32 vcc_lo, 0, v6
	v_cndmask_b32_e32 v8, v8, v3, vcc_lo
; %bb.8:
	s_or_b32 exec_lo, exec_lo, s0
	v_mbcnt_lo_u32_b32 v3, -1, 0
	v_mov_b32_e32 v9, v2
	s_mov_b32 s0, exec_lo
	s_delay_alu instid0(VALU_DEP_2) | instskip(NEXT) | instid1(VALU_DEP_1)
	v_dual_mov_b32 v6, v2 :: v_dual_and_b32 v3, 3, v3
	v_cmpx_ne_u32_e32 0, v3
; %bb.9:
	v_lshrrev_b32_e32 v2, 16, v7
	v_and_b32_e32 v4, 0xffff0000, v8
	v_dual_mov_b32 v6, v8 :: v_dual_and_b32 v5, 0xffff0000, v7
	s_delay_alu instid0(VALU_DEP_2)
	v_or_b32_e32 v9, v4, v2
; %bb.10:
	s_or_b32 exec_lo, exec_lo, s0
	s_delay_alu instid0(VALU_DEP_1) | instskip(NEXT) | instid1(VALU_DEP_1)
	v_mov_b32_dpp v7, v9 row_shr:2 row_mask:0xf bank_mask:0xf
	v_lshlrev_b32_e32 v8, 16, v7
	s_delay_alu instid0(VALU_DEP_1) | instskip(NEXT) | instid1(VALU_DEP_1)
	v_add_f32_e32 v8, v5, v8
	v_and_b32_e32 v5, 0x7f800000, v8
	s_delay_alu instid0(VALU_DEP_1) | instskip(SKIP_1) | instid1(SALU_CYCLE_1)
	v_cmp_ne_u32_e32 vcc_lo, 0x7f800000, v5
                                        ; implicit-def: $vgpr5
	s_and_saveexec_b32 s0, vcc_lo
	s_xor_b32 s0, exec_lo, s0
; %bb.11:
	v_bfe_u32 v5, v8, 16, 1
	s_delay_alu instid0(VALU_DEP_1)
	v_add3_u32 v5, v8, v5, 0x7fff
                                        ; implicit-def: $vgpr8
; %bb.12:
	s_and_not1_saveexec_b32 s0, s0
; %bb.13:
	v_and_b32_e32 v5, 0xffff, v8
	v_or_b32_e32 v9, 0x10000, v8
	s_delay_alu instid0(VALU_DEP_2) | instskip(NEXT) | instid1(VALU_DEP_2)
	v_cmp_eq_u32_e32 vcc_lo, 0, v5
	v_cndmask_b32_e32 v5, v9, v8, vcc_lo
; %bb.14:
	s_or_b32 exec_lo, exec_lo, s0
	v_and_b32_e32 v7, 0xffff0000, v7
	s_delay_alu instid0(VALU_DEP_1) | instskip(NEXT) | instid1(VALU_DEP_1)
	v_add_f32_e32 v7, v4, v7
	v_and_b32_e32 v4, 0x7f800000, v7
	s_delay_alu instid0(VALU_DEP_1) | instskip(SKIP_1) | instid1(SALU_CYCLE_1)
	v_cmp_ne_u32_e32 vcc_lo, 0x7f800000, v4
                                        ; implicit-def: $vgpr4
	s_and_saveexec_b32 s0, vcc_lo
	s_xor_b32 s0, exec_lo, s0
; %bb.15:
	v_bfe_u32 v4, v7, 16, 1
	s_delay_alu instid0(VALU_DEP_1)
	v_add3_u32 v4, v7, v4, 0x7fff
                                        ; implicit-def: $vgpr7
; %bb.16:
	s_and_not1_saveexec_b32 s0, s0
; %bb.17:
	v_and_b32_e32 v4, 0xffff, v7
	v_or_b32_e32 v8, 0x10000, v7
	s_delay_alu instid0(VALU_DEP_2) | instskip(NEXT) | instid1(VALU_DEP_2)
	v_cmp_eq_u32_e32 vcc_lo, 0, v4
	v_cndmask_b32_e32 v4, v8, v7, vcc_lo
; %bb.18:
	s_or_b32 exec_lo, exec_lo, s0
	v_lshrrev_b32_e32 v5, 16, v5
	v_cmp_lt_u32_e32 vcc_lo, 1, v3
	s_delay_alu instid0(VALU_DEP_2) | instskip(SKIP_3) | instid1(VALU_DEP_3)
	v_cndmask_b32_e32 v2, v2, v5, vcc_lo
	v_cndmask_b32_e32 v3, v6, v4, vcc_lo
	v_add_co_u32 v0, vcc_lo, s2, v0
	v_add_co_ci_u32_e32 v1, vcc_lo, s3, v1, vcc_lo
	v_bfi_b32 v2, 0xffff, v2, v3
	global_store_b32 v[0:1], v2, off
	s_nop 0
	s_sendmsg sendmsg(MSG_DEALLOC_VGPRS)
	s_endpgm
	.section	.rodata,"a",@progbits
	.p2align	6, 0x0
	.amdhsa_kernel _Z26warp_inclusive_scan_kernelIN10test_utils16custom_test_typeI12hip_bfloat16EELj32ELj4EENSt9enable_ifIXsr10test_utilsE35device_test_enabled_for_warp_size_vIXT1_EEEvE4typeEPT_S8_
		.amdhsa_group_segment_fixed_size 0
		.amdhsa_private_segment_fixed_size 0
		.amdhsa_kernarg_size 272
		.amdhsa_user_sgpr_count 15
		.amdhsa_user_sgpr_dispatch_ptr 0
		.amdhsa_user_sgpr_queue_ptr 0
		.amdhsa_user_sgpr_kernarg_segment_ptr 1
		.amdhsa_user_sgpr_dispatch_id 0
		.amdhsa_user_sgpr_private_segment_size 0
		.amdhsa_wavefront_size32 1
		.amdhsa_uses_dynamic_stack 0
		.amdhsa_enable_private_segment 0
		.amdhsa_system_sgpr_workgroup_id_x 1
		.amdhsa_system_sgpr_workgroup_id_y 0
		.amdhsa_system_sgpr_workgroup_id_z 0
		.amdhsa_system_sgpr_workgroup_info 0
		.amdhsa_system_vgpr_workitem_id 0
		.amdhsa_next_free_vgpr 10
		.amdhsa_next_free_sgpr 16
		.amdhsa_reserve_vcc 1
		.amdhsa_float_round_mode_32 0
		.amdhsa_float_round_mode_16_64 0
		.amdhsa_float_denorm_mode_32 3
		.amdhsa_float_denorm_mode_16_64 3
		.amdhsa_dx10_clamp 1
		.amdhsa_ieee_mode 1
		.amdhsa_fp16_overflow 0
		.amdhsa_workgroup_processor_mode 1
		.amdhsa_memory_ordered 1
		.amdhsa_forward_progress 0
		.amdhsa_shared_vgpr_count 0
		.amdhsa_exception_fp_ieee_invalid_op 0
		.amdhsa_exception_fp_denorm_src 0
		.amdhsa_exception_fp_ieee_div_zero 0
		.amdhsa_exception_fp_ieee_overflow 0
		.amdhsa_exception_fp_ieee_underflow 0
		.amdhsa_exception_fp_ieee_inexact 0
		.amdhsa_exception_int_div_zero 0
	.end_amdhsa_kernel
	.section	.text._Z26warp_inclusive_scan_kernelIN10test_utils16custom_test_typeI12hip_bfloat16EELj32ELj4EENSt9enable_ifIXsr10test_utilsE35device_test_enabled_for_warp_size_vIXT1_EEEvE4typeEPT_S8_,"axG",@progbits,_Z26warp_inclusive_scan_kernelIN10test_utils16custom_test_typeI12hip_bfloat16EELj32ELj4EENSt9enable_ifIXsr10test_utilsE35device_test_enabled_for_warp_size_vIXT1_EEEvE4typeEPT_S8_,comdat
.Lfunc_end305:
	.size	_Z26warp_inclusive_scan_kernelIN10test_utils16custom_test_typeI12hip_bfloat16EELj32ELj4EENSt9enable_ifIXsr10test_utilsE35device_test_enabled_for_warp_size_vIXT1_EEEvE4typeEPT_S8_, .Lfunc_end305-_Z26warp_inclusive_scan_kernelIN10test_utils16custom_test_typeI12hip_bfloat16EELj32ELj4EENSt9enable_ifIXsr10test_utilsE35device_test_enabled_for_warp_size_vIXT1_EEEvE4typeEPT_S8_
                                        ; -- End function
	.section	.AMDGPU.csdata,"",@progbits
; Kernel info:
; codeLenInByte = 656
; NumSgprs: 18
; NumVgprs: 10
; ScratchSize: 0
; MemoryBound: 0
; FloatMode: 240
; IeeeMode: 1
; LDSByteSize: 0 bytes/workgroup (compile time only)
; SGPRBlocks: 2
; VGPRBlocks: 1
; NumSGPRsForWavesPerEU: 18
; NumVGPRsForWavesPerEU: 10
; Occupancy: 16
; WaveLimiterHint : 0
; COMPUTE_PGM_RSRC2:SCRATCH_EN: 0
; COMPUTE_PGM_RSRC2:USER_SGPR: 15
; COMPUTE_PGM_RSRC2:TRAP_HANDLER: 0
; COMPUTE_PGM_RSRC2:TGID_X_EN: 1
; COMPUTE_PGM_RSRC2:TGID_Y_EN: 0
; COMPUTE_PGM_RSRC2:TGID_Z_EN: 0
; COMPUTE_PGM_RSRC2:TIDIG_COMP_CNT: 0
	.section	.text._Z26warp_inclusive_scan_kernelIN10test_utils16custom_test_typeI12hip_bfloat16EELj64ELj4EENSt9enable_ifIXsr10test_utilsE35device_test_enabled_for_warp_size_vIXT1_EEEvE4typeEPT_S8_,"axG",@progbits,_Z26warp_inclusive_scan_kernelIN10test_utils16custom_test_typeI12hip_bfloat16EELj64ELj4EENSt9enable_ifIXsr10test_utilsE35device_test_enabled_for_warp_size_vIXT1_EEEvE4typeEPT_S8_,comdat
	.protected	_Z26warp_inclusive_scan_kernelIN10test_utils16custom_test_typeI12hip_bfloat16EELj64ELj4EENSt9enable_ifIXsr10test_utilsE35device_test_enabled_for_warp_size_vIXT1_EEEvE4typeEPT_S8_ ; -- Begin function _Z26warp_inclusive_scan_kernelIN10test_utils16custom_test_typeI12hip_bfloat16EELj64ELj4EENSt9enable_ifIXsr10test_utilsE35device_test_enabled_for_warp_size_vIXT1_EEEvE4typeEPT_S8_
	.globl	_Z26warp_inclusive_scan_kernelIN10test_utils16custom_test_typeI12hip_bfloat16EELj64ELj4EENSt9enable_ifIXsr10test_utilsE35device_test_enabled_for_warp_size_vIXT1_EEEvE4typeEPT_S8_
	.p2align	8
	.type	_Z26warp_inclusive_scan_kernelIN10test_utils16custom_test_typeI12hip_bfloat16EELj64ELj4EENSt9enable_ifIXsr10test_utilsE35device_test_enabled_for_warp_size_vIXT1_EEEvE4typeEPT_S8_,@function
_Z26warp_inclusive_scan_kernelIN10test_utils16custom_test_typeI12hip_bfloat16EELj64ELj4EENSt9enable_ifIXsr10test_utilsE35device_test_enabled_for_warp_size_vIXT1_EEEvE4typeEPT_S8_: ; @_Z26warp_inclusive_scan_kernelIN10test_utils16custom_test_typeI12hip_bfloat16EELj64ELj4EENSt9enable_ifIXsr10test_utilsE35device_test_enabled_for_warp_size_vIXT1_EEEvE4typeEPT_S8_
; %bb.0:
	s_clause 0x1
	s_load_b32 s4, s[0:1], 0x1c
	s_load_b128 s[0:3], s[0:1], 0x0
                                        ; implicit-def: $vgpr7
	s_waitcnt lgkmcnt(0)
	s_and_b32 s4, s4, 0xffff
	s_delay_alu instid0(SALU_CYCLE_1) | instskip(SKIP_1) | instid1(VALU_DEP_1)
	v_mad_u64_u32 v[1:2], null, s15, s4, v[0:1]
	v_mov_b32_e32 v2, 0
	v_lshlrev_b64 v[0:1], 2, v[1:2]
	s_delay_alu instid0(VALU_DEP_1) | instskip(NEXT) | instid1(VALU_DEP_2)
	v_add_co_u32 v2, vcc_lo, s0, v0
	v_add_co_ci_u32_e32 v3, vcc_lo, s1, v1, vcc_lo
	s_mov_b32 s0, exec_lo
	global_load_b32 v2, v[2:3], off
	s_waitcnt vmcnt(0)
	v_mov_b32_dpp v3, v2 row_shr:1 row_mask:0xf bank_mask:0xf
	v_lshlrev_b32_e32 v5, 16, v2
	s_delay_alu instid0(VALU_DEP_2) | instskip(NEXT) | instid1(VALU_DEP_1)
	v_lshlrev_b32_e32 v4, 16, v3
	v_add_f32_e32 v4, v5, v4
	s_delay_alu instid0(VALU_DEP_1) | instskip(NEXT) | instid1(VALU_DEP_1)
	v_and_b32_e32 v6, 0x7f800000, v4
	v_cmpx_ne_u32_e32 0x7f800000, v6
	s_xor_b32 s0, exec_lo, s0
; %bb.1:
	v_bfe_u32 v6, v4, 16, 1
	s_delay_alu instid0(VALU_DEP_1)
	v_add3_u32 v7, v4, v6, 0x7fff
                                        ; implicit-def: $vgpr4
; %bb.2:
	s_and_not1_saveexec_b32 s0, s0
; %bb.3:
	v_and_b32_e32 v6, 0xffff, v4
	v_or_b32_e32 v7, 0x10000, v4
	s_delay_alu instid0(VALU_DEP_2) | instskip(NEXT) | instid1(VALU_DEP_2)
	v_cmp_eq_u32_e32 vcc_lo, 0, v6
	v_cndmask_b32_e32 v7, v7, v4, vcc_lo
; %bb.4:
	s_or_b32 exec_lo, exec_lo, s0
	v_and_b32_e32 v3, 0xffff0000, v3
	v_and_b32_e32 v4, 0xffff0000, v2
	s_mov_b32 s0, exec_lo
                                        ; implicit-def: $vgpr8
	s_delay_alu instid0(VALU_DEP_1) | instskip(NEXT) | instid1(VALU_DEP_1)
	v_add_f32_e32 v3, v4, v3
	v_and_b32_e32 v6, 0x7f800000, v3
	s_delay_alu instid0(VALU_DEP_1)
	v_cmpx_ne_u32_e32 0x7f800000, v6
	s_xor_b32 s0, exec_lo, s0
; %bb.5:
	v_bfe_u32 v6, v3, 16, 1
	s_delay_alu instid0(VALU_DEP_1)
	v_add3_u32 v8, v3, v6, 0x7fff
                                        ; implicit-def: $vgpr3
; %bb.6:
	s_and_not1_saveexec_b32 s0, s0
; %bb.7:
	v_and_b32_e32 v6, 0xffff, v3
	v_or_b32_e32 v8, 0x10000, v3
	s_delay_alu instid0(VALU_DEP_2) | instskip(NEXT) | instid1(VALU_DEP_2)
	v_cmp_eq_u32_e32 vcc_lo, 0, v6
	v_cndmask_b32_e32 v8, v8, v3, vcc_lo
; %bb.8:
	s_or_b32 exec_lo, exec_lo, s0
	v_mbcnt_lo_u32_b32 v3, -1, 0
	v_mov_b32_e32 v9, v2
	s_mov_b32 s0, exec_lo
	s_delay_alu instid0(VALU_DEP_2) | instskip(NEXT) | instid1(VALU_DEP_1)
	v_dual_mov_b32 v6, v2 :: v_dual_and_b32 v3, 3, v3
	v_cmpx_ne_u32_e32 0, v3
; %bb.9:
	v_lshrrev_b32_e32 v2, 16, v7
	v_and_b32_e32 v4, 0xffff0000, v8
	v_dual_mov_b32 v6, v8 :: v_dual_and_b32 v5, 0xffff0000, v7
	s_delay_alu instid0(VALU_DEP_2)
	v_or_b32_e32 v9, v4, v2
; %bb.10:
	s_or_b32 exec_lo, exec_lo, s0
	s_delay_alu instid0(VALU_DEP_1) | instskip(NEXT) | instid1(VALU_DEP_1)
	v_mov_b32_dpp v7, v9 row_shr:2 row_mask:0xf bank_mask:0xf
	v_lshlrev_b32_e32 v8, 16, v7
	s_delay_alu instid0(VALU_DEP_1) | instskip(NEXT) | instid1(VALU_DEP_1)
	v_add_f32_e32 v8, v5, v8
	v_and_b32_e32 v5, 0x7f800000, v8
	s_delay_alu instid0(VALU_DEP_1) | instskip(SKIP_1) | instid1(SALU_CYCLE_1)
	v_cmp_ne_u32_e32 vcc_lo, 0x7f800000, v5
                                        ; implicit-def: $vgpr5
	s_and_saveexec_b32 s0, vcc_lo
	s_xor_b32 s0, exec_lo, s0
; %bb.11:
	v_bfe_u32 v5, v8, 16, 1
	s_delay_alu instid0(VALU_DEP_1)
	v_add3_u32 v5, v8, v5, 0x7fff
                                        ; implicit-def: $vgpr8
; %bb.12:
	s_and_not1_saveexec_b32 s0, s0
; %bb.13:
	v_and_b32_e32 v5, 0xffff, v8
	v_or_b32_e32 v9, 0x10000, v8
	s_delay_alu instid0(VALU_DEP_2) | instskip(NEXT) | instid1(VALU_DEP_2)
	v_cmp_eq_u32_e32 vcc_lo, 0, v5
	v_cndmask_b32_e32 v5, v9, v8, vcc_lo
; %bb.14:
	s_or_b32 exec_lo, exec_lo, s0
	v_and_b32_e32 v7, 0xffff0000, v7
	s_delay_alu instid0(VALU_DEP_1) | instskip(NEXT) | instid1(VALU_DEP_1)
	v_add_f32_e32 v7, v4, v7
	v_and_b32_e32 v4, 0x7f800000, v7
	s_delay_alu instid0(VALU_DEP_1) | instskip(SKIP_1) | instid1(SALU_CYCLE_1)
	v_cmp_ne_u32_e32 vcc_lo, 0x7f800000, v4
                                        ; implicit-def: $vgpr4
	s_and_saveexec_b32 s0, vcc_lo
	s_xor_b32 s0, exec_lo, s0
; %bb.15:
	v_bfe_u32 v4, v7, 16, 1
	s_delay_alu instid0(VALU_DEP_1)
	v_add3_u32 v4, v7, v4, 0x7fff
                                        ; implicit-def: $vgpr7
; %bb.16:
	s_and_not1_saveexec_b32 s0, s0
; %bb.17:
	v_and_b32_e32 v4, 0xffff, v7
	v_or_b32_e32 v8, 0x10000, v7
	s_delay_alu instid0(VALU_DEP_2) | instskip(NEXT) | instid1(VALU_DEP_2)
	v_cmp_eq_u32_e32 vcc_lo, 0, v4
	v_cndmask_b32_e32 v4, v8, v7, vcc_lo
; %bb.18:
	s_or_b32 exec_lo, exec_lo, s0
	v_lshrrev_b32_e32 v5, 16, v5
	v_cmp_lt_u32_e32 vcc_lo, 1, v3
	s_delay_alu instid0(VALU_DEP_2) | instskip(SKIP_3) | instid1(VALU_DEP_3)
	v_cndmask_b32_e32 v2, v2, v5, vcc_lo
	v_cndmask_b32_e32 v3, v6, v4, vcc_lo
	v_add_co_u32 v0, vcc_lo, s2, v0
	v_add_co_ci_u32_e32 v1, vcc_lo, s3, v1, vcc_lo
	v_bfi_b32 v2, 0xffff, v2, v3
	global_store_b32 v[0:1], v2, off
	s_nop 0
	s_sendmsg sendmsg(MSG_DEALLOC_VGPRS)
	s_endpgm
	.section	.rodata,"a",@progbits
	.p2align	6, 0x0
	.amdhsa_kernel _Z26warp_inclusive_scan_kernelIN10test_utils16custom_test_typeI12hip_bfloat16EELj64ELj4EENSt9enable_ifIXsr10test_utilsE35device_test_enabled_for_warp_size_vIXT1_EEEvE4typeEPT_S8_
		.amdhsa_group_segment_fixed_size 0
		.amdhsa_private_segment_fixed_size 0
		.amdhsa_kernarg_size 272
		.amdhsa_user_sgpr_count 15
		.amdhsa_user_sgpr_dispatch_ptr 0
		.amdhsa_user_sgpr_queue_ptr 0
		.amdhsa_user_sgpr_kernarg_segment_ptr 1
		.amdhsa_user_sgpr_dispatch_id 0
		.amdhsa_user_sgpr_private_segment_size 0
		.amdhsa_wavefront_size32 1
		.amdhsa_uses_dynamic_stack 0
		.amdhsa_enable_private_segment 0
		.amdhsa_system_sgpr_workgroup_id_x 1
		.amdhsa_system_sgpr_workgroup_id_y 0
		.amdhsa_system_sgpr_workgroup_id_z 0
		.amdhsa_system_sgpr_workgroup_info 0
		.amdhsa_system_vgpr_workitem_id 0
		.amdhsa_next_free_vgpr 10
		.amdhsa_next_free_sgpr 16
		.amdhsa_reserve_vcc 1
		.amdhsa_float_round_mode_32 0
		.amdhsa_float_round_mode_16_64 0
		.amdhsa_float_denorm_mode_32 3
		.amdhsa_float_denorm_mode_16_64 3
		.amdhsa_dx10_clamp 1
		.amdhsa_ieee_mode 1
		.amdhsa_fp16_overflow 0
		.amdhsa_workgroup_processor_mode 1
		.amdhsa_memory_ordered 1
		.amdhsa_forward_progress 0
		.amdhsa_shared_vgpr_count 0
		.amdhsa_exception_fp_ieee_invalid_op 0
		.amdhsa_exception_fp_denorm_src 0
		.amdhsa_exception_fp_ieee_div_zero 0
		.amdhsa_exception_fp_ieee_overflow 0
		.amdhsa_exception_fp_ieee_underflow 0
		.amdhsa_exception_fp_ieee_inexact 0
		.amdhsa_exception_int_div_zero 0
	.end_amdhsa_kernel
	.section	.text._Z26warp_inclusive_scan_kernelIN10test_utils16custom_test_typeI12hip_bfloat16EELj64ELj4EENSt9enable_ifIXsr10test_utilsE35device_test_enabled_for_warp_size_vIXT1_EEEvE4typeEPT_S8_,"axG",@progbits,_Z26warp_inclusive_scan_kernelIN10test_utils16custom_test_typeI12hip_bfloat16EELj64ELj4EENSt9enable_ifIXsr10test_utilsE35device_test_enabled_for_warp_size_vIXT1_EEEvE4typeEPT_S8_,comdat
.Lfunc_end306:
	.size	_Z26warp_inclusive_scan_kernelIN10test_utils16custom_test_typeI12hip_bfloat16EELj64ELj4EENSt9enable_ifIXsr10test_utilsE35device_test_enabled_for_warp_size_vIXT1_EEEvE4typeEPT_S8_, .Lfunc_end306-_Z26warp_inclusive_scan_kernelIN10test_utils16custom_test_typeI12hip_bfloat16EELj64ELj4EENSt9enable_ifIXsr10test_utilsE35device_test_enabled_for_warp_size_vIXT1_EEEvE4typeEPT_S8_
                                        ; -- End function
	.section	.AMDGPU.csdata,"",@progbits
; Kernel info:
; codeLenInByte = 656
; NumSgprs: 18
; NumVgprs: 10
; ScratchSize: 0
; MemoryBound: 0
; FloatMode: 240
; IeeeMode: 1
; LDSByteSize: 0 bytes/workgroup (compile time only)
; SGPRBlocks: 2
; VGPRBlocks: 1
; NumSGPRsForWavesPerEU: 18
; NumVGPRsForWavesPerEU: 10
; Occupancy: 16
; WaveLimiterHint : 0
; COMPUTE_PGM_RSRC2:SCRATCH_EN: 0
; COMPUTE_PGM_RSRC2:USER_SGPR: 15
; COMPUTE_PGM_RSRC2:TRAP_HANDLER: 0
; COMPUTE_PGM_RSRC2:TGID_X_EN: 1
; COMPUTE_PGM_RSRC2:TGID_Y_EN: 0
; COMPUTE_PGM_RSRC2:TGID_Z_EN: 0
; COMPUTE_PGM_RSRC2:TIDIG_COMP_CNT: 0
	.section	.text._Z26warp_inclusive_scan_kernelIN10test_utils16custom_test_typeI12hip_bfloat16EELj32ELj2EENSt9enable_ifIXsr10test_utilsE35device_test_enabled_for_warp_size_vIXT1_EEEvE4typeEPT_S8_,"axG",@progbits,_Z26warp_inclusive_scan_kernelIN10test_utils16custom_test_typeI12hip_bfloat16EELj32ELj2EENSt9enable_ifIXsr10test_utilsE35device_test_enabled_for_warp_size_vIXT1_EEEvE4typeEPT_S8_,comdat
	.protected	_Z26warp_inclusive_scan_kernelIN10test_utils16custom_test_typeI12hip_bfloat16EELj32ELj2EENSt9enable_ifIXsr10test_utilsE35device_test_enabled_for_warp_size_vIXT1_EEEvE4typeEPT_S8_ ; -- Begin function _Z26warp_inclusive_scan_kernelIN10test_utils16custom_test_typeI12hip_bfloat16EELj32ELj2EENSt9enable_ifIXsr10test_utilsE35device_test_enabled_for_warp_size_vIXT1_EEEvE4typeEPT_S8_
	.globl	_Z26warp_inclusive_scan_kernelIN10test_utils16custom_test_typeI12hip_bfloat16EELj32ELj2EENSt9enable_ifIXsr10test_utilsE35device_test_enabled_for_warp_size_vIXT1_EEEvE4typeEPT_S8_
	.p2align	8
	.type	_Z26warp_inclusive_scan_kernelIN10test_utils16custom_test_typeI12hip_bfloat16EELj32ELj2EENSt9enable_ifIXsr10test_utilsE35device_test_enabled_for_warp_size_vIXT1_EEEvE4typeEPT_S8_,@function
_Z26warp_inclusive_scan_kernelIN10test_utils16custom_test_typeI12hip_bfloat16EELj32ELj2EENSt9enable_ifIXsr10test_utilsE35device_test_enabled_for_warp_size_vIXT1_EEEvE4typeEPT_S8_: ; @_Z26warp_inclusive_scan_kernelIN10test_utils16custom_test_typeI12hip_bfloat16EELj32ELj2EENSt9enable_ifIXsr10test_utilsE35device_test_enabled_for_warp_size_vIXT1_EEEvE4typeEPT_S8_
; %bb.0:
	s_clause 0x1
	s_load_b32 s4, s[0:1], 0x1c
	s_load_b128 s[0:3], s[0:1], 0x0
	s_waitcnt lgkmcnt(0)
	s_and_b32 s4, s4, 0xffff
	s_delay_alu instid0(SALU_CYCLE_1) | instskip(SKIP_1) | instid1(VALU_DEP_1)
	v_mad_u64_u32 v[1:2], null, s15, s4, v[0:1]
	v_mov_b32_e32 v2, 0
	v_lshlrev_b64 v[0:1], 2, v[1:2]
	s_delay_alu instid0(VALU_DEP_1) | instskip(NEXT) | instid1(VALU_DEP_2)
	v_add_co_u32 v2, vcc_lo, s0, v0
	v_add_co_ci_u32_e32 v3, vcc_lo, s1, v1, vcc_lo
	global_load_b32 v2, v[2:3], off
	s_waitcnt vmcnt(0)
	v_mov_b32_dpp v4, v2 row_shr:1 row_mask:0xf bank_mask:0xf
	v_lshlrev_b32_e32 v5, 16, v2
	s_delay_alu instid0(VALU_DEP_2) | instskip(NEXT) | instid1(VALU_DEP_1)
	v_lshlrev_b32_e32 v3, 16, v4
	v_add_f32_e32 v5, v5, v3
	s_delay_alu instid0(VALU_DEP_1) | instskip(NEXT) | instid1(VALU_DEP_1)
	v_and_b32_e32 v3, 0x7f800000, v5
	v_cmp_ne_u32_e32 vcc_lo, 0x7f800000, v3
                                        ; implicit-def: $vgpr3
	s_and_saveexec_b32 s0, vcc_lo
	s_delay_alu instid0(SALU_CYCLE_1)
	s_xor_b32 s0, exec_lo, s0
; %bb.1:
	v_bfe_u32 v3, v5, 16, 1
	s_delay_alu instid0(VALU_DEP_1)
	v_add3_u32 v3, v5, v3, 0x7fff
                                        ; implicit-def: $vgpr5
; %bb.2:
	s_and_not1_saveexec_b32 s0, s0
; %bb.3:
	v_and_b32_e32 v3, 0xffff, v5
	v_or_b32_e32 v6, 0x10000, v5
	s_delay_alu instid0(VALU_DEP_2) | instskip(NEXT) | instid1(VALU_DEP_2)
	v_cmp_eq_u32_e32 vcc_lo, 0, v3
	v_cndmask_b32_e32 v3, v6, v5, vcc_lo
; %bb.4:
	s_or_b32 exec_lo, exec_lo, s0
	v_and_b32_e32 v4, 0xffff0000, v4
	v_and_b32_e32 v5, 0xffff0000, v2
	s_delay_alu instid0(VALU_DEP_1) | instskip(NEXT) | instid1(VALU_DEP_1)
	v_add_f32_e32 v5, v5, v4
	v_and_b32_e32 v4, 0x7f800000, v5
	s_delay_alu instid0(VALU_DEP_1) | instskip(SKIP_1) | instid1(SALU_CYCLE_1)
	v_cmp_ne_u32_e32 vcc_lo, 0x7f800000, v4
                                        ; implicit-def: $vgpr4
	s_and_saveexec_b32 s0, vcc_lo
	s_xor_b32 s0, exec_lo, s0
; %bb.5:
	v_bfe_u32 v4, v5, 16, 1
	s_delay_alu instid0(VALU_DEP_1)
	v_add3_u32 v4, v5, v4, 0x7fff
                                        ; implicit-def: $vgpr5
; %bb.6:
	s_and_not1_saveexec_b32 s0, s0
; %bb.7:
	v_and_b32_e32 v4, 0xffff, v5
	v_or_b32_e32 v6, 0x10000, v5
	s_delay_alu instid0(VALU_DEP_2) | instskip(NEXT) | instid1(VALU_DEP_2)
	v_cmp_eq_u32_e32 vcc_lo, 0, v4
	v_cndmask_b32_e32 v4, v6, v5, vcc_lo
; %bb.8:
	s_or_b32 exec_lo, exec_lo, s0
	v_mbcnt_lo_u32_b32 v5, -1, 0
	v_lshrrev_b32_e32 v3, 16, v3
	s_delay_alu instid0(VALU_DEP_2) | instskip(NEXT) | instid1(VALU_DEP_1)
	v_and_b32_e32 v5, 1, v5
	v_cmp_eq_u32_e32 vcc_lo, 0, v5
	s_delay_alu instid0(VALU_DEP_3) | instskip(SKIP_3) | instid1(VALU_DEP_3)
	v_cndmask_b32_e32 v3, v3, v2, vcc_lo
	v_cndmask_b32_e32 v2, v4, v2, vcc_lo
	v_add_co_u32 v0, vcc_lo, s2, v0
	v_add_co_ci_u32_e32 v1, vcc_lo, s3, v1, vcc_lo
	v_bfi_b32 v2, 0xffff, v3, v2
	global_store_b32 v[0:1], v2, off
	s_nop 0
	s_sendmsg sendmsg(MSG_DEALLOC_VGPRS)
	s_endpgm
	.section	.rodata,"a",@progbits
	.p2align	6, 0x0
	.amdhsa_kernel _Z26warp_inclusive_scan_kernelIN10test_utils16custom_test_typeI12hip_bfloat16EELj32ELj2EENSt9enable_ifIXsr10test_utilsE35device_test_enabled_for_warp_size_vIXT1_EEEvE4typeEPT_S8_
		.amdhsa_group_segment_fixed_size 0
		.amdhsa_private_segment_fixed_size 0
		.amdhsa_kernarg_size 272
		.amdhsa_user_sgpr_count 15
		.amdhsa_user_sgpr_dispatch_ptr 0
		.amdhsa_user_sgpr_queue_ptr 0
		.amdhsa_user_sgpr_kernarg_segment_ptr 1
		.amdhsa_user_sgpr_dispatch_id 0
		.amdhsa_user_sgpr_private_segment_size 0
		.amdhsa_wavefront_size32 1
		.amdhsa_uses_dynamic_stack 0
		.amdhsa_enable_private_segment 0
		.amdhsa_system_sgpr_workgroup_id_x 1
		.amdhsa_system_sgpr_workgroup_id_y 0
		.amdhsa_system_sgpr_workgroup_id_z 0
		.amdhsa_system_sgpr_workgroup_info 0
		.amdhsa_system_vgpr_workitem_id 0
		.amdhsa_next_free_vgpr 7
		.amdhsa_next_free_sgpr 16
		.amdhsa_reserve_vcc 1
		.amdhsa_float_round_mode_32 0
		.amdhsa_float_round_mode_16_64 0
		.amdhsa_float_denorm_mode_32 3
		.amdhsa_float_denorm_mode_16_64 3
		.amdhsa_dx10_clamp 1
		.amdhsa_ieee_mode 1
		.amdhsa_fp16_overflow 0
		.amdhsa_workgroup_processor_mode 1
		.amdhsa_memory_ordered 1
		.amdhsa_forward_progress 0
		.amdhsa_shared_vgpr_count 0
		.amdhsa_exception_fp_ieee_invalid_op 0
		.amdhsa_exception_fp_denorm_src 0
		.amdhsa_exception_fp_ieee_div_zero 0
		.amdhsa_exception_fp_ieee_overflow 0
		.amdhsa_exception_fp_ieee_underflow 0
		.amdhsa_exception_fp_ieee_inexact 0
		.amdhsa_exception_int_div_zero 0
	.end_amdhsa_kernel
	.section	.text._Z26warp_inclusive_scan_kernelIN10test_utils16custom_test_typeI12hip_bfloat16EELj32ELj2EENSt9enable_ifIXsr10test_utilsE35device_test_enabled_for_warp_size_vIXT1_EEEvE4typeEPT_S8_,"axG",@progbits,_Z26warp_inclusive_scan_kernelIN10test_utils16custom_test_typeI12hip_bfloat16EELj32ELj2EENSt9enable_ifIXsr10test_utilsE35device_test_enabled_for_warp_size_vIXT1_EEEvE4typeEPT_S8_,comdat
.Lfunc_end307:
	.size	_Z26warp_inclusive_scan_kernelIN10test_utils16custom_test_typeI12hip_bfloat16EELj32ELj2EENSt9enable_ifIXsr10test_utilsE35device_test_enabled_for_warp_size_vIXT1_EEEvE4typeEPT_S8_, .Lfunc_end307-_Z26warp_inclusive_scan_kernelIN10test_utils16custom_test_typeI12hip_bfloat16EELj32ELj2EENSt9enable_ifIXsr10test_utilsE35device_test_enabled_for_warp_size_vIXT1_EEEvE4typeEPT_S8_
                                        ; -- End function
	.section	.AMDGPU.csdata,"",@progbits
; Kernel info:
; codeLenInByte = 392
; NumSgprs: 18
; NumVgprs: 7
; ScratchSize: 0
; MemoryBound: 0
; FloatMode: 240
; IeeeMode: 1
; LDSByteSize: 0 bytes/workgroup (compile time only)
; SGPRBlocks: 2
; VGPRBlocks: 0
; NumSGPRsForWavesPerEU: 18
; NumVGPRsForWavesPerEU: 7
; Occupancy: 16
; WaveLimiterHint : 0
; COMPUTE_PGM_RSRC2:SCRATCH_EN: 0
; COMPUTE_PGM_RSRC2:USER_SGPR: 15
; COMPUTE_PGM_RSRC2:TRAP_HANDLER: 0
; COMPUTE_PGM_RSRC2:TGID_X_EN: 1
; COMPUTE_PGM_RSRC2:TGID_Y_EN: 0
; COMPUTE_PGM_RSRC2:TGID_Z_EN: 0
; COMPUTE_PGM_RSRC2:TIDIG_COMP_CNT: 0
	.section	.text._Z26warp_inclusive_scan_kernelIN10test_utils16custom_test_typeI12hip_bfloat16EELj64ELj2EENSt9enable_ifIXsr10test_utilsE35device_test_enabled_for_warp_size_vIXT1_EEEvE4typeEPT_S8_,"axG",@progbits,_Z26warp_inclusive_scan_kernelIN10test_utils16custom_test_typeI12hip_bfloat16EELj64ELj2EENSt9enable_ifIXsr10test_utilsE35device_test_enabled_for_warp_size_vIXT1_EEEvE4typeEPT_S8_,comdat
	.protected	_Z26warp_inclusive_scan_kernelIN10test_utils16custom_test_typeI12hip_bfloat16EELj64ELj2EENSt9enable_ifIXsr10test_utilsE35device_test_enabled_for_warp_size_vIXT1_EEEvE4typeEPT_S8_ ; -- Begin function _Z26warp_inclusive_scan_kernelIN10test_utils16custom_test_typeI12hip_bfloat16EELj64ELj2EENSt9enable_ifIXsr10test_utilsE35device_test_enabled_for_warp_size_vIXT1_EEEvE4typeEPT_S8_
	.globl	_Z26warp_inclusive_scan_kernelIN10test_utils16custom_test_typeI12hip_bfloat16EELj64ELj2EENSt9enable_ifIXsr10test_utilsE35device_test_enabled_for_warp_size_vIXT1_EEEvE4typeEPT_S8_
	.p2align	8
	.type	_Z26warp_inclusive_scan_kernelIN10test_utils16custom_test_typeI12hip_bfloat16EELj64ELj2EENSt9enable_ifIXsr10test_utilsE35device_test_enabled_for_warp_size_vIXT1_EEEvE4typeEPT_S8_,@function
_Z26warp_inclusive_scan_kernelIN10test_utils16custom_test_typeI12hip_bfloat16EELj64ELj2EENSt9enable_ifIXsr10test_utilsE35device_test_enabled_for_warp_size_vIXT1_EEEvE4typeEPT_S8_: ; @_Z26warp_inclusive_scan_kernelIN10test_utils16custom_test_typeI12hip_bfloat16EELj64ELj2EENSt9enable_ifIXsr10test_utilsE35device_test_enabled_for_warp_size_vIXT1_EEEvE4typeEPT_S8_
; %bb.0:
	s_clause 0x1
	s_load_b32 s4, s[0:1], 0x1c
	s_load_b128 s[0:3], s[0:1], 0x0
	s_waitcnt lgkmcnt(0)
	s_and_b32 s4, s4, 0xffff
	s_delay_alu instid0(SALU_CYCLE_1) | instskip(SKIP_1) | instid1(VALU_DEP_1)
	v_mad_u64_u32 v[1:2], null, s15, s4, v[0:1]
	v_mov_b32_e32 v2, 0
	v_lshlrev_b64 v[0:1], 2, v[1:2]
	s_delay_alu instid0(VALU_DEP_1) | instskip(NEXT) | instid1(VALU_DEP_2)
	v_add_co_u32 v2, vcc_lo, s0, v0
	v_add_co_ci_u32_e32 v3, vcc_lo, s1, v1, vcc_lo
	global_load_b32 v2, v[2:3], off
	s_waitcnt vmcnt(0)
	v_mov_b32_dpp v4, v2 row_shr:1 row_mask:0xf bank_mask:0xf
	v_lshlrev_b32_e32 v5, 16, v2
	s_delay_alu instid0(VALU_DEP_2) | instskip(NEXT) | instid1(VALU_DEP_1)
	v_lshlrev_b32_e32 v3, 16, v4
	v_add_f32_e32 v5, v5, v3
	s_delay_alu instid0(VALU_DEP_1) | instskip(NEXT) | instid1(VALU_DEP_1)
	v_and_b32_e32 v3, 0x7f800000, v5
	v_cmp_ne_u32_e32 vcc_lo, 0x7f800000, v3
                                        ; implicit-def: $vgpr3
	s_and_saveexec_b32 s0, vcc_lo
	s_delay_alu instid0(SALU_CYCLE_1)
	s_xor_b32 s0, exec_lo, s0
; %bb.1:
	v_bfe_u32 v3, v5, 16, 1
	s_delay_alu instid0(VALU_DEP_1)
	v_add3_u32 v3, v5, v3, 0x7fff
                                        ; implicit-def: $vgpr5
; %bb.2:
	s_and_not1_saveexec_b32 s0, s0
; %bb.3:
	v_and_b32_e32 v3, 0xffff, v5
	v_or_b32_e32 v6, 0x10000, v5
	s_delay_alu instid0(VALU_DEP_2) | instskip(NEXT) | instid1(VALU_DEP_2)
	v_cmp_eq_u32_e32 vcc_lo, 0, v3
	v_cndmask_b32_e32 v3, v6, v5, vcc_lo
; %bb.4:
	s_or_b32 exec_lo, exec_lo, s0
	v_and_b32_e32 v4, 0xffff0000, v4
	v_and_b32_e32 v5, 0xffff0000, v2
	s_delay_alu instid0(VALU_DEP_1) | instskip(NEXT) | instid1(VALU_DEP_1)
	v_add_f32_e32 v5, v5, v4
	v_and_b32_e32 v4, 0x7f800000, v5
	s_delay_alu instid0(VALU_DEP_1) | instskip(SKIP_1) | instid1(SALU_CYCLE_1)
	v_cmp_ne_u32_e32 vcc_lo, 0x7f800000, v4
                                        ; implicit-def: $vgpr4
	s_and_saveexec_b32 s0, vcc_lo
	s_xor_b32 s0, exec_lo, s0
; %bb.5:
	v_bfe_u32 v4, v5, 16, 1
	s_delay_alu instid0(VALU_DEP_1)
	v_add3_u32 v4, v5, v4, 0x7fff
                                        ; implicit-def: $vgpr5
; %bb.6:
	s_and_not1_saveexec_b32 s0, s0
; %bb.7:
	v_and_b32_e32 v4, 0xffff, v5
	v_or_b32_e32 v6, 0x10000, v5
	s_delay_alu instid0(VALU_DEP_2) | instskip(NEXT) | instid1(VALU_DEP_2)
	v_cmp_eq_u32_e32 vcc_lo, 0, v4
	v_cndmask_b32_e32 v4, v6, v5, vcc_lo
; %bb.8:
	s_or_b32 exec_lo, exec_lo, s0
	v_mbcnt_lo_u32_b32 v5, -1, 0
	v_lshrrev_b32_e32 v3, 16, v3
	s_delay_alu instid0(VALU_DEP_2) | instskip(NEXT) | instid1(VALU_DEP_1)
	v_and_b32_e32 v5, 1, v5
	v_cmp_eq_u32_e32 vcc_lo, 0, v5
	s_delay_alu instid0(VALU_DEP_3) | instskip(SKIP_3) | instid1(VALU_DEP_3)
	v_cndmask_b32_e32 v3, v3, v2, vcc_lo
	v_cndmask_b32_e32 v2, v4, v2, vcc_lo
	v_add_co_u32 v0, vcc_lo, s2, v0
	v_add_co_ci_u32_e32 v1, vcc_lo, s3, v1, vcc_lo
	v_bfi_b32 v2, 0xffff, v3, v2
	global_store_b32 v[0:1], v2, off
	s_nop 0
	s_sendmsg sendmsg(MSG_DEALLOC_VGPRS)
	s_endpgm
	.section	.rodata,"a",@progbits
	.p2align	6, 0x0
	.amdhsa_kernel _Z26warp_inclusive_scan_kernelIN10test_utils16custom_test_typeI12hip_bfloat16EELj64ELj2EENSt9enable_ifIXsr10test_utilsE35device_test_enabled_for_warp_size_vIXT1_EEEvE4typeEPT_S8_
		.amdhsa_group_segment_fixed_size 0
		.amdhsa_private_segment_fixed_size 0
		.amdhsa_kernarg_size 272
		.amdhsa_user_sgpr_count 15
		.amdhsa_user_sgpr_dispatch_ptr 0
		.amdhsa_user_sgpr_queue_ptr 0
		.amdhsa_user_sgpr_kernarg_segment_ptr 1
		.amdhsa_user_sgpr_dispatch_id 0
		.amdhsa_user_sgpr_private_segment_size 0
		.amdhsa_wavefront_size32 1
		.amdhsa_uses_dynamic_stack 0
		.amdhsa_enable_private_segment 0
		.amdhsa_system_sgpr_workgroup_id_x 1
		.amdhsa_system_sgpr_workgroup_id_y 0
		.amdhsa_system_sgpr_workgroup_id_z 0
		.amdhsa_system_sgpr_workgroup_info 0
		.amdhsa_system_vgpr_workitem_id 0
		.amdhsa_next_free_vgpr 7
		.amdhsa_next_free_sgpr 16
		.amdhsa_reserve_vcc 1
		.amdhsa_float_round_mode_32 0
		.amdhsa_float_round_mode_16_64 0
		.amdhsa_float_denorm_mode_32 3
		.amdhsa_float_denorm_mode_16_64 3
		.amdhsa_dx10_clamp 1
		.amdhsa_ieee_mode 1
		.amdhsa_fp16_overflow 0
		.amdhsa_workgroup_processor_mode 1
		.amdhsa_memory_ordered 1
		.amdhsa_forward_progress 0
		.amdhsa_shared_vgpr_count 0
		.amdhsa_exception_fp_ieee_invalid_op 0
		.amdhsa_exception_fp_denorm_src 0
		.amdhsa_exception_fp_ieee_div_zero 0
		.amdhsa_exception_fp_ieee_overflow 0
		.amdhsa_exception_fp_ieee_underflow 0
		.amdhsa_exception_fp_ieee_inexact 0
		.amdhsa_exception_int_div_zero 0
	.end_amdhsa_kernel
	.section	.text._Z26warp_inclusive_scan_kernelIN10test_utils16custom_test_typeI12hip_bfloat16EELj64ELj2EENSt9enable_ifIXsr10test_utilsE35device_test_enabled_for_warp_size_vIXT1_EEEvE4typeEPT_S8_,"axG",@progbits,_Z26warp_inclusive_scan_kernelIN10test_utils16custom_test_typeI12hip_bfloat16EELj64ELj2EENSt9enable_ifIXsr10test_utilsE35device_test_enabled_for_warp_size_vIXT1_EEEvE4typeEPT_S8_,comdat
.Lfunc_end308:
	.size	_Z26warp_inclusive_scan_kernelIN10test_utils16custom_test_typeI12hip_bfloat16EELj64ELj2EENSt9enable_ifIXsr10test_utilsE35device_test_enabled_for_warp_size_vIXT1_EEEvE4typeEPT_S8_, .Lfunc_end308-_Z26warp_inclusive_scan_kernelIN10test_utils16custom_test_typeI12hip_bfloat16EELj64ELj2EENSt9enable_ifIXsr10test_utilsE35device_test_enabled_for_warp_size_vIXT1_EEEvE4typeEPT_S8_
                                        ; -- End function
	.section	.AMDGPU.csdata,"",@progbits
; Kernel info:
; codeLenInByte = 392
; NumSgprs: 18
; NumVgprs: 7
; ScratchSize: 0
; MemoryBound: 0
; FloatMode: 240
; IeeeMode: 1
; LDSByteSize: 0 bytes/workgroup (compile time only)
; SGPRBlocks: 2
; VGPRBlocks: 0
; NumSGPRsForWavesPerEU: 18
; NumVGPRsForWavesPerEU: 7
; Occupancy: 16
; WaveLimiterHint : 0
; COMPUTE_PGM_RSRC2:SCRATCH_EN: 0
; COMPUTE_PGM_RSRC2:USER_SGPR: 15
; COMPUTE_PGM_RSRC2:TRAP_HANDLER: 0
; COMPUTE_PGM_RSRC2:TGID_X_EN: 1
; COMPUTE_PGM_RSRC2:TGID_Y_EN: 0
; COMPUTE_PGM_RSRC2:TGID_Z_EN: 0
; COMPUTE_PGM_RSRC2:TIDIG_COMP_CNT: 0
	.section	.text._Z26warp_inclusive_scan_kernelIN10test_utils16custom_test_typeI6__halfEELj256ELj64EENSt9enable_ifIXntsr10test_utilsE35device_test_enabled_for_warp_size_vIXT1_EEEvE4typeEPT_S8_,"axG",@progbits,_Z26warp_inclusive_scan_kernelIN10test_utils16custom_test_typeI6__halfEELj256ELj64EENSt9enable_ifIXntsr10test_utilsE35device_test_enabled_for_warp_size_vIXT1_EEEvE4typeEPT_S8_,comdat
	.protected	_Z26warp_inclusive_scan_kernelIN10test_utils16custom_test_typeI6__halfEELj256ELj64EENSt9enable_ifIXntsr10test_utilsE35device_test_enabled_for_warp_size_vIXT1_EEEvE4typeEPT_S8_ ; -- Begin function _Z26warp_inclusive_scan_kernelIN10test_utils16custom_test_typeI6__halfEELj256ELj64EENSt9enable_ifIXntsr10test_utilsE35device_test_enabled_for_warp_size_vIXT1_EEEvE4typeEPT_S8_
	.globl	_Z26warp_inclusive_scan_kernelIN10test_utils16custom_test_typeI6__halfEELj256ELj64EENSt9enable_ifIXntsr10test_utilsE35device_test_enabled_for_warp_size_vIXT1_EEEvE4typeEPT_S8_
	.p2align	8
	.type	_Z26warp_inclusive_scan_kernelIN10test_utils16custom_test_typeI6__halfEELj256ELj64EENSt9enable_ifIXntsr10test_utilsE35device_test_enabled_for_warp_size_vIXT1_EEEvE4typeEPT_S8_,@function
_Z26warp_inclusive_scan_kernelIN10test_utils16custom_test_typeI6__halfEELj256ELj64EENSt9enable_ifIXntsr10test_utilsE35device_test_enabled_for_warp_size_vIXT1_EEEvE4typeEPT_S8_: ; @_Z26warp_inclusive_scan_kernelIN10test_utils16custom_test_typeI6__halfEELj256ELj64EENSt9enable_ifIXntsr10test_utilsE35device_test_enabled_for_warp_size_vIXT1_EEEvE4typeEPT_S8_
; %bb.0:
	s_endpgm
	.section	.rodata,"a",@progbits
	.p2align	6, 0x0
	.amdhsa_kernel _Z26warp_inclusive_scan_kernelIN10test_utils16custom_test_typeI6__halfEELj256ELj64EENSt9enable_ifIXntsr10test_utilsE35device_test_enabled_for_warp_size_vIXT1_EEEvE4typeEPT_S8_
		.amdhsa_group_segment_fixed_size 0
		.amdhsa_private_segment_fixed_size 0
		.amdhsa_kernarg_size 16
		.amdhsa_user_sgpr_count 15
		.amdhsa_user_sgpr_dispatch_ptr 0
		.amdhsa_user_sgpr_queue_ptr 0
		.amdhsa_user_sgpr_kernarg_segment_ptr 1
		.amdhsa_user_sgpr_dispatch_id 0
		.amdhsa_user_sgpr_private_segment_size 0
		.amdhsa_wavefront_size32 1
		.amdhsa_uses_dynamic_stack 0
		.amdhsa_enable_private_segment 0
		.amdhsa_system_sgpr_workgroup_id_x 1
		.amdhsa_system_sgpr_workgroup_id_y 0
		.amdhsa_system_sgpr_workgroup_id_z 0
		.amdhsa_system_sgpr_workgroup_info 0
		.amdhsa_system_vgpr_workitem_id 0
		.amdhsa_next_free_vgpr 1
		.amdhsa_next_free_sgpr 1
		.amdhsa_reserve_vcc 0
		.amdhsa_float_round_mode_32 0
		.amdhsa_float_round_mode_16_64 0
		.amdhsa_float_denorm_mode_32 3
		.amdhsa_float_denorm_mode_16_64 3
		.amdhsa_dx10_clamp 1
		.amdhsa_ieee_mode 1
		.amdhsa_fp16_overflow 0
		.amdhsa_workgroup_processor_mode 1
		.amdhsa_memory_ordered 1
		.amdhsa_forward_progress 0
		.amdhsa_shared_vgpr_count 0
		.amdhsa_exception_fp_ieee_invalid_op 0
		.amdhsa_exception_fp_denorm_src 0
		.amdhsa_exception_fp_ieee_div_zero 0
		.amdhsa_exception_fp_ieee_overflow 0
		.amdhsa_exception_fp_ieee_underflow 0
		.amdhsa_exception_fp_ieee_inexact 0
		.amdhsa_exception_int_div_zero 0
	.end_amdhsa_kernel
	.section	.text._Z26warp_inclusive_scan_kernelIN10test_utils16custom_test_typeI6__halfEELj256ELj64EENSt9enable_ifIXntsr10test_utilsE35device_test_enabled_for_warp_size_vIXT1_EEEvE4typeEPT_S8_,"axG",@progbits,_Z26warp_inclusive_scan_kernelIN10test_utils16custom_test_typeI6__halfEELj256ELj64EENSt9enable_ifIXntsr10test_utilsE35device_test_enabled_for_warp_size_vIXT1_EEEvE4typeEPT_S8_,comdat
.Lfunc_end309:
	.size	_Z26warp_inclusive_scan_kernelIN10test_utils16custom_test_typeI6__halfEELj256ELj64EENSt9enable_ifIXntsr10test_utilsE35device_test_enabled_for_warp_size_vIXT1_EEEvE4typeEPT_S8_, .Lfunc_end309-_Z26warp_inclusive_scan_kernelIN10test_utils16custom_test_typeI6__halfEELj256ELj64EENSt9enable_ifIXntsr10test_utilsE35device_test_enabled_for_warp_size_vIXT1_EEEvE4typeEPT_S8_
                                        ; -- End function
	.section	.AMDGPU.csdata,"",@progbits
; Kernel info:
; codeLenInByte = 4
; NumSgprs: 0
; NumVgprs: 0
; ScratchSize: 0
; MemoryBound: 0
; FloatMode: 240
; IeeeMode: 1
; LDSByteSize: 0 bytes/workgroup (compile time only)
; SGPRBlocks: 0
; VGPRBlocks: 0
; NumSGPRsForWavesPerEU: 1
; NumVGPRsForWavesPerEU: 1
; Occupancy: 16
; WaveLimiterHint : 0
; COMPUTE_PGM_RSRC2:SCRATCH_EN: 0
; COMPUTE_PGM_RSRC2:USER_SGPR: 15
; COMPUTE_PGM_RSRC2:TRAP_HANDLER: 0
; COMPUTE_PGM_RSRC2:TGID_X_EN: 1
; COMPUTE_PGM_RSRC2:TGID_Y_EN: 0
; COMPUTE_PGM_RSRC2:TGID_Z_EN: 0
; COMPUTE_PGM_RSRC2:TIDIG_COMP_CNT: 0
	.section	.text._Z26warp_inclusive_scan_kernelIN10test_utils16custom_test_typeI6__halfEELj128ELj32EENSt9enable_ifIXsr10test_utilsE35device_test_enabled_for_warp_size_vIXT1_EEEvE4typeEPT_S8_,"axG",@progbits,_Z26warp_inclusive_scan_kernelIN10test_utils16custom_test_typeI6__halfEELj128ELj32EENSt9enable_ifIXsr10test_utilsE35device_test_enabled_for_warp_size_vIXT1_EEEvE4typeEPT_S8_,comdat
	.protected	_Z26warp_inclusive_scan_kernelIN10test_utils16custom_test_typeI6__halfEELj128ELj32EENSt9enable_ifIXsr10test_utilsE35device_test_enabled_for_warp_size_vIXT1_EEEvE4typeEPT_S8_ ; -- Begin function _Z26warp_inclusive_scan_kernelIN10test_utils16custom_test_typeI6__halfEELj128ELj32EENSt9enable_ifIXsr10test_utilsE35device_test_enabled_for_warp_size_vIXT1_EEEvE4typeEPT_S8_
	.globl	_Z26warp_inclusive_scan_kernelIN10test_utils16custom_test_typeI6__halfEELj128ELj32EENSt9enable_ifIXsr10test_utilsE35device_test_enabled_for_warp_size_vIXT1_EEEvE4typeEPT_S8_
	.p2align	8
	.type	_Z26warp_inclusive_scan_kernelIN10test_utils16custom_test_typeI6__halfEELj128ELj32EENSt9enable_ifIXsr10test_utilsE35device_test_enabled_for_warp_size_vIXT1_EEEvE4typeEPT_S8_,@function
_Z26warp_inclusive_scan_kernelIN10test_utils16custom_test_typeI6__halfEELj128ELj32EENSt9enable_ifIXsr10test_utilsE35device_test_enabled_for_warp_size_vIXT1_EEEvE4typeEPT_S8_: ; @_Z26warp_inclusive_scan_kernelIN10test_utils16custom_test_typeI6__halfEELj128ELj32EENSt9enable_ifIXsr10test_utilsE35device_test_enabled_for_warp_size_vIXT1_EEEvE4typeEPT_S8_
; %bb.0:
	s_clause 0x1
	s_load_b32 s4, s[0:1], 0x1c
	s_load_b128 s[0:3], s[0:1], 0x0
	s_waitcnt lgkmcnt(0)
	s_and_b32 s4, s4, 0xffff
	s_delay_alu instid0(SALU_CYCLE_1) | instskip(SKIP_1) | instid1(VALU_DEP_1)
	v_mad_u64_u32 v[1:2], null, s15, s4, v[0:1]
	v_mov_b32_e32 v2, 0
	v_lshlrev_b64 v[0:1], 2, v[1:2]
	s_delay_alu instid0(VALU_DEP_1) | instskip(NEXT) | instid1(VALU_DEP_2)
	v_add_co_u32 v2, vcc_lo, s0, v0
	v_add_co_ci_u32_e32 v3, vcc_lo, s1, v1, vcc_lo
	s_mov_b32 s0, exec_lo
	global_load_b32 v3, v[2:3], off
	v_mbcnt_lo_u32_b32 v2, -1, 0
	s_delay_alu instid0(VALU_DEP_1) | instskip(SKIP_2) | instid1(VALU_DEP_2)
	v_and_b32_e32 v4, 15, v2
	s_waitcnt vmcnt(0)
	v_mov_b32_dpp v5, v3 row_shr:1 row_mask:0xf bank_mask:0xf
	v_cmpx_ne_u32_e32 0, v4
; %bb.1:
	s_delay_alu instid0(VALU_DEP_2)
	v_pk_add_f16 v3, v3, v5
; %bb.2:
	s_or_b32 exec_lo, exec_lo, s0
	s_delay_alu instid0(VALU_DEP_1)
	v_mov_b32_dpp v6, v3 row_shr:2 row_mask:0xf bank_mask:0xf
	v_bfi_b32 v5, 0xffff, v3, v3
	v_lshrrev_b32_e32 v7, 16, v3
	s_mov_b32 s0, exec_lo
	v_cmpx_lt_u32_e32 1, v4
; %bb.3:
	s_delay_alu instid0(VALU_DEP_3) | instskip(NEXT) | instid1(VALU_DEP_1)
	v_pk_add_f16 v3, v5, v6
	v_lshrrev_b32_e32 v7, 16, v3
	v_mov_b32_e32 v5, v3
; %bb.4:
	s_or_b32 exec_lo, exec_lo, s0
	v_mov_b32_dpp v8, v3 row_shr:4 row_mask:0xf bank_mask:0xf
	s_mov_b32 s0, exec_lo
                                        ; implicit-def: $vgpr6
	v_cmpx_gt_u32_e32 4, v4
	s_xor_b32 s0, exec_lo, s0
; %bb.5:
	v_lshrrev_b32_e32 v6, 16, v5
                                        ; implicit-def: $vgpr8
; %bb.6:
	s_and_not1_saveexec_b32 s0, s0
; %bb.7:
	v_pk_add_f16 v3, v5, v8
	s_delay_alu instid0(VALU_DEP_1) | instskip(SKIP_1) | instid1(VALU_DEP_2)
	v_lshrrev_b32_e32 v6, 16, v3
	v_mov_b32_e32 v5, v3
	v_mov_b32_e32 v7, v6
; %bb.8:
	s_or_b32 exec_lo, exec_lo, s0
	v_mov_b32_dpp v8, v3 row_shr:8 row_mask:0xf bank_mask:0xf
	v_cmp_lt_u32_e32 vcc_lo, 7, v4
	s_delay_alu instid0(VALU_DEP_3)
	v_perm_b32 v4, v7, v5, 0x5040100
	s_and_saveexec_b32 s0, vcc_lo
; %bb.9:
	s_delay_alu instid0(VALU_DEP_3) | instskip(NEXT) | instid1(VALU_DEP_1)
	v_pk_add_f16 v3, v5, v8
	v_lshrrev_b32_e32 v6, 16, v3
	v_mov_b32_e32 v4, v3
; %bb.10:
	s_or_b32 exec_lo, exec_lo, s0
	ds_swizzle_b32 v3, v3 offset:swizzle(BROADCAST,32,15)
	v_perm_b32 v5, v6, v4, 0x5040100
	s_waitcnt lgkmcnt(0)
	s_delay_alu instid0(VALU_DEP_1) | instskip(SKIP_1) | instid1(VALU_DEP_2)
	v_pk_add_f16 v3, v5, v3
	v_lshrrev_b32_e32 v5, 16, v4
	v_lshrrev_b32_e32 v6, 16, v3
	v_and_b32_e32 v2, 16, v2
	s_delay_alu instid0(VALU_DEP_1) | instskip(NEXT) | instid1(VALU_DEP_3)
	v_cmp_eq_u32_e32 vcc_lo, 0, v2
	v_dual_cndmask_b32 v2, v3, v4 :: v_dual_cndmask_b32 v3, v6, v5
	v_add_co_u32 v0, vcc_lo, s2, v0
	v_add_co_ci_u32_e32 v1, vcc_lo, s3, v1, vcc_lo
	s_delay_alu instid0(VALU_DEP_3)
	v_perm_b32 v2, v3, v2, 0x5040100
	global_store_b32 v[0:1], v2, off
	s_nop 0
	s_sendmsg sendmsg(MSG_DEALLOC_VGPRS)
	s_endpgm
	.section	.rodata,"a",@progbits
	.p2align	6, 0x0
	.amdhsa_kernel _Z26warp_inclusive_scan_kernelIN10test_utils16custom_test_typeI6__halfEELj128ELj32EENSt9enable_ifIXsr10test_utilsE35device_test_enabled_for_warp_size_vIXT1_EEEvE4typeEPT_S8_
		.amdhsa_group_segment_fixed_size 0
		.amdhsa_private_segment_fixed_size 0
		.amdhsa_kernarg_size 272
		.amdhsa_user_sgpr_count 15
		.amdhsa_user_sgpr_dispatch_ptr 0
		.amdhsa_user_sgpr_queue_ptr 0
		.amdhsa_user_sgpr_kernarg_segment_ptr 1
		.amdhsa_user_sgpr_dispatch_id 0
		.amdhsa_user_sgpr_private_segment_size 0
		.amdhsa_wavefront_size32 1
		.amdhsa_uses_dynamic_stack 0
		.amdhsa_enable_private_segment 0
		.amdhsa_system_sgpr_workgroup_id_x 1
		.amdhsa_system_sgpr_workgroup_id_y 0
		.amdhsa_system_sgpr_workgroup_id_z 0
		.amdhsa_system_sgpr_workgroup_info 0
		.amdhsa_system_vgpr_workitem_id 0
		.amdhsa_next_free_vgpr 9
		.amdhsa_next_free_sgpr 16
		.amdhsa_reserve_vcc 1
		.amdhsa_float_round_mode_32 0
		.amdhsa_float_round_mode_16_64 0
		.amdhsa_float_denorm_mode_32 3
		.amdhsa_float_denorm_mode_16_64 3
		.amdhsa_dx10_clamp 1
		.amdhsa_ieee_mode 1
		.amdhsa_fp16_overflow 0
		.amdhsa_workgroup_processor_mode 1
		.amdhsa_memory_ordered 1
		.amdhsa_forward_progress 0
		.amdhsa_shared_vgpr_count 0
		.amdhsa_exception_fp_ieee_invalid_op 0
		.amdhsa_exception_fp_denorm_src 0
		.amdhsa_exception_fp_ieee_div_zero 0
		.amdhsa_exception_fp_ieee_overflow 0
		.amdhsa_exception_fp_ieee_underflow 0
		.amdhsa_exception_fp_ieee_inexact 0
		.amdhsa_exception_int_div_zero 0
	.end_amdhsa_kernel
	.section	.text._Z26warp_inclusive_scan_kernelIN10test_utils16custom_test_typeI6__halfEELj128ELj32EENSt9enable_ifIXsr10test_utilsE35device_test_enabled_for_warp_size_vIXT1_EEEvE4typeEPT_S8_,"axG",@progbits,_Z26warp_inclusive_scan_kernelIN10test_utils16custom_test_typeI6__halfEELj128ELj32EENSt9enable_ifIXsr10test_utilsE35device_test_enabled_for_warp_size_vIXT1_EEEvE4typeEPT_S8_,comdat
.Lfunc_end310:
	.size	_Z26warp_inclusive_scan_kernelIN10test_utils16custom_test_typeI6__halfEELj128ELj32EENSt9enable_ifIXsr10test_utilsE35device_test_enabled_for_warp_size_vIXT1_EEEvE4typeEPT_S8_, .Lfunc_end310-_Z26warp_inclusive_scan_kernelIN10test_utils16custom_test_typeI6__halfEELj128ELj32EENSt9enable_ifIXsr10test_utilsE35device_test_enabled_for_warp_size_vIXT1_EEEvE4typeEPT_S8_
                                        ; -- End function
	.section	.AMDGPU.csdata,"",@progbits
; Kernel info:
; codeLenInByte = 416
; NumSgprs: 18
; NumVgprs: 9
; ScratchSize: 0
; MemoryBound: 0
; FloatMode: 240
; IeeeMode: 1
; LDSByteSize: 0 bytes/workgroup (compile time only)
; SGPRBlocks: 2
; VGPRBlocks: 1
; NumSGPRsForWavesPerEU: 18
; NumVGPRsForWavesPerEU: 9
; Occupancy: 16
; WaveLimiterHint : 0
; COMPUTE_PGM_RSRC2:SCRATCH_EN: 0
; COMPUTE_PGM_RSRC2:USER_SGPR: 15
; COMPUTE_PGM_RSRC2:TRAP_HANDLER: 0
; COMPUTE_PGM_RSRC2:TGID_X_EN: 1
; COMPUTE_PGM_RSRC2:TGID_Y_EN: 0
; COMPUTE_PGM_RSRC2:TGID_Z_EN: 0
; COMPUTE_PGM_RSRC2:TIDIG_COMP_CNT: 0
	.section	.text._Z26warp_inclusive_scan_kernelIN10test_utils16custom_test_typeI6__halfEELj64ELj16EENSt9enable_ifIXsr10test_utilsE35device_test_enabled_for_warp_size_vIXT1_EEEvE4typeEPT_S8_,"axG",@progbits,_Z26warp_inclusive_scan_kernelIN10test_utils16custom_test_typeI6__halfEELj64ELj16EENSt9enable_ifIXsr10test_utilsE35device_test_enabled_for_warp_size_vIXT1_EEEvE4typeEPT_S8_,comdat
	.protected	_Z26warp_inclusive_scan_kernelIN10test_utils16custom_test_typeI6__halfEELj64ELj16EENSt9enable_ifIXsr10test_utilsE35device_test_enabled_for_warp_size_vIXT1_EEEvE4typeEPT_S8_ ; -- Begin function _Z26warp_inclusive_scan_kernelIN10test_utils16custom_test_typeI6__halfEELj64ELj16EENSt9enable_ifIXsr10test_utilsE35device_test_enabled_for_warp_size_vIXT1_EEEvE4typeEPT_S8_
	.globl	_Z26warp_inclusive_scan_kernelIN10test_utils16custom_test_typeI6__halfEELj64ELj16EENSt9enable_ifIXsr10test_utilsE35device_test_enabled_for_warp_size_vIXT1_EEEvE4typeEPT_S8_
	.p2align	8
	.type	_Z26warp_inclusive_scan_kernelIN10test_utils16custom_test_typeI6__halfEELj64ELj16EENSt9enable_ifIXsr10test_utilsE35device_test_enabled_for_warp_size_vIXT1_EEEvE4typeEPT_S8_,@function
_Z26warp_inclusive_scan_kernelIN10test_utils16custom_test_typeI6__halfEELj64ELj16EENSt9enable_ifIXsr10test_utilsE35device_test_enabled_for_warp_size_vIXT1_EEEvE4typeEPT_S8_: ; @_Z26warp_inclusive_scan_kernelIN10test_utils16custom_test_typeI6__halfEELj64ELj16EENSt9enable_ifIXsr10test_utilsE35device_test_enabled_for_warp_size_vIXT1_EEEvE4typeEPT_S8_
; %bb.0:
	s_clause 0x1
	s_load_b32 s4, s[0:1], 0x1c
	s_load_b128 s[0:3], s[0:1], 0x0
	s_waitcnt lgkmcnt(0)
	s_and_b32 s4, s4, 0xffff
	s_delay_alu instid0(SALU_CYCLE_1) | instskip(SKIP_1) | instid1(VALU_DEP_1)
	v_mad_u64_u32 v[1:2], null, s15, s4, v[0:1]
	v_mov_b32_e32 v2, 0
	v_lshlrev_b64 v[0:1], 2, v[1:2]
	s_delay_alu instid0(VALU_DEP_1) | instskip(NEXT) | instid1(VALU_DEP_2)
	v_add_co_u32 v2, vcc_lo, s0, v0
	v_add_co_ci_u32_e32 v3, vcc_lo, s1, v1, vcc_lo
	s_mov_b32 s0, exec_lo
	global_load_b32 v3, v[2:3], off
	v_mbcnt_lo_u32_b32 v2, -1, 0
	s_delay_alu instid0(VALU_DEP_1) | instskip(SKIP_2) | instid1(VALU_DEP_2)
	v_and_b32_e32 v2, 15, v2
	s_waitcnt vmcnt(0)
	v_mov_b32_dpp v4, v3 row_shr:1 row_mask:0xf bank_mask:0xf
	v_cmpx_ne_u32_e32 0, v2
; %bb.1:
	s_delay_alu instid0(VALU_DEP_2)
	v_pk_add_f16 v3, v3, v4
; %bb.2:
	s_or_b32 exec_lo, exec_lo, s0
	s_delay_alu instid0(VALU_DEP_1)
	v_mov_b32_dpp v6, v3 row_shr:2 row_mask:0xf bank_mask:0xf
	v_bfi_b32 v5, 0xffff, v3, v3
	v_lshrrev_b32_e32 v4, 16, v3
	s_mov_b32 s0, exec_lo
	v_cmpx_lt_u32_e32 1, v2
; %bb.3:
	s_delay_alu instid0(VALU_DEP_3) | instskip(NEXT) | instid1(VALU_DEP_1)
	v_pk_add_f16 v3, v5, v6
	v_lshrrev_b32_e32 v4, 16, v3
	v_mov_b32_e32 v5, v3
; %bb.4:
	s_or_b32 exec_lo, exec_lo, s0
	v_mov_b32_dpp v6, v3 row_shr:4 row_mask:0xf bank_mask:0xf
	s_mov_b32 s0, exec_lo
	v_cmpx_lt_u32_e32 3, v2
; %bb.5:
	s_delay_alu instid0(VALU_DEP_2) | instskip(NEXT) | instid1(VALU_DEP_1)
	v_pk_add_f16 v3, v5, v6
	v_lshrrev_b32_e32 v4, 16, v3
	v_mov_b32_e32 v5, v3
; %bb.6:
	s_or_b32 exec_lo, exec_lo, s0
	v_mov_b32_dpp v3, v3 row_shr:8 row_mask:0xf bank_mask:0xf
	v_cmp_lt_u32_e32 vcc_lo, 7, v2
	s_delay_alu instid0(VALU_DEP_2) | instskip(NEXT) | instid1(VALU_DEP_1)
	v_pk_add_f16 v3, v5, v3
	v_lshrrev_b32_e32 v6, 16, v3
	s_delay_alu instid0(VALU_DEP_1) | instskip(SKIP_2) | instid1(VALU_DEP_3)
	v_dual_cndmask_b32 v2, v5, v3 :: v_dual_cndmask_b32 v3, v4, v6
	v_add_co_u32 v0, vcc_lo, s2, v0
	v_add_co_ci_u32_e32 v1, vcc_lo, s3, v1, vcc_lo
	v_perm_b32 v2, v3, v2, 0x5040100
	global_store_b32 v[0:1], v2, off
	s_nop 0
	s_sendmsg sendmsg(MSG_DEALLOC_VGPRS)
	s_endpgm
	.section	.rodata,"a",@progbits
	.p2align	6, 0x0
	.amdhsa_kernel _Z26warp_inclusive_scan_kernelIN10test_utils16custom_test_typeI6__halfEELj64ELj16EENSt9enable_ifIXsr10test_utilsE35device_test_enabled_for_warp_size_vIXT1_EEEvE4typeEPT_S8_
		.amdhsa_group_segment_fixed_size 0
		.amdhsa_private_segment_fixed_size 0
		.amdhsa_kernarg_size 272
		.amdhsa_user_sgpr_count 15
		.amdhsa_user_sgpr_dispatch_ptr 0
		.amdhsa_user_sgpr_queue_ptr 0
		.amdhsa_user_sgpr_kernarg_segment_ptr 1
		.amdhsa_user_sgpr_dispatch_id 0
		.amdhsa_user_sgpr_private_segment_size 0
		.amdhsa_wavefront_size32 1
		.amdhsa_uses_dynamic_stack 0
		.amdhsa_enable_private_segment 0
		.amdhsa_system_sgpr_workgroup_id_x 1
		.amdhsa_system_sgpr_workgroup_id_y 0
		.amdhsa_system_sgpr_workgroup_id_z 0
		.amdhsa_system_sgpr_workgroup_info 0
		.amdhsa_system_vgpr_workitem_id 0
		.amdhsa_next_free_vgpr 7
		.amdhsa_next_free_sgpr 16
		.amdhsa_reserve_vcc 1
		.amdhsa_float_round_mode_32 0
		.amdhsa_float_round_mode_16_64 0
		.amdhsa_float_denorm_mode_32 3
		.amdhsa_float_denorm_mode_16_64 3
		.amdhsa_dx10_clamp 1
		.amdhsa_ieee_mode 1
		.amdhsa_fp16_overflow 0
		.amdhsa_workgroup_processor_mode 1
		.amdhsa_memory_ordered 1
		.amdhsa_forward_progress 0
		.amdhsa_shared_vgpr_count 0
		.amdhsa_exception_fp_ieee_invalid_op 0
		.amdhsa_exception_fp_denorm_src 0
		.amdhsa_exception_fp_ieee_div_zero 0
		.amdhsa_exception_fp_ieee_overflow 0
		.amdhsa_exception_fp_ieee_underflow 0
		.amdhsa_exception_fp_ieee_inexact 0
		.amdhsa_exception_int_div_zero 0
	.end_amdhsa_kernel
	.section	.text._Z26warp_inclusive_scan_kernelIN10test_utils16custom_test_typeI6__halfEELj64ELj16EENSt9enable_ifIXsr10test_utilsE35device_test_enabled_for_warp_size_vIXT1_EEEvE4typeEPT_S8_,"axG",@progbits,_Z26warp_inclusive_scan_kernelIN10test_utils16custom_test_typeI6__halfEELj64ELj16EENSt9enable_ifIXsr10test_utilsE35device_test_enabled_for_warp_size_vIXT1_EEEvE4typeEPT_S8_,comdat
.Lfunc_end311:
	.size	_Z26warp_inclusive_scan_kernelIN10test_utils16custom_test_typeI6__halfEELj64ELj16EENSt9enable_ifIXsr10test_utilsE35device_test_enabled_for_warp_size_vIXT1_EEEvE4typeEPT_S8_, .Lfunc_end311-_Z26warp_inclusive_scan_kernelIN10test_utils16custom_test_typeI6__halfEELj64ELj16EENSt9enable_ifIXsr10test_utilsE35device_test_enabled_for_warp_size_vIXT1_EEEvE4typeEPT_S8_
                                        ; -- End function
	.section	.AMDGPU.csdata,"",@progbits
; Kernel info:
; codeLenInByte = 316
; NumSgprs: 18
; NumVgprs: 7
; ScratchSize: 0
; MemoryBound: 0
; FloatMode: 240
; IeeeMode: 1
; LDSByteSize: 0 bytes/workgroup (compile time only)
; SGPRBlocks: 2
; VGPRBlocks: 0
; NumSGPRsForWavesPerEU: 18
; NumVGPRsForWavesPerEU: 7
; Occupancy: 16
; WaveLimiterHint : 0
; COMPUTE_PGM_RSRC2:SCRATCH_EN: 0
; COMPUTE_PGM_RSRC2:USER_SGPR: 15
; COMPUTE_PGM_RSRC2:TRAP_HANDLER: 0
; COMPUTE_PGM_RSRC2:TGID_X_EN: 1
; COMPUTE_PGM_RSRC2:TGID_Y_EN: 0
; COMPUTE_PGM_RSRC2:TGID_Z_EN: 0
; COMPUTE_PGM_RSRC2:TIDIG_COMP_CNT: 0
	.section	.text._Z26warp_inclusive_scan_kernelIN10test_utils16custom_test_typeI6__halfEELj32ELj8EENSt9enable_ifIXsr10test_utilsE35device_test_enabled_for_warp_size_vIXT1_EEEvE4typeEPT_S8_,"axG",@progbits,_Z26warp_inclusive_scan_kernelIN10test_utils16custom_test_typeI6__halfEELj32ELj8EENSt9enable_ifIXsr10test_utilsE35device_test_enabled_for_warp_size_vIXT1_EEEvE4typeEPT_S8_,comdat
	.protected	_Z26warp_inclusive_scan_kernelIN10test_utils16custom_test_typeI6__halfEELj32ELj8EENSt9enable_ifIXsr10test_utilsE35device_test_enabled_for_warp_size_vIXT1_EEEvE4typeEPT_S8_ ; -- Begin function _Z26warp_inclusive_scan_kernelIN10test_utils16custom_test_typeI6__halfEELj32ELj8EENSt9enable_ifIXsr10test_utilsE35device_test_enabled_for_warp_size_vIXT1_EEEvE4typeEPT_S8_
	.globl	_Z26warp_inclusive_scan_kernelIN10test_utils16custom_test_typeI6__halfEELj32ELj8EENSt9enable_ifIXsr10test_utilsE35device_test_enabled_for_warp_size_vIXT1_EEEvE4typeEPT_S8_
	.p2align	8
	.type	_Z26warp_inclusive_scan_kernelIN10test_utils16custom_test_typeI6__halfEELj32ELj8EENSt9enable_ifIXsr10test_utilsE35device_test_enabled_for_warp_size_vIXT1_EEEvE4typeEPT_S8_,@function
_Z26warp_inclusive_scan_kernelIN10test_utils16custom_test_typeI6__halfEELj32ELj8EENSt9enable_ifIXsr10test_utilsE35device_test_enabled_for_warp_size_vIXT1_EEEvE4typeEPT_S8_: ; @_Z26warp_inclusive_scan_kernelIN10test_utils16custom_test_typeI6__halfEELj32ELj8EENSt9enable_ifIXsr10test_utilsE35device_test_enabled_for_warp_size_vIXT1_EEEvE4typeEPT_S8_
; %bb.0:
	s_clause 0x1
	s_load_b32 s4, s[0:1], 0x1c
	s_load_b128 s[0:3], s[0:1], 0x0
	s_waitcnt lgkmcnt(0)
	s_and_b32 s4, s4, 0xffff
	s_delay_alu instid0(SALU_CYCLE_1) | instskip(SKIP_1) | instid1(VALU_DEP_1)
	v_mad_u64_u32 v[1:2], null, s15, s4, v[0:1]
	v_mov_b32_e32 v2, 0
	v_lshlrev_b64 v[0:1], 2, v[1:2]
	s_delay_alu instid0(VALU_DEP_1) | instskip(NEXT) | instid1(VALU_DEP_2)
	v_add_co_u32 v2, vcc_lo, s0, v0
	v_add_co_ci_u32_e32 v3, vcc_lo, s1, v1, vcc_lo
	s_mov_b32 s0, exec_lo
	global_load_b32 v3, v[2:3], off
	v_mbcnt_lo_u32_b32 v2, -1, 0
	s_delay_alu instid0(VALU_DEP_1) | instskip(SKIP_2) | instid1(VALU_DEP_2)
	v_and_b32_e32 v2, 7, v2
	s_waitcnt vmcnt(0)
	v_mov_b32_dpp v4, v3 row_shr:1 row_mask:0xf bank_mask:0xf
	v_cmpx_ne_u32_e32 0, v2
; %bb.1:
	s_delay_alu instid0(VALU_DEP_2)
	v_pk_add_f16 v3, v3, v4
; %bb.2:
	s_or_b32 exec_lo, exec_lo, s0
	s_delay_alu instid0(VALU_DEP_1)
	v_mov_b32_dpp v6, v3 row_shr:2 row_mask:0xf bank_mask:0xf
	v_bfi_b32 v5, 0xffff, v3, v3
	v_lshrrev_b32_e32 v4, 16, v3
	s_mov_b32 s0, exec_lo
	v_cmpx_lt_u32_e32 1, v2
; %bb.3:
	s_delay_alu instid0(VALU_DEP_3) | instskip(NEXT) | instid1(VALU_DEP_1)
	v_pk_add_f16 v3, v5, v6
	v_lshrrev_b32_e32 v4, 16, v3
	v_mov_b32_e32 v5, v3
; %bb.4:
	s_or_b32 exec_lo, exec_lo, s0
	v_mov_b32_dpp v3, v3 row_shr:4 row_mask:0xf bank_mask:0xf
	v_cmp_lt_u32_e32 vcc_lo, 3, v2
	s_delay_alu instid0(VALU_DEP_2) | instskip(NEXT) | instid1(VALU_DEP_1)
	v_pk_add_f16 v3, v5, v3
	v_lshrrev_b32_e32 v6, 16, v3
	s_delay_alu instid0(VALU_DEP_1) | instskip(SKIP_2) | instid1(VALU_DEP_3)
	v_dual_cndmask_b32 v2, v5, v3 :: v_dual_cndmask_b32 v3, v4, v6
	v_add_co_u32 v0, vcc_lo, s2, v0
	v_add_co_ci_u32_e32 v1, vcc_lo, s3, v1, vcc_lo
	v_perm_b32 v2, v3, v2, 0x5040100
	global_store_b32 v[0:1], v2, off
	s_nop 0
	s_sendmsg sendmsg(MSG_DEALLOC_VGPRS)
	s_endpgm
	.section	.rodata,"a",@progbits
	.p2align	6, 0x0
	.amdhsa_kernel _Z26warp_inclusive_scan_kernelIN10test_utils16custom_test_typeI6__halfEELj32ELj8EENSt9enable_ifIXsr10test_utilsE35device_test_enabled_for_warp_size_vIXT1_EEEvE4typeEPT_S8_
		.amdhsa_group_segment_fixed_size 0
		.amdhsa_private_segment_fixed_size 0
		.amdhsa_kernarg_size 272
		.amdhsa_user_sgpr_count 15
		.amdhsa_user_sgpr_dispatch_ptr 0
		.amdhsa_user_sgpr_queue_ptr 0
		.amdhsa_user_sgpr_kernarg_segment_ptr 1
		.amdhsa_user_sgpr_dispatch_id 0
		.amdhsa_user_sgpr_private_segment_size 0
		.amdhsa_wavefront_size32 1
		.amdhsa_uses_dynamic_stack 0
		.amdhsa_enable_private_segment 0
		.amdhsa_system_sgpr_workgroup_id_x 1
		.amdhsa_system_sgpr_workgroup_id_y 0
		.amdhsa_system_sgpr_workgroup_id_z 0
		.amdhsa_system_sgpr_workgroup_info 0
		.amdhsa_system_vgpr_workitem_id 0
		.amdhsa_next_free_vgpr 7
		.amdhsa_next_free_sgpr 16
		.amdhsa_reserve_vcc 1
		.amdhsa_float_round_mode_32 0
		.amdhsa_float_round_mode_16_64 0
		.amdhsa_float_denorm_mode_32 3
		.amdhsa_float_denorm_mode_16_64 3
		.amdhsa_dx10_clamp 1
		.amdhsa_ieee_mode 1
		.amdhsa_fp16_overflow 0
		.amdhsa_workgroup_processor_mode 1
		.amdhsa_memory_ordered 1
		.amdhsa_forward_progress 0
		.amdhsa_shared_vgpr_count 0
		.amdhsa_exception_fp_ieee_invalid_op 0
		.amdhsa_exception_fp_denorm_src 0
		.amdhsa_exception_fp_ieee_div_zero 0
		.amdhsa_exception_fp_ieee_overflow 0
		.amdhsa_exception_fp_ieee_underflow 0
		.amdhsa_exception_fp_ieee_inexact 0
		.amdhsa_exception_int_div_zero 0
	.end_amdhsa_kernel
	.section	.text._Z26warp_inclusive_scan_kernelIN10test_utils16custom_test_typeI6__halfEELj32ELj8EENSt9enable_ifIXsr10test_utilsE35device_test_enabled_for_warp_size_vIXT1_EEEvE4typeEPT_S8_,"axG",@progbits,_Z26warp_inclusive_scan_kernelIN10test_utils16custom_test_typeI6__halfEELj32ELj8EENSt9enable_ifIXsr10test_utilsE35device_test_enabled_for_warp_size_vIXT1_EEEvE4typeEPT_S8_,comdat
.Lfunc_end312:
	.size	_Z26warp_inclusive_scan_kernelIN10test_utils16custom_test_typeI6__halfEELj32ELj8EENSt9enable_ifIXsr10test_utilsE35device_test_enabled_for_warp_size_vIXT1_EEEvE4typeEPT_S8_, .Lfunc_end312-_Z26warp_inclusive_scan_kernelIN10test_utils16custom_test_typeI6__halfEELj32ELj8EENSt9enable_ifIXsr10test_utilsE35device_test_enabled_for_warp_size_vIXT1_EEEvE4typeEPT_S8_
                                        ; -- End function
	.section	.AMDGPU.csdata,"",@progbits
; Kernel info:
; codeLenInByte = 276
; NumSgprs: 18
; NumVgprs: 7
; ScratchSize: 0
; MemoryBound: 0
; FloatMode: 240
; IeeeMode: 1
; LDSByteSize: 0 bytes/workgroup (compile time only)
; SGPRBlocks: 2
; VGPRBlocks: 0
; NumSGPRsForWavesPerEU: 18
; NumVGPRsForWavesPerEU: 7
; Occupancy: 16
; WaveLimiterHint : 0
; COMPUTE_PGM_RSRC2:SCRATCH_EN: 0
; COMPUTE_PGM_RSRC2:USER_SGPR: 15
; COMPUTE_PGM_RSRC2:TRAP_HANDLER: 0
; COMPUTE_PGM_RSRC2:TGID_X_EN: 1
; COMPUTE_PGM_RSRC2:TGID_Y_EN: 0
; COMPUTE_PGM_RSRC2:TGID_Z_EN: 0
; COMPUTE_PGM_RSRC2:TIDIG_COMP_CNT: 0
	.section	.text._Z26warp_inclusive_scan_kernelIN10test_utils16custom_test_typeI6__halfEELj64ELj8EENSt9enable_ifIXsr10test_utilsE35device_test_enabled_for_warp_size_vIXT1_EEEvE4typeEPT_S8_,"axG",@progbits,_Z26warp_inclusive_scan_kernelIN10test_utils16custom_test_typeI6__halfEELj64ELj8EENSt9enable_ifIXsr10test_utilsE35device_test_enabled_for_warp_size_vIXT1_EEEvE4typeEPT_S8_,comdat
	.protected	_Z26warp_inclusive_scan_kernelIN10test_utils16custom_test_typeI6__halfEELj64ELj8EENSt9enable_ifIXsr10test_utilsE35device_test_enabled_for_warp_size_vIXT1_EEEvE4typeEPT_S8_ ; -- Begin function _Z26warp_inclusive_scan_kernelIN10test_utils16custom_test_typeI6__halfEELj64ELj8EENSt9enable_ifIXsr10test_utilsE35device_test_enabled_for_warp_size_vIXT1_EEEvE4typeEPT_S8_
	.globl	_Z26warp_inclusive_scan_kernelIN10test_utils16custom_test_typeI6__halfEELj64ELj8EENSt9enable_ifIXsr10test_utilsE35device_test_enabled_for_warp_size_vIXT1_EEEvE4typeEPT_S8_
	.p2align	8
	.type	_Z26warp_inclusive_scan_kernelIN10test_utils16custom_test_typeI6__halfEELj64ELj8EENSt9enable_ifIXsr10test_utilsE35device_test_enabled_for_warp_size_vIXT1_EEEvE4typeEPT_S8_,@function
_Z26warp_inclusive_scan_kernelIN10test_utils16custom_test_typeI6__halfEELj64ELj8EENSt9enable_ifIXsr10test_utilsE35device_test_enabled_for_warp_size_vIXT1_EEEvE4typeEPT_S8_: ; @_Z26warp_inclusive_scan_kernelIN10test_utils16custom_test_typeI6__halfEELj64ELj8EENSt9enable_ifIXsr10test_utilsE35device_test_enabled_for_warp_size_vIXT1_EEEvE4typeEPT_S8_
; %bb.0:
	s_clause 0x1
	s_load_b32 s4, s[0:1], 0x1c
	s_load_b128 s[0:3], s[0:1], 0x0
	s_waitcnt lgkmcnt(0)
	s_and_b32 s4, s4, 0xffff
	s_delay_alu instid0(SALU_CYCLE_1) | instskip(SKIP_1) | instid1(VALU_DEP_1)
	v_mad_u64_u32 v[1:2], null, s15, s4, v[0:1]
	v_mov_b32_e32 v2, 0
	v_lshlrev_b64 v[0:1], 2, v[1:2]
	s_delay_alu instid0(VALU_DEP_1) | instskip(NEXT) | instid1(VALU_DEP_2)
	v_add_co_u32 v2, vcc_lo, s0, v0
	v_add_co_ci_u32_e32 v3, vcc_lo, s1, v1, vcc_lo
	s_mov_b32 s0, exec_lo
	global_load_b32 v3, v[2:3], off
	v_mbcnt_lo_u32_b32 v2, -1, 0
	s_delay_alu instid0(VALU_DEP_1) | instskip(SKIP_2) | instid1(VALU_DEP_2)
	v_and_b32_e32 v2, 7, v2
	s_waitcnt vmcnt(0)
	v_mov_b32_dpp v4, v3 row_shr:1 row_mask:0xf bank_mask:0xf
	v_cmpx_ne_u32_e32 0, v2
; %bb.1:
	s_delay_alu instid0(VALU_DEP_2)
	v_pk_add_f16 v3, v3, v4
; %bb.2:
	s_or_b32 exec_lo, exec_lo, s0
	s_delay_alu instid0(VALU_DEP_1)
	v_mov_b32_dpp v6, v3 row_shr:2 row_mask:0xf bank_mask:0xf
	v_bfi_b32 v5, 0xffff, v3, v3
	v_lshrrev_b32_e32 v4, 16, v3
	s_mov_b32 s0, exec_lo
	v_cmpx_lt_u32_e32 1, v2
; %bb.3:
	s_delay_alu instid0(VALU_DEP_3) | instskip(NEXT) | instid1(VALU_DEP_1)
	v_pk_add_f16 v3, v5, v6
	v_lshrrev_b32_e32 v4, 16, v3
	v_mov_b32_e32 v5, v3
; %bb.4:
	s_or_b32 exec_lo, exec_lo, s0
	v_mov_b32_dpp v3, v3 row_shr:4 row_mask:0xf bank_mask:0xf
	v_cmp_lt_u32_e32 vcc_lo, 3, v2
	s_delay_alu instid0(VALU_DEP_2) | instskip(NEXT) | instid1(VALU_DEP_1)
	v_pk_add_f16 v3, v5, v3
	v_lshrrev_b32_e32 v6, 16, v3
	s_delay_alu instid0(VALU_DEP_1) | instskip(SKIP_2) | instid1(VALU_DEP_3)
	v_dual_cndmask_b32 v2, v5, v3 :: v_dual_cndmask_b32 v3, v4, v6
	v_add_co_u32 v0, vcc_lo, s2, v0
	v_add_co_ci_u32_e32 v1, vcc_lo, s3, v1, vcc_lo
	v_perm_b32 v2, v3, v2, 0x5040100
	global_store_b32 v[0:1], v2, off
	s_nop 0
	s_sendmsg sendmsg(MSG_DEALLOC_VGPRS)
	s_endpgm
	.section	.rodata,"a",@progbits
	.p2align	6, 0x0
	.amdhsa_kernel _Z26warp_inclusive_scan_kernelIN10test_utils16custom_test_typeI6__halfEELj64ELj8EENSt9enable_ifIXsr10test_utilsE35device_test_enabled_for_warp_size_vIXT1_EEEvE4typeEPT_S8_
		.amdhsa_group_segment_fixed_size 0
		.amdhsa_private_segment_fixed_size 0
		.amdhsa_kernarg_size 272
		.amdhsa_user_sgpr_count 15
		.amdhsa_user_sgpr_dispatch_ptr 0
		.amdhsa_user_sgpr_queue_ptr 0
		.amdhsa_user_sgpr_kernarg_segment_ptr 1
		.amdhsa_user_sgpr_dispatch_id 0
		.amdhsa_user_sgpr_private_segment_size 0
		.amdhsa_wavefront_size32 1
		.amdhsa_uses_dynamic_stack 0
		.amdhsa_enable_private_segment 0
		.amdhsa_system_sgpr_workgroup_id_x 1
		.amdhsa_system_sgpr_workgroup_id_y 0
		.amdhsa_system_sgpr_workgroup_id_z 0
		.amdhsa_system_sgpr_workgroup_info 0
		.amdhsa_system_vgpr_workitem_id 0
		.amdhsa_next_free_vgpr 7
		.amdhsa_next_free_sgpr 16
		.amdhsa_reserve_vcc 1
		.amdhsa_float_round_mode_32 0
		.amdhsa_float_round_mode_16_64 0
		.amdhsa_float_denorm_mode_32 3
		.amdhsa_float_denorm_mode_16_64 3
		.amdhsa_dx10_clamp 1
		.amdhsa_ieee_mode 1
		.amdhsa_fp16_overflow 0
		.amdhsa_workgroup_processor_mode 1
		.amdhsa_memory_ordered 1
		.amdhsa_forward_progress 0
		.amdhsa_shared_vgpr_count 0
		.amdhsa_exception_fp_ieee_invalid_op 0
		.amdhsa_exception_fp_denorm_src 0
		.amdhsa_exception_fp_ieee_div_zero 0
		.amdhsa_exception_fp_ieee_overflow 0
		.amdhsa_exception_fp_ieee_underflow 0
		.amdhsa_exception_fp_ieee_inexact 0
		.amdhsa_exception_int_div_zero 0
	.end_amdhsa_kernel
	.section	.text._Z26warp_inclusive_scan_kernelIN10test_utils16custom_test_typeI6__halfEELj64ELj8EENSt9enable_ifIXsr10test_utilsE35device_test_enabled_for_warp_size_vIXT1_EEEvE4typeEPT_S8_,"axG",@progbits,_Z26warp_inclusive_scan_kernelIN10test_utils16custom_test_typeI6__halfEELj64ELj8EENSt9enable_ifIXsr10test_utilsE35device_test_enabled_for_warp_size_vIXT1_EEEvE4typeEPT_S8_,comdat
.Lfunc_end313:
	.size	_Z26warp_inclusive_scan_kernelIN10test_utils16custom_test_typeI6__halfEELj64ELj8EENSt9enable_ifIXsr10test_utilsE35device_test_enabled_for_warp_size_vIXT1_EEEvE4typeEPT_S8_, .Lfunc_end313-_Z26warp_inclusive_scan_kernelIN10test_utils16custom_test_typeI6__halfEELj64ELj8EENSt9enable_ifIXsr10test_utilsE35device_test_enabled_for_warp_size_vIXT1_EEEvE4typeEPT_S8_
                                        ; -- End function
	.section	.AMDGPU.csdata,"",@progbits
; Kernel info:
; codeLenInByte = 276
; NumSgprs: 18
; NumVgprs: 7
; ScratchSize: 0
; MemoryBound: 0
; FloatMode: 240
; IeeeMode: 1
; LDSByteSize: 0 bytes/workgroup (compile time only)
; SGPRBlocks: 2
; VGPRBlocks: 0
; NumSGPRsForWavesPerEU: 18
; NumVGPRsForWavesPerEU: 7
; Occupancy: 16
; WaveLimiterHint : 0
; COMPUTE_PGM_RSRC2:SCRATCH_EN: 0
; COMPUTE_PGM_RSRC2:USER_SGPR: 15
; COMPUTE_PGM_RSRC2:TRAP_HANDLER: 0
; COMPUTE_PGM_RSRC2:TGID_X_EN: 1
; COMPUTE_PGM_RSRC2:TGID_Y_EN: 0
; COMPUTE_PGM_RSRC2:TGID_Z_EN: 0
; COMPUTE_PGM_RSRC2:TIDIG_COMP_CNT: 0
	.section	.text._Z26warp_inclusive_scan_kernelIN10test_utils16custom_test_typeI6__halfEELj32ELj4EENSt9enable_ifIXsr10test_utilsE35device_test_enabled_for_warp_size_vIXT1_EEEvE4typeEPT_S8_,"axG",@progbits,_Z26warp_inclusive_scan_kernelIN10test_utils16custom_test_typeI6__halfEELj32ELj4EENSt9enable_ifIXsr10test_utilsE35device_test_enabled_for_warp_size_vIXT1_EEEvE4typeEPT_S8_,comdat
	.protected	_Z26warp_inclusive_scan_kernelIN10test_utils16custom_test_typeI6__halfEELj32ELj4EENSt9enable_ifIXsr10test_utilsE35device_test_enabled_for_warp_size_vIXT1_EEEvE4typeEPT_S8_ ; -- Begin function _Z26warp_inclusive_scan_kernelIN10test_utils16custom_test_typeI6__halfEELj32ELj4EENSt9enable_ifIXsr10test_utilsE35device_test_enabled_for_warp_size_vIXT1_EEEvE4typeEPT_S8_
	.globl	_Z26warp_inclusive_scan_kernelIN10test_utils16custom_test_typeI6__halfEELj32ELj4EENSt9enable_ifIXsr10test_utilsE35device_test_enabled_for_warp_size_vIXT1_EEEvE4typeEPT_S8_
	.p2align	8
	.type	_Z26warp_inclusive_scan_kernelIN10test_utils16custom_test_typeI6__halfEELj32ELj4EENSt9enable_ifIXsr10test_utilsE35device_test_enabled_for_warp_size_vIXT1_EEEvE4typeEPT_S8_,@function
_Z26warp_inclusive_scan_kernelIN10test_utils16custom_test_typeI6__halfEELj32ELj4EENSt9enable_ifIXsr10test_utilsE35device_test_enabled_for_warp_size_vIXT1_EEEvE4typeEPT_S8_: ; @_Z26warp_inclusive_scan_kernelIN10test_utils16custom_test_typeI6__halfEELj32ELj4EENSt9enable_ifIXsr10test_utilsE35device_test_enabled_for_warp_size_vIXT1_EEEvE4typeEPT_S8_
; %bb.0:
	s_clause 0x1
	s_load_b32 s4, s[0:1], 0x1c
	s_load_b128 s[0:3], s[0:1], 0x0
	s_waitcnt lgkmcnt(0)
	s_and_b32 s4, s4, 0xffff
	s_delay_alu instid0(SALU_CYCLE_1) | instskip(SKIP_1) | instid1(VALU_DEP_1)
	v_mad_u64_u32 v[1:2], null, s15, s4, v[0:1]
	v_mov_b32_e32 v2, 0
	v_lshlrev_b64 v[0:1], 2, v[1:2]
	s_delay_alu instid0(VALU_DEP_1) | instskip(NEXT) | instid1(VALU_DEP_2)
	v_add_co_u32 v2, vcc_lo, s0, v0
	v_add_co_ci_u32_e32 v3, vcc_lo, s1, v1, vcc_lo
	s_mov_b32 s0, exec_lo
	global_load_b32 v2, v[2:3], off
	v_mbcnt_lo_u32_b32 v3, -1, 0
	s_delay_alu instid0(VALU_DEP_1) | instskip(SKIP_2) | instid1(VALU_DEP_2)
	v_and_b32_e32 v3, 3, v3
	s_waitcnt vmcnt(0)
	v_mov_b32_dpp v4, v2 row_shr:1 row_mask:0xf bank_mask:0xf
	v_cmpx_ne_u32_e32 0, v3
; %bb.1:
	s_delay_alu instid0(VALU_DEP_2)
	v_pk_add_f16 v2, v2, v4
; %bb.2:
	s_or_b32 exec_lo, exec_lo, s0
	s_delay_alu instid0(VALU_DEP_1)
	v_mov_b32_dpp v4, v2 row_shr:2 row_mask:0xf bank_mask:0xf
	s_mov_b32 s0, exec_lo
	v_cmpx_lt_u32_e32 1, v3
; %bb.3:
	v_bfi_b32 v2, 0xffff, v2, v2
	s_delay_alu instid0(VALU_DEP_1)
	v_pk_add_f16 v2, v2, v4
; %bb.4:
	s_or_b32 exec_lo, exec_lo, s0
	v_add_co_u32 v0, vcc_lo, s2, v0
	v_add_co_ci_u32_e32 v1, vcc_lo, s3, v1, vcc_lo
	global_store_b32 v[0:1], v2, off
	s_nop 0
	s_sendmsg sendmsg(MSG_DEALLOC_VGPRS)
	s_endpgm
	.section	.rodata,"a",@progbits
	.p2align	6, 0x0
	.amdhsa_kernel _Z26warp_inclusive_scan_kernelIN10test_utils16custom_test_typeI6__halfEELj32ELj4EENSt9enable_ifIXsr10test_utilsE35device_test_enabled_for_warp_size_vIXT1_EEEvE4typeEPT_S8_
		.amdhsa_group_segment_fixed_size 0
		.amdhsa_private_segment_fixed_size 0
		.amdhsa_kernarg_size 272
		.amdhsa_user_sgpr_count 15
		.amdhsa_user_sgpr_dispatch_ptr 0
		.amdhsa_user_sgpr_queue_ptr 0
		.amdhsa_user_sgpr_kernarg_segment_ptr 1
		.amdhsa_user_sgpr_dispatch_id 0
		.amdhsa_user_sgpr_private_segment_size 0
		.amdhsa_wavefront_size32 1
		.amdhsa_uses_dynamic_stack 0
		.amdhsa_enable_private_segment 0
		.amdhsa_system_sgpr_workgroup_id_x 1
		.amdhsa_system_sgpr_workgroup_id_y 0
		.amdhsa_system_sgpr_workgroup_id_z 0
		.amdhsa_system_sgpr_workgroup_info 0
		.amdhsa_system_vgpr_workitem_id 0
		.amdhsa_next_free_vgpr 5
		.amdhsa_next_free_sgpr 16
		.amdhsa_reserve_vcc 1
		.amdhsa_float_round_mode_32 0
		.amdhsa_float_round_mode_16_64 0
		.amdhsa_float_denorm_mode_32 3
		.amdhsa_float_denorm_mode_16_64 3
		.amdhsa_dx10_clamp 1
		.amdhsa_ieee_mode 1
		.amdhsa_fp16_overflow 0
		.amdhsa_workgroup_processor_mode 1
		.amdhsa_memory_ordered 1
		.amdhsa_forward_progress 0
		.amdhsa_shared_vgpr_count 0
		.amdhsa_exception_fp_ieee_invalid_op 0
		.amdhsa_exception_fp_denorm_src 0
		.amdhsa_exception_fp_ieee_div_zero 0
		.amdhsa_exception_fp_ieee_overflow 0
		.amdhsa_exception_fp_ieee_underflow 0
		.amdhsa_exception_fp_ieee_inexact 0
		.amdhsa_exception_int_div_zero 0
	.end_amdhsa_kernel
	.section	.text._Z26warp_inclusive_scan_kernelIN10test_utils16custom_test_typeI6__halfEELj32ELj4EENSt9enable_ifIXsr10test_utilsE35device_test_enabled_for_warp_size_vIXT1_EEEvE4typeEPT_S8_,"axG",@progbits,_Z26warp_inclusive_scan_kernelIN10test_utils16custom_test_typeI6__halfEELj32ELj4EENSt9enable_ifIXsr10test_utilsE35device_test_enabled_for_warp_size_vIXT1_EEEvE4typeEPT_S8_,comdat
.Lfunc_end314:
	.size	_Z26warp_inclusive_scan_kernelIN10test_utils16custom_test_typeI6__halfEELj32ELj4EENSt9enable_ifIXsr10test_utilsE35device_test_enabled_for_warp_size_vIXT1_EEEvE4typeEPT_S8_, .Lfunc_end314-_Z26warp_inclusive_scan_kernelIN10test_utils16custom_test_typeI6__halfEELj32ELj4EENSt9enable_ifIXsr10test_utilsE35device_test_enabled_for_warp_size_vIXT1_EEEvE4typeEPT_S8_
                                        ; -- End function
	.section	.AMDGPU.csdata,"",@progbits
; Kernel info:
; codeLenInByte = 212
; NumSgprs: 18
; NumVgprs: 5
; ScratchSize: 0
; MemoryBound: 0
; FloatMode: 240
; IeeeMode: 1
; LDSByteSize: 0 bytes/workgroup (compile time only)
; SGPRBlocks: 2
; VGPRBlocks: 0
; NumSGPRsForWavesPerEU: 18
; NumVGPRsForWavesPerEU: 5
; Occupancy: 16
; WaveLimiterHint : 0
; COMPUTE_PGM_RSRC2:SCRATCH_EN: 0
; COMPUTE_PGM_RSRC2:USER_SGPR: 15
; COMPUTE_PGM_RSRC2:TRAP_HANDLER: 0
; COMPUTE_PGM_RSRC2:TGID_X_EN: 1
; COMPUTE_PGM_RSRC2:TGID_Y_EN: 0
; COMPUTE_PGM_RSRC2:TGID_Z_EN: 0
; COMPUTE_PGM_RSRC2:TIDIG_COMP_CNT: 0
	.section	.text._Z26warp_inclusive_scan_kernelIN10test_utils16custom_test_typeI6__halfEELj64ELj4EENSt9enable_ifIXsr10test_utilsE35device_test_enabled_for_warp_size_vIXT1_EEEvE4typeEPT_S8_,"axG",@progbits,_Z26warp_inclusive_scan_kernelIN10test_utils16custom_test_typeI6__halfEELj64ELj4EENSt9enable_ifIXsr10test_utilsE35device_test_enabled_for_warp_size_vIXT1_EEEvE4typeEPT_S8_,comdat
	.protected	_Z26warp_inclusive_scan_kernelIN10test_utils16custom_test_typeI6__halfEELj64ELj4EENSt9enable_ifIXsr10test_utilsE35device_test_enabled_for_warp_size_vIXT1_EEEvE4typeEPT_S8_ ; -- Begin function _Z26warp_inclusive_scan_kernelIN10test_utils16custom_test_typeI6__halfEELj64ELj4EENSt9enable_ifIXsr10test_utilsE35device_test_enabled_for_warp_size_vIXT1_EEEvE4typeEPT_S8_
	.globl	_Z26warp_inclusive_scan_kernelIN10test_utils16custom_test_typeI6__halfEELj64ELj4EENSt9enable_ifIXsr10test_utilsE35device_test_enabled_for_warp_size_vIXT1_EEEvE4typeEPT_S8_
	.p2align	8
	.type	_Z26warp_inclusive_scan_kernelIN10test_utils16custom_test_typeI6__halfEELj64ELj4EENSt9enable_ifIXsr10test_utilsE35device_test_enabled_for_warp_size_vIXT1_EEEvE4typeEPT_S8_,@function
_Z26warp_inclusive_scan_kernelIN10test_utils16custom_test_typeI6__halfEELj64ELj4EENSt9enable_ifIXsr10test_utilsE35device_test_enabled_for_warp_size_vIXT1_EEEvE4typeEPT_S8_: ; @_Z26warp_inclusive_scan_kernelIN10test_utils16custom_test_typeI6__halfEELj64ELj4EENSt9enable_ifIXsr10test_utilsE35device_test_enabled_for_warp_size_vIXT1_EEEvE4typeEPT_S8_
; %bb.0:
	s_clause 0x1
	s_load_b32 s4, s[0:1], 0x1c
	s_load_b128 s[0:3], s[0:1], 0x0
	s_waitcnt lgkmcnt(0)
	s_and_b32 s4, s4, 0xffff
	s_delay_alu instid0(SALU_CYCLE_1) | instskip(SKIP_1) | instid1(VALU_DEP_1)
	v_mad_u64_u32 v[1:2], null, s15, s4, v[0:1]
	v_mov_b32_e32 v2, 0
	v_lshlrev_b64 v[0:1], 2, v[1:2]
	s_delay_alu instid0(VALU_DEP_1) | instskip(NEXT) | instid1(VALU_DEP_2)
	v_add_co_u32 v2, vcc_lo, s0, v0
	v_add_co_ci_u32_e32 v3, vcc_lo, s1, v1, vcc_lo
	s_mov_b32 s0, exec_lo
	global_load_b32 v2, v[2:3], off
	v_mbcnt_lo_u32_b32 v3, -1, 0
	s_delay_alu instid0(VALU_DEP_1) | instskip(SKIP_2) | instid1(VALU_DEP_2)
	v_and_b32_e32 v3, 3, v3
	s_waitcnt vmcnt(0)
	v_mov_b32_dpp v4, v2 row_shr:1 row_mask:0xf bank_mask:0xf
	v_cmpx_ne_u32_e32 0, v3
; %bb.1:
	s_delay_alu instid0(VALU_DEP_2)
	v_pk_add_f16 v2, v2, v4
; %bb.2:
	s_or_b32 exec_lo, exec_lo, s0
	s_delay_alu instid0(VALU_DEP_1)
	v_mov_b32_dpp v4, v2 row_shr:2 row_mask:0xf bank_mask:0xf
	s_mov_b32 s0, exec_lo
	v_cmpx_lt_u32_e32 1, v3
; %bb.3:
	v_bfi_b32 v2, 0xffff, v2, v2
	s_delay_alu instid0(VALU_DEP_1)
	v_pk_add_f16 v2, v2, v4
; %bb.4:
	s_or_b32 exec_lo, exec_lo, s0
	v_add_co_u32 v0, vcc_lo, s2, v0
	v_add_co_ci_u32_e32 v1, vcc_lo, s3, v1, vcc_lo
	global_store_b32 v[0:1], v2, off
	s_nop 0
	s_sendmsg sendmsg(MSG_DEALLOC_VGPRS)
	s_endpgm
	.section	.rodata,"a",@progbits
	.p2align	6, 0x0
	.amdhsa_kernel _Z26warp_inclusive_scan_kernelIN10test_utils16custom_test_typeI6__halfEELj64ELj4EENSt9enable_ifIXsr10test_utilsE35device_test_enabled_for_warp_size_vIXT1_EEEvE4typeEPT_S8_
		.amdhsa_group_segment_fixed_size 0
		.amdhsa_private_segment_fixed_size 0
		.amdhsa_kernarg_size 272
		.amdhsa_user_sgpr_count 15
		.amdhsa_user_sgpr_dispatch_ptr 0
		.amdhsa_user_sgpr_queue_ptr 0
		.amdhsa_user_sgpr_kernarg_segment_ptr 1
		.amdhsa_user_sgpr_dispatch_id 0
		.amdhsa_user_sgpr_private_segment_size 0
		.amdhsa_wavefront_size32 1
		.amdhsa_uses_dynamic_stack 0
		.amdhsa_enable_private_segment 0
		.amdhsa_system_sgpr_workgroup_id_x 1
		.amdhsa_system_sgpr_workgroup_id_y 0
		.amdhsa_system_sgpr_workgroup_id_z 0
		.amdhsa_system_sgpr_workgroup_info 0
		.amdhsa_system_vgpr_workitem_id 0
		.amdhsa_next_free_vgpr 5
		.amdhsa_next_free_sgpr 16
		.amdhsa_reserve_vcc 1
		.amdhsa_float_round_mode_32 0
		.amdhsa_float_round_mode_16_64 0
		.amdhsa_float_denorm_mode_32 3
		.amdhsa_float_denorm_mode_16_64 3
		.amdhsa_dx10_clamp 1
		.amdhsa_ieee_mode 1
		.amdhsa_fp16_overflow 0
		.amdhsa_workgroup_processor_mode 1
		.amdhsa_memory_ordered 1
		.amdhsa_forward_progress 0
		.amdhsa_shared_vgpr_count 0
		.amdhsa_exception_fp_ieee_invalid_op 0
		.amdhsa_exception_fp_denorm_src 0
		.amdhsa_exception_fp_ieee_div_zero 0
		.amdhsa_exception_fp_ieee_overflow 0
		.amdhsa_exception_fp_ieee_underflow 0
		.amdhsa_exception_fp_ieee_inexact 0
		.amdhsa_exception_int_div_zero 0
	.end_amdhsa_kernel
	.section	.text._Z26warp_inclusive_scan_kernelIN10test_utils16custom_test_typeI6__halfEELj64ELj4EENSt9enable_ifIXsr10test_utilsE35device_test_enabled_for_warp_size_vIXT1_EEEvE4typeEPT_S8_,"axG",@progbits,_Z26warp_inclusive_scan_kernelIN10test_utils16custom_test_typeI6__halfEELj64ELj4EENSt9enable_ifIXsr10test_utilsE35device_test_enabled_for_warp_size_vIXT1_EEEvE4typeEPT_S8_,comdat
.Lfunc_end315:
	.size	_Z26warp_inclusive_scan_kernelIN10test_utils16custom_test_typeI6__halfEELj64ELj4EENSt9enable_ifIXsr10test_utilsE35device_test_enabled_for_warp_size_vIXT1_EEEvE4typeEPT_S8_, .Lfunc_end315-_Z26warp_inclusive_scan_kernelIN10test_utils16custom_test_typeI6__halfEELj64ELj4EENSt9enable_ifIXsr10test_utilsE35device_test_enabled_for_warp_size_vIXT1_EEEvE4typeEPT_S8_
                                        ; -- End function
	.section	.AMDGPU.csdata,"",@progbits
; Kernel info:
; codeLenInByte = 212
; NumSgprs: 18
; NumVgprs: 5
; ScratchSize: 0
; MemoryBound: 0
; FloatMode: 240
; IeeeMode: 1
; LDSByteSize: 0 bytes/workgroup (compile time only)
; SGPRBlocks: 2
; VGPRBlocks: 0
; NumSGPRsForWavesPerEU: 18
; NumVGPRsForWavesPerEU: 5
; Occupancy: 16
; WaveLimiterHint : 0
; COMPUTE_PGM_RSRC2:SCRATCH_EN: 0
; COMPUTE_PGM_RSRC2:USER_SGPR: 15
; COMPUTE_PGM_RSRC2:TRAP_HANDLER: 0
; COMPUTE_PGM_RSRC2:TGID_X_EN: 1
; COMPUTE_PGM_RSRC2:TGID_Y_EN: 0
; COMPUTE_PGM_RSRC2:TGID_Z_EN: 0
; COMPUTE_PGM_RSRC2:TIDIG_COMP_CNT: 0
	.section	.text._Z26warp_inclusive_scan_kernelIN10test_utils16custom_test_typeI6__halfEELj32ELj2EENSt9enable_ifIXsr10test_utilsE35device_test_enabled_for_warp_size_vIXT1_EEEvE4typeEPT_S8_,"axG",@progbits,_Z26warp_inclusive_scan_kernelIN10test_utils16custom_test_typeI6__halfEELj32ELj2EENSt9enable_ifIXsr10test_utilsE35device_test_enabled_for_warp_size_vIXT1_EEEvE4typeEPT_S8_,comdat
	.protected	_Z26warp_inclusive_scan_kernelIN10test_utils16custom_test_typeI6__halfEELj32ELj2EENSt9enable_ifIXsr10test_utilsE35device_test_enabled_for_warp_size_vIXT1_EEEvE4typeEPT_S8_ ; -- Begin function _Z26warp_inclusive_scan_kernelIN10test_utils16custom_test_typeI6__halfEELj32ELj2EENSt9enable_ifIXsr10test_utilsE35device_test_enabled_for_warp_size_vIXT1_EEEvE4typeEPT_S8_
	.globl	_Z26warp_inclusive_scan_kernelIN10test_utils16custom_test_typeI6__halfEELj32ELj2EENSt9enable_ifIXsr10test_utilsE35device_test_enabled_for_warp_size_vIXT1_EEEvE4typeEPT_S8_
	.p2align	8
	.type	_Z26warp_inclusive_scan_kernelIN10test_utils16custom_test_typeI6__halfEELj32ELj2EENSt9enable_ifIXsr10test_utilsE35device_test_enabled_for_warp_size_vIXT1_EEEvE4typeEPT_S8_,@function
_Z26warp_inclusive_scan_kernelIN10test_utils16custom_test_typeI6__halfEELj32ELj2EENSt9enable_ifIXsr10test_utilsE35device_test_enabled_for_warp_size_vIXT1_EEEvE4typeEPT_S8_: ; @_Z26warp_inclusive_scan_kernelIN10test_utils16custom_test_typeI6__halfEELj32ELj2EENSt9enable_ifIXsr10test_utilsE35device_test_enabled_for_warp_size_vIXT1_EEEvE4typeEPT_S8_
; %bb.0:
	s_clause 0x1
	s_load_b32 s4, s[0:1], 0x1c
	s_load_b128 s[0:3], s[0:1], 0x0
	s_waitcnt lgkmcnt(0)
	s_and_b32 s4, s4, 0xffff
	s_delay_alu instid0(SALU_CYCLE_1) | instskip(SKIP_1) | instid1(VALU_DEP_1)
	v_mad_u64_u32 v[1:2], null, s15, s4, v[0:1]
	v_mov_b32_e32 v2, 0
	v_lshlrev_b64 v[0:1], 2, v[1:2]
	s_delay_alu instid0(VALU_DEP_1) | instskip(NEXT) | instid1(VALU_DEP_2)
	v_add_co_u32 v2, vcc_lo, s0, v0
	v_add_co_ci_u32_e32 v3, vcc_lo, s1, v1, vcc_lo
	global_load_b32 v2, v[2:3], off
	v_mbcnt_lo_u32_b32 v3, -1, 0
	s_delay_alu instid0(VALU_DEP_1) | instskip(NEXT) | instid1(VALU_DEP_1)
	v_and_b32_e32 v3, 1, v3
	v_cmp_eq_u32_e32 vcc_lo, 0, v3
	s_waitcnt vmcnt(0)
	v_mov_b32_dpp v4, v2 row_shr:1 row_mask:0xf bank_mask:0xf
	s_delay_alu instid0(VALU_DEP_1) | instskip(NEXT) | instid1(VALU_DEP_1)
	v_pk_add_f16 v4, v2, v4
	v_cndmask_b32_e32 v2, v4, v2, vcc_lo
	v_add_co_u32 v0, vcc_lo, s2, v0
	v_add_co_ci_u32_e32 v1, vcc_lo, s3, v1, vcc_lo
	global_store_b32 v[0:1], v2, off
	s_nop 0
	s_sendmsg sendmsg(MSG_DEALLOC_VGPRS)
	s_endpgm
	.section	.rodata,"a",@progbits
	.p2align	6, 0x0
	.amdhsa_kernel _Z26warp_inclusive_scan_kernelIN10test_utils16custom_test_typeI6__halfEELj32ELj2EENSt9enable_ifIXsr10test_utilsE35device_test_enabled_for_warp_size_vIXT1_EEEvE4typeEPT_S8_
		.amdhsa_group_segment_fixed_size 0
		.amdhsa_private_segment_fixed_size 0
		.amdhsa_kernarg_size 272
		.amdhsa_user_sgpr_count 15
		.amdhsa_user_sgpr_dispatch_ptr 0
		.amdhsa_user_sgpr_queue_ptr 0
		.amdhsa_user_sgpr_kernarg_segment_ptr 1
		.amdhsa_user_sgpr_dispatch_id 0
		.amdhsa_user_sgpr_private_segment_size 0
		.amdhsa_wavefront_size32 1
		.amdhsa_uses_dynamic_stack 0
		.amdhsa_enable_private_segment 0
		.amdhsa_system_sgpr_workgroup_id_x 1
		.amdhsa_system_sgpr_workgroup_id_y 0
		.amdhsa_system_sgpr_workgroup_id_z 0
		.amdhsa_system_sgpr_workgroup_info 0
		.amdhsa_system_vgpr_workitem_id 0
		.amdhsa_next_free_vgpr 5
		.amdhsa_next_free_sgpr 16
		.amdhsa_reserve_vcc 1
		.amdhsa_float_round_mode_32 0
		.amdhsa_float_round_mode_16_64 0
		.amdhsa_float_denorm_mode_32 3
		.amdhsa_float_denorm_mode_16_64 3
		.amdhsa_dx10_clamp 1
		.amdhsa_ieee_mode 1
		.amdhsa_fp16_overflow 0
		.amdhsa_workgroup_processor_mode 1
		.amdhsa_memory_ordered 1
		.amdhsa_forward_progress 0
		.amdhsa_shared_vgpr_count 0
		.amdhsa_exception_fp_ieee_invalid_op 0
		.amdhsa_exception_fp_denorm_src 0
		.amdhsa_exception_fp_ieee_div_zero 0
		.amdhsa_exception_fp_ieee_overflow 0
		.amdhsa_exception_fp_ieee_underflow 0
		.amdhsa_exception_fp_ieee_inexact 0
		.amdhsa_exception_int_div_zero 0
	.end_amdhsa_kernel
	.section	.text._Z26warp_inclusive_scan_kernelIN10test_utils16custom_test_typeI6__halfEELj32ELj2EENSt9enable_ifIXsr10test_utilsE35device_test_enabled_for_warp_size_vIXT1_EEEvE4typeEPT_S8_,"axG",@progbits,_Z26warp_inclusive_scan_kernelIN10test_utils16custom_test_typeI6__halfEELj32ELj2EENSt9enable_ifIXsr10test_utilsE35device_test_enabled_for_warp_size_vIXT1_EEEvE4typeEPT_S8_,comdat
.Lfunc_end316:
	.size	_Z26warp_inclusive_scan_kernelIN10test_utils16custom_test_typeI6__halfEELj32ELj2EENSt9enable_ifIXsr10test_utilsE35device_test_enabled_for_warp_size_vIXT1_EEEvE4typeEPT_S8_, .Lfunc_end316-_Z26warp_inclusive_scan_kernelIN10test_utils16custom_test_typeI6__halfEELj32ELj2EENSt9enable_ifIXsr10test_utilsE35device_test_enabled_for_warp_size_vIXT1_EEEvE4typeEPT_S8_
                                        ; -- End function
	.section	.AMDGPU.csdata,"",@progbits
; Kernel info:
; codeLenInByte = 160
; NumSgprs: 18
; NumVgprs: 5
; ScratchSize: 0
; MemoryBound: 0
; FloatMode: 240
; IeeeMode: 1
; LDSByteSize: 0 bytes/workgroup (compile time only)
; SGPRBlocks: 2
; VGPRBlocks: 0
; NumSGPRsForWavesPerEU: 18
; NumVGPRsForWavesPerEU: 5
; Occupancy: 16
; WaveLimiterHint : 0
; COMPUTE_PGM_RSRC2:SCRATCH_EN: 0
; COMPUTE_PGM_RSRC2:USER_SGPR: 15
; COMPUTE_PGM_RSRC2:TRAP_HANDLER: 0
; COMPUTE_PGM_RSRC2:TGID_X_EN: 1
; COMPUTE_PGM_RSRC2:TGID_Y_EN: 0
; COMPUTE_PGM_RSRC2:TGID_Z_EN: 0
; COMPUTE_PGM_RSRC2:TIDIG_COMP_CNT: 0
	.section	.text._Z26warp_inclusive_scan_kernelIN10test_utils16custom_test_typeI6__halfEELj64ELj2EENSt9enable_ifIXsr10test_utilsE35device_test_enabled_for_warp_size_vIXT1_EEEvE4typeEPT_S8_,"axG",@progbits,_Z26warp_inclusive_scan_kernelIN10test_utils16custom_test_typeI6__halfEELj64ELj2EENSt9enable_ifIXsr10test_utilsE35device_test_enabled_for_warp_size_vIXT1_EEEvE4typeEPT_S8_,comdat
	.protected	_Z26warp_inclusive_scan_kernelIN10test_utils16custom_test_typeI6__halfEELj64ELj2EENSt9enable_ifIXsr10test_utilsE35device_test_enabled_for_warp_size_vIXT1_EEEvE4typeEPT_S8_ ; -- Begin function _Z26warp_inclusive_scan_kernelIN10test_utils16custom_test_typeI6__halfEELj64ELj2EENSt9enable_ifIXsr10test_utilsE35device_test_enabled_for_warp_size_vIXT1_EEEvE4typeEPT_S8_
	.globl	_Z26warp_inclusive_scan_kernelIN10test_utils16custom_test_typeI6__halfEELj64ELj2EENSt9enable_ifIXsr10test_utilsE35device_test_enabled_for_warp_size_vIXT1_EEEvE4typeEPT_S8_
	.p2align	8
	.type	_Z26warp_inclusive_scan_kernelIN10test_utils16custom_test_typeI6__halfEELj64ELj2EENSt9enable_ifIXsr10test_utilsE35device_test_enabled_for_warp_size_vIXT1_EEEvE4typeEPT_S8_,@function
_Z26warp_inclusive_scan_kernelIN10test_utils16custom_test_typeI6__halfEELj64ELj2EENSt9enable_ifIXsr10test_utilsE35device_test_enabled_for_warp_size_vIXT1_EEEvE4typeEPT_S8_: ; @_Z26warp_inclusive_scan_kernelIN10test_utils16custom_test_typeI6__halfEELj64ELj2EENSt9enable_ifIXsr10test_utilsE35device_test_enabled_for_warp_size_vIXT1_EEEvE4typeEPT_S8_
; %bb.0:
	s_clause 0x1
	s_load_b32 s4, s[0:1], 0x1c
	s_load_b128 s[0:3], s[0:1], 0x0
	s_waitcnt lgkmcnt(0)
	s_and_b32 s4, s4, 0xffff
	s_delay_alu instid0(SALU_CYCLE_1) | instskip(SKIP_1) | instid1(VALU_DEP_1)
	v_mad_u64_u32 v[1:2], null, s15, s4, v[0:1]
	v_mov_b32_e32 v2, 0
	v_lshlrev_b64 v[0:1], 2, v[1:2]
	s_delay_alu instid0(VALU_DEP_1) | instskip(NEXT) | instid1(VALU_DEP_2)
	v_add_co_u32 v2, vcc_lo, s0, v0
	v_add_co_ci_u32_e32 v3, vcc_lo, s1, v1, vcc_lo
	global_load_b32 v2, v[2:3], off
	v_mbcnt_lo_u32_b32 v3, -1, 0
	s_delay_alu instid0(VALU_DEP_1) | instskip(NEXT) | instid1(VALU_DEP_1)
	v_and_b32_e32 v3, 1, v3
	v_cmp_eq_u32_e32 vcc_lo, 0, v3
	s_waitcnt vmcnt(0)
	v_mov_b32_dpp v4, v2 row_shr:1 row_mask:0xf bank_mask:0xf
	s_delay_alu instid0(VALU_DEP_1) | instskip(NEXT) | instid1(VALU_DEP_1)
	v_pk_add_f16 v4, v2, v4
	v_cndmask_b32_e32 v2, v4, v2, vcc_lo
	v_add_co_u32 v0, vcc_lo, s2, v0
	v_add_co_ci_u32_e32 v1, vcc_lo, s3, v1, vcc_lo
	global_store_b32 v[0:1], v2, off
	s_nop 0
	s_sendmsg sendmsg(MSG_DEALLOC_VGPRS)
	s_endpgm
	.section	.rodata,"a",@progbits
	.p2align	6, 0x0
	.amdhsa_kernel _Z26warp_inclusive_scan_kernelIN10test_utils16custom_test_typeI6__halfEELj64ELj2EENSt9enable_ifIXsr10test_utilsE35device_test_enabled_for_warp_size_vIXT1_EEEvE4typeEPT_S8_
		.amdhsa_group_segment_fixed_size 0
		.amdhsa_private_segment_fixed_size 0
		.amdhsa_kernarg_size 272
		.amdhsa_user_sgpr_count 15
		.amdhsa_user_sgpr_dispatch_ptr 0
		.amdhsa_user_sgpr_queue_ptr 0
		.amdhsa_user_sgpr_kernarg_segment_ptr 1
		.amdhsa_user_sgpr_dispatch_id 0
		.amdhsa_user_sgpr_private_segment_size 0
		.amdhsa_wavefront_size32 1
		.amdhsa_uses_dynamic_stack 0
		.amdhsa_enable_private_segment 0
		.amdhsa_system_sgpr_workgroup_id_x 1
		.amdhsa_system_sgpr_workgroup_id_y 0
		.amdhsa_system_sgpr_workgroup_id_z 0
		.amdhsa_system_sgpr_workgroup_info 0
		.amdhsa_system_vgpr_workitem_id 0
		.amdhsa_next_free_vgpr 5
		.amdhsa_next_free_sgpr 16
		.amdhsa_reserve_vcc 1
		.amdhsa_float_round_mode_32 0
		.amdhsa_float_round_mode_16_64 0
		.amdhsa_float_denorm_mode_32 3
		.amdhsa_float_denorm_mode_16_64 3
		.amdhsa_dx10_clamp 1
		.amdhsa_ieee_mode 1
		.amdhsa_fp16_overflow 0
		.amdhsa_workgroup_processor_mode 1
		.amdhsa_memory_ordered 1
		.amdhsa_forward_progress 0
		.amdhsa_shared_vgpr_count 0
		.amdhsa_exception_fp_ieee_invalid_op 0
		.amdhsa_exception_fp_denorm_src 0
		.amdhsa_exception_fp_ieee_div_zero 0
		.amdhsa_exception_fp_ieee_overflow 0
		.amdhsa_exception_fp_ieee_underflow 0
		.amdhsa_exception_fp_ieee_inexact 0
		.amdhsa_exception_int_div_zero 0
	.end_amdhsa_kernel
	.section	.text._Z26warp_inclusive_scan_kernelIN10test_utils16custom_test_typeI6__halfEELj64ELj2EENSt9enable_ifIXsr10test_utilsE35device_test_enabled_for_warp_size_vIXT1_EEEvE4typeEPT_S8_,"axG",@progbits,_Z26warp_inclusive_scan_kernelIN10test_utils16custom_test_typeI6__halfEELj64ELj2EENSt9enable_ifIXsr10test_utilsE35device_test_enabled_for_warp_size_vIXT1_EEEvE4typeEPT_S8_,comdat
.Lfunc_end317:
	.size	_Z26warp_inclusive_scan_kernelIN10test_utils16custom_test_typeI6__halfEELj64ELj2EENSt9enable_ifIXsr10test_utilsE35device_test_enabled_for_warp_size_vIXT1_EEEvE4typeEPT_S8_, .Lfunc_end317-_Z26warp_inclusive_scan_kernelIN10test_utils16custom_test_typeI6__halfEELj64ELj2EENSt9enable_ifIXsr10test_utilsE35device_test_enabled_for_warp_size_vIXT1_EEEvE4typeEPT_S8_
                                        ; -- End function
	.section	.AMDGPU.csdata,"",@progbits
; Kernel info:
; codeLenInByte = 160
; NumSgprs: 18
; NumVgprs: 5
; ScratchSize: 0
; MemoryBound: 0
; FloatMode: 240
; IeeeMode: 1
; LDSByteSize: 0 bytes/workgroup (compile time only)
; SGPRBlocks: 2
; VGPRBlocks: 0
; NumSGPRsForWavesPerEU: 18
; NumVGPRsForWavesPerEU: 5
; Occupancy: 16
; WaveLimiterHint : 0
; COMPUTE_PGM_RSRC2:SCRATCH_EN: 0
; COMPUTE_PGM_RSRC2:USER_SGPR: 15
; COMPUTE_PGM_RSRC2:TRAP_HANDLER: 0
; COMPUTE_PGM_RSRC2:TGID_X_EN: 1
; COMPUTE_PGM_RSRC2:TGID_Y_EN: 0
; COMPUTE_PGM_RSRC2:TGID_Z_EN: 0
; COMPUTE_PGM_RSRC2:TIDIG_COMP_CNT: 0
	.section	.text._Z26warp_inclusive_scan_kernelIN10test_utils16custom_test_typeIfEELj256ELj64EENSt9enable_ifIXntsr10test_utilsE35device_test_enabled_for_warp_size_vIXT1_EEEvE4typeEPT_S7_,"axG",@progbits,_Z26warp_inclusive_scan_kernelIN10test_utils16custom_test_typeIfEELj256ELj64EENSt9enable_ifIXntsr10test_utilsE35device_test_enabled_for_warp_size_vIXT1_EEEvE4typeEPT_S7_,comdat
	.protected	_Z26warp_inclusive_scan_kernelIN10test_utils16custom_test_typeIfEELj256ELj64EENSt9enable_ifIXntsr10test_utilsE35device_test_enabled_for_warp_size_vIXT1_EEEvE4typeEPT_S7_ ; -- Begin function _Z26warp_inclusive_scan_kernelIN10test_utils16custom_test_typeIfEELj256ELj64EENSt9enable_ifIXntsr10test_utilsE35device_test_enabled_for_warp_size_vIXT1_EEEvE4typeEPT_S7_
	.globl	_Z26warp_inclusive_scan_kernelIN10test_utils16custom_test_typeIfEELj256ELj64EENSt9enable_ifIXntsr10test_utilsE35device_test_enabled_for_warp_size_vIXT1_EEEvE4typeEPT_S7_
	.p2align	8
	.type	_Z26warp_inclusive_scan_kernelIN10test_utils16custom_test_typeIfEELj256ELj64EENSt9enable_ifIXntsr10test_utilsE35device_test_enabled_for_warp_size_vIXT1_EEEvE4typeEPT_S7_,@function
_Z26warp_inclusive_scan_kernelIN10test_utils16custom_test_typeIfEELj256ELj64EENSt9enable_ifIXntsr10test_utilsE35device_test_enabled_for_warp_size_vIXT1_EEEvE4typeEPT_S7_: ; @_Z26warp_inclusive_scan_kernelIN10test_utils16custom_test_typeIfEELj256ELj64EENSt9enable_ifIXntsr10test_utilsE35device_test_enabled_for_warp_size_vIXT1_EEEvE4typeEPT_S7_
; %bb.0:
	s_endpgm
	.section	.rodata,"a",@progbits
	.p2align	6, 0x0
	.amdhsa_kernel _Z26warp_inclusive_scan_kernelIN10test_utils16custom_test_typeIfEELj256ELj64EENSt9enable_ifIXntsr10test_utilsE35device_test_enabled_for_warp_size_vIXT1_EEEvE4typeEPT_S7_
		.amdhsa_group_segment_fixed_size 0
		.amdhsa_private_segment_fixed_size 0
		.amdhsa_kernarg_size 16
		.amdhsa_user_sgpr_count 15
		.amdhsa_user_sgpr_dispatch_ptr 0
		.amdhsa_user_sgpr_queue_ptr 0
		.amdhsa_user_sgpr_kernarg_segment_ptr 1
		.amdhsa_user_sgpr_dispatch_id 0
		.amdhsa_user_sgpr_private_segment_size 0
		.amdhsa_wavefront_size32 1
		.amdhsa_uses_dynamic_stack 0
		.amdhsa_enable_private_segment 0
		.amdhsa_system_sgpr_workgroup_id_x 1
		.amdhsa_system_sgpr_workgroup_id_y 0
		.amdhsa_system_sgpr_workgroup_id_z 0
		.amdhsa_system_sgpr_workgroup_info 0
		.amdhsa_system_vgpr_workitem_id 0
		.amdhsa_next_free_vgpr 1
		.amdhsa_next_free_sgpr 1
		.amdhsa_reserve_vcc 0
		.amdhsa_float_round_mode_32 0
		.amdhsa_float_round_mode_16_64 0
		.amdhsa_float_denorm_mode_32 3
		.amdhsa_float_denorm_mode_16_64 3
		.amdhsa_dx10_clamp 1
		.amdhsa_ieee_mode 1
		.amdhsa_fp16_overflow 0
		.amdhsa_workgroup_processor_mode 1
		.amdhsa_memory_ordered 1
		.amdhsa_forward_progress 0
		.amdhsa_shared_vgpr_count 0
		.amdhsa_exception_fp_ieee_invalid_op 0
		.amdhsa_exception_fp_denorm_src 0
		.amdhsa_exception_fp_ieee_div_zero 0
		.amdhsa_exception_fp_ieee_overflow 0
		.amdhsa_exception_fp_ieee_underflow 0
		.amdhsa_exception_fp_ieee_inexact 0
		.amdhsa_exception_int_div_zero 0
	.end_amdhsa_kernel
	.section	.text._Z26warp_inclusive_scan_kernelIN10test_utils16custom_test_typeIfEELj256ELj64EENSt9enable_ifIXntsr10test_utilsE35device_test_enabled_for_warp_size_vIXT1_EEEvE4typeEPT_S7_,"axG",@progbits,_Z26warp_inclusive_scan_kernelIN10test_utils16custom_test_typeIfEELj256ELj64EENSt9enable_ifIXntsr10test_utilsE35device_test_enabled_for_warp_size_vIXT1_EEEvE4typeEPT_S7_,comdat
.Lfunc_end318:
	.size	_Z26warp_inclusive_scan_kernelIN10test_utils16custom_test_typeIfEELj256ELj64EENSt9enable_ifIXntsr10test_utilsE35device_test_enabled_for_warp_size_vIXT1_EEEvE4typeEPT_S7_, .Lfunc_end318-_Z26warp_inclusive_scan_kernelIN10test_utils16custom_test_typeIfEELj256ELj64EENSt9enable_ifIXntsr10test_utilsE35device_test_enabled_for_warp_size_vIXT1_EEEvE4typeEPT_S7_
                                        ; -- End function
	.section	.AMDGPU.csdata,"",@progbits
; Kernel info:
; codeLenInByte = 4
; NumSgprs: 0
; NumVgprs: 0
; ScratchSize: 0
; MemoryBound: 0
; FloatMode: 240
; IeeeMode: 1
; LDSByteSize: 0 bytes/workgroup (compile time only)
; SGPRBlocks: 0
; VGPRBlocks: 0
; NumSGPRsForWavesPerEU: 1
; NumVGPRsForWavesPerEU: 1
; Occupancy: 16
; WaveLimiterHint : 0
; COMPUTE_PGM_RSRC2:SCRATCH_EN: 0
; COMPUTE_PGM_RSRC2:USER_SGPR: 15
; COMPUTE_PGM_RSRC2:TRAP_HANDLER: 0
; COMPUTE_PGM_RSRC2:TGID_X_EN: 1
; COMPUTE_PGM_RSRC2:TGID_Y_EN: 0
; COMPUTE_PGM_RSRC2:TGID_Z_EN: 0
; COMPUTE_PGM_RSRC2:TIDIG_COMP_CNT: 0
	.section	.text._Z26warp_inclusive_scan_kernelIN10test_utils16custom_test_typeIfEELj128ELj32EENSt9enable_ifIXsr10test_utilsE35device_test_enabled_for_warp_size_vIXT1_EEEvE4typeEPT_S7_,"axG",@progbits,_Z26warp_inclusive_scan_kernelIN10test_utils16custom_test_typeIfEELj128ELj32EENSt9enable_ifIXsr10test_utilsE35device_test_enabled_for_warp_size_vIXT1_EEEvE4typeEPT_S7_,comdat
	.protected	_Z26warp_inclusive_scan_kernelIN10test_utils16custom_test_typeIfEELj128ELj32EENSt9enable_ifIXsr10test_utilsE35device_test_enabled_for_warp_size_vIXT1_EEEvE4typeEPT_S7_ ; -- Begin function _Z26warp_inclusive_scan_kernelIN10test_utils16custom_test_typeIfEELj128ELj32EENSt9enable_ifIXsr10test_utilsE35device_test_enabled_for_warp_size_vIXT1_EEEvE4typeEPT_S7_
	.globl	_Z26warp_inclusive_scan_kernelIN10test_utils16custom_test_typeIfEELj128ELj32EENSt9enable_ifIXsr10test_utilsE35device_test_enabled_for_warp_size_vIXT1_EEEvE4typeEPT_S7_
	.p2align	8
	.type	_Z26warp_inclusive_scan_kernelIN10test_utils16custom_test_typeIfEELj128ELj32EENSt9enable_ifIXsr10test_utilsE35device_test_enabled_for_warp_size_vIXT1_EEEvE4typeEPT_S7_,@function
_Z26warp_inclusive_scan_kernelIN10test_utils16custom_test_typeIfEELj128ELj32EENSt9enable_ifIXsr10test_utilsE35device_test_enabled_for_warp_size_vIXT1_EEEvE4typeEPT_S7_: ; @_Z26warp_inclusive_scan_kernelIN10test_utils16custom_test_typeIfEELj128ELj32EENSt9enable_ifIXsr10test_utilsE35device_test_enabled_for_warp_size_vIXT1_EEEvE4typeEPT_S7_
; %bb.0:
	s_clause 0x1
	s_load_b32 s4, s[0:1], 0x1c
	s_load_b128 s[0:3], s[0:1], 0x0
	v_mbcnt_lo_u32_b32 v4, -1, 0
	s_delay_alu instid0(VALU_DEP_1) | instskip(SKIP_2) | instid1(SALU_CYCLE_1)
	v_and_b32_e32 v5, 15, v4
	s_waitcnt lgkmcnt(0)
	s_and_b32 s4, s4, 0xffff
	v_mad_u64_u32 v[1:2], null, s15, s4, v[0:1]
	v_mov_b32_e32 v2, 0
	s_delay_alu instid0(VALU_DEP_1) | instskip(NEXT) | instid1(VALU_DEP_1)
	v_lshlrev_b64 v[0:1], 3, v[1:2]
	v_add_co_u32 v2, vcc_lo, s0, v0
	s_delay_alu instid0(VALU_DEP_2)
	v_add_co_ci_u32_e32 v3, vcc_lo, s1, v1, vcc_lo
	s_mov_b32 s0, exec_lo
	global_load_b64 v[2:3], v[2:3], off
	s_waitcnt vmcnt(0)
	v_mov_b32_dpp v6, v2 row_shr:1 row_mask:0xf bank_mask:0xf
	v_mov_b32_dpp v7, v3 row_shr:1 row_mask:0xf bank_mask:0xf
	v_cmpx_ne_u32_e32 0, v5
; %bb.1:
	s_delay_alu instid0(VALU_DEP_2)
	v_dual_add_f32 v3, v3, v7 :: v_dual_add_f32 v2, v2, v6
; %bb.2:
	s_or_b32 exec_lo, exec_lo, s0
	s_delay_alu instid0(VALU_DEP_1) | instskip(NEXT) | instid1(VALU_DEP_2)
	v_mov_b32_dpp v6, v2 row_shr:2 row_mask:0xf bank_mask:0xf
	v_mov_b32_dpp v7, v3 row_shr:2 row_mask:0xf bank_mask:0xf
	s_mov_b32 s0, exec_lo
	v_cmpx_lt_u32_e32 1, v5
; %bb.3:
	s_delay_alu instid0(VALU_DEP_2)
	v_dual_add_f32 v3, v3, v7 :: v_dual_add_f32 v2, v2, v6
; %bb.4:
	s_or_b32 exec_lo, exec_lo, s0
	s_delay_alu instid0(VALU_DEP_1) | instskip(NEXT) | instid1(VALU_DEP_2)
	v_mov_b32_dpp v6, v2 row_shr:4 row_mask:0xf bank_mask:0xf
	v_mov_b32_dpp v7, v3 row_shr:4 row_mask:0xf bank_mask:0xf
	s_mov_b32 s0, exec_lo
	v_cmpx_lt_u32_e32 3, v5
	;; [unrolled: 10-line block ×3, first 2 shown]
; %bb.7:
	s_delay_alu instid0(VALU_DEP_2)
	v_dual_add_f32 v3, v3, v7 :: v_dual_add_f32 v2, v2, v6
; %bb.8:
	s_or_b32 exec_lo, exec_lo, s0
	ds_swizzle_b32 v5, v2 offset:swizzle(BROADCAST,32,15)
	ds_swizzle_b32 v6, v3 offset:swizzle(BROADCAST,32,15)
	s_waitcnt lgkmcnt(1)
	v_dual_add_f32 v5, v2, v5 :: v_dual_and_b32 v4, 16, v4
	s_waitcnt lgkmcnt(0)
	v_add_f32_e32 v6, v3, v6
	s_delay_alu instid0(VALU_DEP_2) | instskip(NEXT) | instid1(VALU_DEP_2)
	v_cmp_eq_u32_e32 vcc_lo, 0, v4
	v_dual_cndmask_b32 v2, v5, v2 :: v_dual_cndmask_b32 v3, v6, v3
	v_add_co_u32 v0, vcc_lo, s2, v0
	v_add_co_ci_u32_e32 v1, vcc_lo, s3, v1, vcc_lo
	global_store_b64 v[0:1], v[2:3], off
	s_nop 0
	s_sendmsg sendmsg(MSG_DEALLOC_VGPRS)
	s_endpgm
	.section	.rodata,"a",@progbits
	.p2align	6, 0x0
	.amdhsa_kernel _Z26warp_inclusive_scan_kernelIN10test_utils16custom_test_typeIfEELj128ELj32EENSt9enable_ifIXsr10test_utilsE35device_test_enabled_for_warp_size_vIXT1_EEEvE4typeEPT_S7_
		.amdhsa_group_segment_fixed_size 0
		.amdhsa_private_segment_fixed_size 0
		.amdhsa_kernarg_size 272
		.amdhsa_user_sgpr_count 15
		.amdhsa_user_sgpr_dispatch_ptr 0
		.amdhsa_user_sgpr_queue_ptr 0
		.amdhsa_user_sgpr_kernarg_segment_ptr 1
		.amdhsa_user_sgpr_dispatch_id 0
		.amdhsa_user_sgpr_private_segment_size 0
		.amdhsa_wavefront_size32 1
		.amdhsa_uses_dynamic_stack 0
		.amdhsa_enable_private_segment 0
		.amdhsa_system_sgpr_workgroup_id_x 1
		.amdhsa_system_sgpr_workgroup_id_y 0
		.amdhsa_system_sgpr_workgroup_id_z 0
		.amdhsa_system_sgpr_workgroup_info 0
		.amdhsa_system_vgpr_workitem_id 0
		.amdhsa_next_free_vgpr 8
		.amdhsa_next_free_sgpr 16
		.amdhsa_reserve_vcc 1
		.amdhsa_float_round_mode_32 0
		.amdhsa_float_round_mode_16_64 0
		.amdhsa_float_denorm_mode_32 3
		.amdhsa_float_denorm_mode_16_64 3
		.amdhsa_dx10_clamp 1
		.amdhsa_ieee_mode 1
		.amdhsa_fp16_overflow 0
		.amdhsa_workgroup_processor_mode 1
		.amdhsa_memory_ordered 1
		.amdhsa_forward_progress 0
		.amdhsa_shared_vgpr_count 0
		.amdhsa_exception_fp_ieee_invalid_op 0
		.amdhsa_exception_fp_denorm_src 0
		.amdhsa_exception_fp_ieee_div_zero 0
		.amdhsa_exception_fp_ieee_overflow 0
		.amdhsa_exception_fp_ieee_underflow 0
		.amdhsa_exception_fp_ieee_inexact 0
		.amdhsa_exception_int_div_zero 0
	.end_amdhsa_kernel
	.section	.text._Z26warp_inclusive_scan_kernelIN10test_utils16custom_test_typeIfEELj128ELj32EENSt9enable_ifIXsr10test_utilsE35device_test_enabled_for_warp_size_vIXT1_EEEvE4typeEPT_S7_,"axG",@progbits,_Z26warp_inclusive_scan_kernelIN10test_utils16custom_test_typeIfEELj128ELj32EENSt9enable_ifIXsr10test_utilsE35device_test_enabled_for_warp_size_vIXT1_EEEvE4typeEPT_S7_,comdat
.Lfunc_end319:
	.size	_Z26warp_inclusive_scan_kernelIN10test_utils16custom_test_typeIfEELj128ELj32EENSt9enable_ifIXsr10test_utilsE35device_test_enabled_for_warp_size_vIXT1_EEEvE4typeEPT_S7_, .Lfunc_end319-_Z26warp_inclusive_scan_kernelIN10test_utils16custom_test_typeIfEELj128ELj32EENSt9enable_ifIXsr10test_utilsE35device_test_enabled_for_warp_size_vIXT1_EEEvE4typeEPT_S7_
                                        ; -- End function
	.section	.AMDGPU.csdata,"",@progbits
; Kernel info:
; codeLenInByte = 356
; NumSgprs: 18
; NumVgprs: 8
; ScratchSize: 0
; MemoryBound: 0
; FloatMode: 240
; IeeeMode: 1
; LDSByteSize: 0 bytes/workgroup (compile time only)
; SGPRBlocks: 2
; VGPRBlocks: 0
; NumSGPRsForWavesPerEU: 18
; NumVGPRsForWavesPerEU: 8
; Occupancy: 16
; WaveLimiterHint : 0
; COMPUTE_PGM_RSRC2:SCRATCH_EN: 0
; COMPUTE_PGM_RSRC2:USER_SGPR: 15
; COMPUTE_PGM_RSRC2:TRAP_HANDLER: 0
; COMPUTE_PGM_RSRC2:TGID_X_EN: 1
; COMPUTE_PGM_RSRC2:TGID_Y_EN: 0
; COMPUTE_PGM_RSRC2:TGID_Z_EN: 0
; COMPUTE_PGM_RSRC2:TIDIG_COMP_CNT: 0
	.section	.text._Z26warp_inclusive_scan_kernelIN10test_utils16custom_test_typeIfEELj64ELj16EENSt9enable_ifIXsr10test_utilsE35device_test_enabled_for_warp_size_vIXT1_EEEvE4typeEPT_S7_,"axG",@progbits,_Z26warp_inclusive_scan_kernelIN10test_utils16custom_test_typeIfEELj64ELj16EENSt9enable_ifIXsr10test_utilsE35device_test_enabled_for_warp_size_vIXT1_EEEvE4typeEPT_S7_,comdat
	.protected	_Z26warp_inclusive_scan_kernelIN10test_utils16custom_test_typeIfEELj64ELj16EENSt9enable_ifIXsr10test_utilsE35device_test_enabled_for_warp_size_vIXT1_EEEvE4typeEPT_S7_ ; -- Begin function _Z26warp_inclusive_scan_kernelIN10test_utils16custom_test_typeIfEELj64ELj16EENSt9enable_ifIXsr10test_utilsE35device_test_enabled_for_warp_size_vIXT1_EEEvE4typeEPT_S7_
	.globl	_Z26warp_inclusive_scan_kernelIN10test_utils16custom_test_typeIfEELj64ELj16EENSt9enable_ifIXsr10test_utilsE35device_test_enabled_for_warp_size_vIXT1_EEEvE4typeEPT_S7_
	.p2align	8
	.type	_Z26warp_inclusive_scan_kernelIN10test_utils16custom_test_typeIfEELj64ELj16EENSt9enable_ifIXsr10test_utilsE35device_test_enabled_for_warp_size_vIXT1_EEEvE4typeEPT_S7_,@function
_Z26warp_inclusive_scan_kernelIN10test_utils16custom_test_typeIfEELj64ELj16EENSt9enable_ifIXsr10test_utilsE35device_test_enabled_for_warp_size_vIXT1_EEEvE4typeEPT_S7_: ; @_Z26warp_inclusive_scan_kernelIN10test_utils16custom_test_typeIfEELj64ELj16EENSt9enable_ifIXsr10test_utilsE35device_test_enabled_for_warp_size_vIXT1_EEEvE4typeEPT_S7_
; %bb.0:
	s_clause 0x1
	s_load_b32 s4, s[0:1], 0x1c
	s_load_b128 s[0:3], s[0:1], 0x0
	v_mbcnt_lo_u32_b32 v4, -1, 0
	s_delay_alu instid0(VALU_DEP_1) | instskip(SKIP_2) | instid1(SALU_CYCLE_1)
	v_and_b32_e32 v4, 15, v4
	s_waitcnt lgkmcnt(0)
	s_and_b32 s4, s4, 0xffff
	v_mad_u64_u32 v[1:2], null, s15, s4, v[0:1]
	v_mov_b32_e32 v2, 0
	s_delay_alu instid0(VALU_DEP_1) | instskip(NEXT) | instid1(VALU_DEP_1)
	v_lshlrev_b64 v[0:1], 3, v[1:2]
	v_add_co_u32 v2, vcc_lo, s0, v0
	s_delay_alu instid0(VALU_DEP_2)
	v_add_co_ci_u32_e32 v3, vcc_lo, s1, v1, vcc_lo
	s_mov_b32 s0, exec_lo
	global_load_b64 v[2:3], v[2:3], off
	s_waitcnt vmcnt(0)
	v_mov_b32_dpp v5, v2 row_shr:1 row_mask:0xf bank_mask:0xf
	v_mov_b32_dpp v6, v3 row_shr:1 row_mask:0xf bank_mask:0xf
	v_cmpx_ne_u32_e32 0, v4
; %bb.1:
	s_delay_alu instid0(VALU_DEP_2)
	v_dual_add_f32 v3, v3, v6 :: v_dual_add_f32 v2, v2, v5
; %bb.2:
	s_or_b32 exec_lo, exec_lo, s0
	s_delay_alu instid0(VALU_DEP_1) | instskip(NEXT) | instid1(VALU_DEP_2)
	v_mov_b32_dpp v5, v2 row_shr:2 row_mask:0xf bank_mask:0xf
	v_mov_b32_dpp v6, v3 row_shr:2 row_mask:0xf bank_mask:0xf
	s_mov_b32 s0, exec_lo
	v_cmpx_lt_u32_e32 1, v4
; %bb.3:
	s_delay_alu instid0(VALU_DEP_2)
	v_dual_add_f32 v3, v3, v6 :: v_dual_add_f32 v2, v2, v5
; %bb.4:
	s_or_b32 exec_lo, exec_lo, s0
	s_delay_alu instid0(VALU_DEP_1) | instskip(NEXT) | instid1(VALU_DEP_2)
	v_mov_b32_dpp v5, v2 row_shr:4 row_mask:0xf bank_mask:0xf
	v_mov_b32_dpp v6, v3 row_shr:4 row_mask:0xf bank_mask:0xf
	s_mov_b32 s0, exec_lo
	v_cmpx_lt_u32_e32 3, v4
; %bb.5:
	s_delay_alu instid0(VALU_DEP_2)
	v_dual_add_f32 v3, v3, v6 :: v_dual_add_f32 v2, v2, v5
; %bb.6:
	s_or_b32 exec_lo, exec_lo, s0
	s_delay_alu instid0(VALU_DEP_1) | instskip(NEXT) | instid1(VALU_DEP_2)
	v_mov_b32_dpp v5, v2 row_shr:8 row_mask:0xf bank_mask:0xf
	v_mov_b32_dpp v6, v3 row_shr:8 row_mask:0xf bank_mask:0xf
	v_cmp_lt_u32_e32 vcc_lo, 7, v4
	s_delay_alu instid0(VALU_DEP_2) | instskip(NEXT) | instid1(VALU_DEP_1)
	v_dual_add_f32 v5, v2, v5 :: v_dual_add_f32 v6, v3, v6
	v_dual_cndmask_b32 v2, v2, v5 :: v_dual_cndmask_b32 v3, v3, v6
	v_add_co_u32 v0, vcc_lo, s2, v0
	v_add_co_ci_u32_e32 v1, vcc_lo, s3, v1, vcc_lo
	global_store_b64 v[0:1], v[2:3], off
	s_nop 0
	s_sendmsg sendmsg(MSG_DEALLOC_VGPRS)
	s_endpgm
	.section	.rodata,"a",@progbits
	.p2align	6, 0x0
	.amdhsa_kernel _Z26warp_inclusive_scan_kernelIN10test_utils16custom_test_typeIfEELj64ELj16EENSt9enable_ifIXsr10test_utilsE35device_test_enabled_for_warp_size_vIXT1_EEEvE4typeEPT_S7_
		.amdhsa_group_segment_fixed_size 0
		.amdhsa_private_segment_fixed_size 0
		.amdhsa_kernarg_size 272
		.amdhsa_user_sgpr_count 15
		.amdhsa_user_sgpr_dispatch_ptr 0
		.amdhsa_user_sgpr_queue_ptr 0
		.amdhsa_user_sgpr_kernarg_segment_ptr 1
		.amdhsa_user_sgpr_dispatch_id 0
		.amdhsa_user_sgpr_private_segment_size 0
		.amdhsa_wavefront_size32 1
		.amdhsa_uses_dynamic_stack 0
		.amdhsa_enable_private_segment 0
		.amdhsa_system_sgpr_workgroup_id_x 1
		.amdhsa_system_sgpr_workgroup_id_y 0
		.amdhsa_system_sgpr_workgroup_id_z 0
		.amdhsa_system_sgpr_workgroup_info 0
		.amdhsa_system_vgpr_workitem_id 0
		.amdhsa_next_free_vgpr 7
		.amdhsa_next_free_sgpr 16
		.amdhsa_reserve_vcc 1
		.amdhsa_float_round_mode_32 0
		.amdhsa_float_round_mode_16_64 0
		.amdhsa_float_denorm_mode_32 3
		.amdhsa_float_denorm_mode_16_64 3
		.amdhsa_dx10_clamp 1
		.amdhsa_ieee_mode 1
		.amdhsa_fp16_overflow 0
		.amdhsa_workgroup_processor_mode 1
		.amdhsa_memory_ordered 1
		.amdhsa_forward_progress 0
		.amdhsa_shared_vgpr_count 0
		.amdhsa_exception_fp_ieee_invalid_op 0
		.amdhsa_exception_fp_denorm_src 0
		.amdhsa_exception_fp_ieee_div_zero 0
		.amdhsa_exception_fp_ieee_overflow 0
		.amdhsa_exception_fp_ieee_underflow 0
		.amdhsa_exception_fp_ieee_inexact 0
		.amdhsa_exception_int_div_zero 0
	.end_amdhsa_kernel
	.section	.text._Z26warp_inclusive_scan_kernelIN10test_utils16custom_test_typeIfEELj64ELj16EENSt9enable_ifIXsr10test_utilsE35device_test_enabled_for_warp_size_vIXT1_EEEvE4typeEPT_S7_,"axG",@progbits,_Z26warp_inclusive_scan_kernelIN10test_utils16custom_test_typeIfEELj64ELj16EENSt9enable_ifIXsr10test_utilsE35device_test_enabled_for_warp_size_vIXT1_EEEvE4typeEPT_S7_,comdat
.Lfunc_end320:
	.size	_Z26warp_inclusive_scan_kernelIN10test_utils16custom_test_typeIfEELj64ELj16EENSt9enable_ifIXsr10test_utilsE35device_test_enabled_for_warp_size_vIXT1_EEEvE4typeEPT_S7_, .Lfunc_end320-_Z26warp_inclusive_scan_kernelIN10test_utils16custom_test_typeIfEELj64ELj16EENSt9enable_ifIXsr10test_utilsE35device_test_enabled_for_warp_size_vIXT1_EEEvE4typeEPT_S7_
                                        ; -- End function
	.section	.AMDGPU.csdata,"",@progbits
; Kernel info:
; codeLenInByte = 304
; NumSgprs: 18
; NumVgprs: 7
; ScratchSize: 0
; MemoryBound: 0
; FloatMode: 240
; IeeeMode: 1
; LDSByteSize: 0 bytes/workgroup (compile time only)
; SGPRBlocks: 2
; VGPRBlocks: 0
; NumSGPRsForWavesPerEU: 18
; NumVGPRsForWavesPerEU: 7
; Occupancy: 16
; WaveLimiterHint : 0
; COMPUTE_PGM_RSRC2:SCRATCH_EN: 0
; COMPUTE_PGM_RSRC2:USER_SGPR: 15
; COMPUTE_PGM_RSRC2:TRAP_HANDLER: 0
; COMPUTE_PGM_RSRC2:TGID_X_EN: 1
; COMPUTE_PGM_RSRC2:TGID_Y_EN: 0
; COMPUTE_PGM_RSRC2:TGID_Z_EN: 0
; COMPUTE_PGM_RSRC2:TIDIG_COMP_CNT: 0
	.section	.text._Z26warp_inclusive_scan_kernelIN10test_utils16custom_test_typeIfEELj32ELj8EENSt9enable_ifIXsr10test_utilsE35device_test_enabled_for_warp_size_vIXT1_EEEvE4typeEPT_S7_,"axG",@progbits,_Z26warp_inclusive_scan_kernelIN10test_utils16custom_test_typeIfEELj32ELj8EENSt9enable_ifIXsr10test_utilsE35device_test_enabled_for_warp_size_vIXT1_EEEvE4typeEPT_S7_,comdat
	.protected	_Z26warp_inclusive_scan_kernelIN10test_utils16custom_test_typeIfEELj32ELj8EENSt9enable_ifIXsr10test_utilsE35device_test_enabled_for_warp_size_vIXT1_EEEvE4typeEPT_S7_ ; -- Begin function _Z26warp_inclusive_scan_kernelIN10test_utils16custom_test_typeIfEELj32ELj8EENSt9enable_ifIXsr10test_utilsE35device_test_enabled_for_warp_size_vIXT1_EEEvE4typeEPT_S7_
	.globl	_Z26warp_inclusive_scan_kernelIN10test_utils16custom_test_typeIfEELj32ELj8EENSt9enable_ifIXsr10test_utilsE35device_test_enabled_for_warp_size_vIXT1_EEEvE4typeEPT_S7_
	.p2align	8
	.type	_Z26warp_inclusive_scan_kernelIN10test_utils16custom_test_typeIfEELj32ELj8EENSt9enable_ifIXsr10test_utilsE35device_test_enabled_for_warp_size_vIXT1_EEEvE4typeEPT_S7_,@function
_Z26warp_inclusive_scan_kernelIN10test_utils16custom_test_typeIfEELj32ELj8EENSt9enable_ifIXsr10test_utilsE35device_test_enabled_for_warp_size_vIXT1_EEEvE4typeEPT_S7_: ; @_Z26warp_inclusive_scan_kernelIN10test_utils16custom_test_typeIfEELj32ELj8EENSt9enable_ifIXsr10test_utilsE35device_test_enabled_for_warp_size_vIXT1_EEEvE4typeEPT_S7_
; %bb.0:
	s_clause 0x1
	s_load_b32 s4, s[0:1], 0x1c
	s_load_b128 s[0:3], s[0:1], 0x0
	v_mbcnt_lo_u32_b32 v4, -1, 0
	s_delay_alu instid0(VALU_DEP_1) | instskip(SKIP_2) | instid1(SALU_CYCLE_1)
	v_and_b32_e32 v4, 7, v4
	s_waitcnt lgkmcnt(0)
	s_and_b32 s4, s4, 0xffff
	v_mad_u64_u32 v[1:2], null, s15, s4, v[0:1]
	v_mov_b32_e32 v2, 0
	s_delay_alu instid0(VALU_DEP_1) | instskip(NEXT) | instid1(VALU_DEP_1)
	v_lshlrev_b64 v[0:1], 3, v[1:2]
	v_add_co_u32 v2, vcc_lo, s0, v0
	s_delay_alu instid0(VALU_DEP_2)
	v_add_co_ci_u32_e32 v3, vcc_lo, s1, v1, vcc_lo
	s_mov_b32 s0, exec_lo
	global_load_b64 v[2:3], v[2:3], off
	s_waitcnt vmcnt(0)
	v_mov_b32_dpp v5, v2 row_shr:1 row_mask:0xf bank_mask:0xf
	v_mov_b32_dpp v6, v3 row_shr:1 row_mask:0xf bank_mask:0xf
	v_cmpx_ne_u32_e32 0, v4
; %bb.1:
	s_delay_alu instid0(VALU_DEP_2)
	v_dual_add_f32 v3, v3, v6 :: v_dual_add_f32 v2, v2, v5
; %bb.2:
	s_or_b32 exec_lo, exec_lo, s0
	s_delay_alu instid0(VALU_DEP_1) | instskip(NEXT) | instid1(VALU_DEP_2)
	v_mov_b32_dpp v5, v2 row_shr:2 row_mask:0xf bank_mask:0xf
	v_mov_b32_dpp v6, v3 row_shr:2 row_mask:0xf bank_mask:0xf
	s_mov_b32 s0, exec_lo
	v_cmpx_lt_u32_e32 1, v4
; %bb.3:
	s_delay_alu instid0(VALU_DEP_2)
	v_dual_add_f32 v3, v3, v6 :: v_dual_add_f32 v2, v2, v5
; %bb.4:
	s_or_b32 exec_lo, exec_lo, s0
	s_delay_alu instid0(VALU_DEP_1) | instskip(NEXT) | instid1(VALU_DEP_2)
	v_mov_b32_dpp v5, v2 row_shr:4 row_mask:0xf bank_mask:0xf
	v_mov_b32_dpp v6, v3 row_shr:4 row_mask:0xf bank_mask:0xf
	v_cmp_lt_u32_e32 vcc_lo, 3, v4
	s_delay_alu instid0(VALU_DEP_2) | instskip(NEXT) | instid1(VALU_DEP_1)
	v_dual_add_f32 v5, v2, v5 :: v_dual_add_f32 v6, v3, v6
	v_dual_cndmask_b32 v2, v2, v5 :: v_dual_cndmask_b32 v3, v3, v6
	v_add_co_u32 v0, vcc_lo, s2, v0
	v_add_co_ci_u32_e32 v1, vcc_lo, s3, v1, vcc_lo
	global_store_b64 v[0:1], v[2:3], off
	s_nop 0
	s_sendmsg sendmsg(MSG_DEALLOC_VGPRS)
	s_endpgm
	.section	.rodata,"a",@progbits
	.p2align	6, 0x0
	.amdhsa_kernel _Z26warp_inclusive_scan_kernelIN10test_utils16custom_test_typeIfEELj32ELj8EENSt9enable_ifIXsr10test_utilsE35device_test_enabled_for_warp_size_vIXT1_EEEvE4typeEPT_S7_
		.amdhsa_group_segment_fixed_size 0
		.amdhsa_private_segment_fixed_size 0
		.amdhsa_kernarg_size 272
		.amdhsa_user_sgpr_count 15
		.amdhsa_user_sgpr_dispatch_ptr 0
		.amdhsa_user_sgpr_queue_ptr 0
		.amdhsa_user_sgpr_kernarg_segment_ptr 1
		.amdhsa_user_sgpr_dispatch_id 0
		.amdhsa_user_sgpr_private_segment_size 0
		.amdhsa_wavefront_size32 1
		.amdhsa_uses_dynamic_stack 0
		.amdhsa_enable_private_segment 0
		.amdhsa_system_sgpr_workgroup_id_x 1
		.amdhsa_system_sgpr_workgroup_id_y 0
		.amdhsa_system_sgpr_workgroup_id_z 0
		.amdhsa_system_sgpr_workgroup_info 0
		.amdhsa_system_vgpr_workitem_id 0
		.amdhsa_next_free_vgpr 7
		.amdhsa_next_free_sgpr 16
		.amdhsa_reserve_vcc 1
		.amdhsa_float_round_mode_32 0
		.amdhsa_float_round_mode_16_64 0
		.amdhsa_float_denorm_mode_32 3
		.amdhsa_float_denorm_mode_16_64 3
		.amdhsa_dx10_clamp 1
		.amdhsa_ieee_mode 1
		.amdhsa_fp16_overflow 0
		.amdhsa_workgroup_processor_mode 1
		.amdhsa_memory_ordered 1
		.amdhsa_forward_progress 0
		.amdhsa_shared_vgpr_count 0
		.amdhsa_exception_fp_ieee_invalid_op 0
		.amdhsa_exception_fp_denorm_src 0
		.amdhsa_exception_fp_ieee_div_zero 0
		.amdhsa_exception_fp_ieee_overflow 0
		.amdhsa_exception_fp_ieee_underflow 0
		.amdhsa_exception_fp_ieee_inexact 0
		.amdhsa_exception_int_div_zero 0
	.end_amdhsa_kernel
	.section	.text._Z26warp_inclusive_scan_kernelIN10test_utils16custom_test_typeIfEELj32ELj8EENSt9enable_ifIXsr10test_utilsE35device_test_enabled_for_warp_size_vIXT1_EEEvE4typeEPT_S7_,"axG",@progbits,_Z26warp_inclusive_scan_kernelIN10test_utils16custom_test_typeIfEELj32ELj8EENSt9enable_ifIXsr10test_utilsE35device_test_enabled_for_warp_size_vIXT1_EEEvE4typeEPT_S7_,comdat
.Lfunc_end321:
	.size	_Z26warp_inclusive_scan_kernelIN10test_utils16custom_test_typeIfEELj32ELj8EENSt9enable_ifIXsr10test_utilsE35device_test_enabled_for_warp_size_vIXT1_EEEvE4typeEPT_S7_, .Lfunc_end321-_Z26warp_inclusive_scan_kernelIN10test_utils16custom_test_typeIfEELj32ELj8EENSt9enable_ifIXsr10test_utilsE35device_test_enabled_for_warp_size_vIXT1_EEEvE4typeEPT_S7_
                                        ; -- End function
	.section	.AMDGPU.csdata,"",@progbits
; Kernel info:
; codeLenInByte = 260
; NumSgprs: 18
; NumVgprs: 7
; ScratchSize: 0
; MemoryBound: 0
; FloatMode: 240
; IeeeMode: 1
; LDSByteSize: 0 bytes/workgroup (compile time only)
; SGPRBlocks: 2
; VGPRBlocks: 0
; NumSGPRsForWavesPerEU: 18
; NumVGPRsForWavesPerEU: 7
; Occupancy: 16
; WaveLimiterHint : 0
; COMPUTE_PGM_RSRC2:SCRATCH_EN: 0
; COMPUTE_PGM_RSRC2:USER_SGPR: 15
; COMPUTE_PGM_RSRC2:TRAP_HANDLER: 0
; COMPUTE_PGM_RSRC2:TGID_X_EN: 1
; COMPUTE_PGM_RSRC2:TGID_Y_EN: 0
; COMPUTE_PGM_RSRC2:TGID_Z_EN: 0
; COMPUTE_PGM_RSRC2:TIDIG_COMP_CNT: 0
	.section	.text._Z26warp_inclusive_scan_kernelIN10test_utils16custom_test_typeIfEELj64ELj8EENSt9enable_ifIXsr10test_utilsE35device_test_enabled_for_warp_size_vIXT1_EEEvE4typeEPT_S7_,"axG",@progbits,_Z26warp_inclusive_scan_kernelIN10test_utils16custom_test_typeIfEELj64ELj8EENSt9enable_ifIXsr10test_utilsE35device_test_enabled_for_warp_size_vIXT1_EEEvE4typeEPT_S7_,comdat
	.protected	_Z26warp_inclusive_scan_kernelIN10test_utils16custom_test_typeIfEELj64ELj8EENSt9enable_ifIXsr10test_utilsE35device_test_enabled_for_warp_size_vIXT1_EEEvE4typeEPT_S7_ ; -- Begin function _Z26warp_inclusive_scan_kernelIN10test_utils16custom_test_typeIfEELj64ELj8EENSt9enable_ifIXsr10test_utilsE35device_test_enabled_for_warp_size_vIXT1_EEEvE4typeEPT_S7_
	.globl	_Z26warp_inclusive_scan_kernelIN10test_utils16custom_test_typeIfEELj64ELj8EENSt9enable_ifIXsr10test_utilsE35device_test_enabled_for_warp_size_vIXT1_EEEvE4typeEPT_S7_
	.p2align	8
	.type	_Z26warp_inclusive_scan_kernelIN10test_utils16custom_test_typeIfEELj64ELj8EENSt9enable_ifIXsr10test_utilsE35device_test_enabled_for_warp_size_vIXT1_EEEvE4typeEPT_S7_,@function
_Z26warp_inclusive_scan_kernelIN10test_utils16custom_test_typeIfEELj64ELj8EENSt9enable_ifIXsr10test_utilsE35device_test_enabled_for_warp_size_vIXT1_EEEvE4typeEPT_S7_: ; @_Z26warp_inclusive_scan_kernelIN10test_utils16custom_test_typeIfEELj64ELj8EENSt9enable_ifIXsr10test_utilsE35device_test_enabled_for_warp_size_vIXT1_EEEvE4typeEPT_S7_
; %bb.0:
	s_clause 0x1
	s_load_b32 s4, s[0:1], 0x1c
	s_load_b128 s[0:3], s[0:1], 0x0
	v_mbcnt_lo_u32_b32 v4, -1, 0
	s_delay_alu instid0(VALU_DEP_1) | instskip(SKIP_2) | instid1(SALU_CYCLE_1)
	v_and_b32_e32 v4, 7, v4
	s_waitcnt lgkmcnt(0)
	s_and_b32 s4, s4, 0xffff
	v_mad_u64_u32 v[1:2], null, s15, s4, v[0:1]
	v_mov_b32_e32 v2, 0
	s_delay_alu instid0(VALU_DEP_1) | instskip(NEXT) | instid1(VALU_DEP_1)
	v_lshlrev_b64 v[0:1], 3, v[1:2]
	v_add_co_u32 v2, vcc_lo, s0, v0
	s_delay_alu instid0(VALU_DEP_2)
	v_add_co_ci_u32_e32 v3, vcc_lo, s1, v1, vcc_lo
	s_mov_b32 s0, exec_lo
	global_load_b64 v[2:3], v[2:3], off
	s_waitcnt vmcnt(0)
	v_mov_b32_dpp v5, v2 row_shr:1 row_mask:0xf bank_mask:0xf
	v_mov_b32_dpp v6, v3 row_shr:1 row_mask:0xf bank_mask:0xf
	v_cmpx_ne_u32_e32 0, v4
; %bb.1:
	s_delay_alu instid0(VALU_DEP_2)
	v_dual_add_f32 v3, v3, v6 :: v_dual_add_f32 v2, v2, v5
; %bb.2:
	s_or_b32 exec_lo, exec_lo, s0
	s_delay_alu instid0(VALU_DEP_1) | instskip(NEXT) | instid1(VALU_DEP_2)
	v_mov_b32_dpp v5, v2 row_shr:2 row_mask:0xf bank_mask:0xf
	v_mov_b32_dpp v6, v3 row_shr:2 row_mask:0xf bank_mask:0xf
	s_mov_b32 s0, exec_lo
	v_cmpx_lt_u32_e32 1, v4
; %bb.3:
	s_delay_alu instid0(VALU_DEP_2)
	v_dual_add_f32 v3, v3, v6 :: v_dual_add_f32 v2, v2, v5
; %bb.4:
	s_or_b32 exec_lo, exec_lo, s0
	s_delay_alu instid0(VALU_DEP_1) | instskip(NEXT) | instid1(VALU_DEP_2)
	v_mov_b32_dpp v5, v2 row_shr:4 row_mask:0xf bank_mask:0xf
	v_mov_b32_dpp v6, v3 row_shr:4 row_mask:0xf bank_mask:0xf
	v_cmp_lt_u32_e32 vcc_lo, 3, v4
	s_delay_alu instid0(VALU_DEP_2) | instskip(NEXT) | instid1(VALU_DEP_1)
	v_dual_add_f32 v5, v2, v5 :: v_dual_add_f32 v6, v3, v6
	v_dual_cndmask_b32 v2, v2, v5 :: v_dual_cndmask_b32 v3, v3, v6
	v_add_co_u32 v0, vcc_lo, s2, v0
	v_add_co_ci_u32_e32 v1, vcc_lo, s3, v1, vcc_lo
	global_store_b64 v[0:1], v[2:3], off
	s_nop 0
	s_sendmsg sendmsg(MSG_DEALLOC_VGPRS)
	s_endpgm
	.section	.rodata,"a",@progbits
	.p2align	6, 0x0
	.amdhsa_kernel _Z26warp_inclusive_scan_kernelIN10test_utils16custom_test_typeIfEELj64ELj8EENSt9enable_ifIXsr10test_utilsE35device_test_enabled_for_warp_size_vIXT1_EEEvE4typeEPT_S7_
		.amdhsa_group_segment_fixed_size 0
		.amdhsa_private_segment_fixed_size 0
		.amdhsa_kernarg_size 272
		.amdhsa_user_sgpr_count 15
		.amdhsa_user_sgpr_dispatch_ptr 0
		.amdhsa_user_sgpr_queue_ptr 0
		.amdhsa_user_sgpr_kernarg_segment_ptr 1
		.amdhsa_user_sgpr_dispatch_id 0
		.amdhsa_user_sgpr_private_segment_size 0
		.amdhsa_wavefront_size32 1
		.amdhsa_uses_dynamic_stack 0
		.amdhsa_enable_private_segment 0
		.amdhsa_system_sgpr_workgroup_id_x 1
		.amdhsa_system_sgpr_workgroup_id_y 0
		.amdhsa_system_sgpr_workgroup_id_z 0
		.amdhsa_system_sgpr_workgroup_info 0
		.amdhsa_system_vgpr_workitem_id 0
		.amdhsa_next_free_vgpr 7
		.amdhsa_next_free_sgpr 16
		.amdhsa_reserve_vcc 1
		.amdhsa_float_round_mode_32 0
		.amdhsa_float_round_mode_16_64 0
		.amdhsa_float_denorm_mode_32 3
		.amdhsa_float_denorm_mode_16_64 3
		.amdhsa_dx10_clamp 1
		.amdhsa_ieee_mode 1
		.amdhsa_fp16_overflow 0
		.amdhsa_workgroup_processor_mode 1
		.amdhsa_memory_ordered 1
		.amdhsa_forward_progress 0
		.amdhsa_shared_vgpr_count 0
		.amdhsa_exception_fp_ieee_invalid_op 0
		.amdhsa_exception_fp_denorm_src 0
		.amdhsa_exception_fp_ieee_div_zero 0
		.amdhsa_exception_fp_ieee_overflow 0
		.amdhsa_exception_fp_ieee_underflow 0
		.amdhsa_exception_fp_ieee_inexact 0
		.amdhsa_exception_int_div_zero 0
	.end_amdhsa_kernel
	.section	.text._Z26warp_inclusive_scan_kernelIN10test_utils16custom_test_typeIfEELj64ELj8EENSt9enable_ifIXsr10test_utilsE35device_test_enabled_for_warp_size_vIXT1_EEEvE4typeEPT_S7_,"axG",@progbits,_Z26warp_inclusive_scan_kernelIN10test_utils16custom_test_typeIfEELj64ELj8EENSt9enable_ifIXsr10test_utilsE35device_test_enabled_for_warp_size_vIXT1_EEEvE4typeEPT_S7_,comdat
.Lfunc_end322:
	.size	_Z26warp_inclusive_scan_kernelIN10test_utils16custom_test_typeIfEELj64ELj8EENSt9enable_ifIXsr10test_utilsE35device_test_enabled_for_warp_size_vIXT1_EEEvE4typeEPT_S7_, .Lfunc_end322-_Z26warp_inclusive_scan_kernelIN10test_utils16custom_test_typeIfEELj64ELj8EENSt9enable_ifIXsr10test_utilsE35device_test_enabled_for_warp_size_vIXT1_EEEvE4typeEPT_S7_
                                        ; -- End function
	.section	.AMDGPU.csdata,"",@progbits
; Kernel info:
; codeLenInByte = 260
; NumSgprs: 18
; NumVgprs: 7
; ScratchSize: 0
; MemoryBound: 0
; FloatMode: 240
; IeeeMode: 1
; LDSByteSize: 0 bytes/workgroup (compile time only)
; SGPRBlocks: 2
; VGPRBlocks: 0
; NumSGPRsForWavesPerEU: 18
; NumVGPRsForWavesPerEU: 7
; Occupancy: 16
; WaveLimiterHint : 0
; COMPUTE_PGM_RSRC2:SCRATCH_EN: 0
; COMPUTE_PGM_RSRC2:USER_SGPR: 15
; COMPUTE_PGM_RSRC2:TRAP_HANDLER: 0
; COMPUTE_PGM_RSRC2:TGID_X_EN: 1
; COMPUTE_PGM_RSRC2:TGID_Y_EN: 0
; COMPUTE_PGM_RSRC2:TGID_Z_EN: 0
; COMPUTE_PGM_RSRC2:TIDIG_COMP_CNT: 0
	.section	.text._Z26warp_inclusive_scan_kernelIN10test_utils16custom_test_typeIfEELj32ELj4EENSt9enable_ifIXsr10test_utilsE35device_test_enabled_for_warp_size_vIXT1_EEEvE4typeEPT_S7_,"axG",@progbits,_Z26warp_inclusive_scan_kernelIN10test_utils16custom_test_typeIfEELj32ELj4EENSt9enable_ifIXsr10test_utilsE35device_test_enabled_for_warp_size_vIXT1_EEEvE4typeEPT_S7_,comdat
	.protected	_Z26warp_inclusive_scan_kernelIN10test_utils16custom_test_typeIfEELj32ELj4EENSt9enable_ifIXsr10test_utilsE35device_test_enabled_for_warp_size_vIXT1_EEEvE4typeEPT_S7_ ; -- Begin function _Z26warp_inclusive_scan_kernelIN10test_utils16custom_test_typeIfEELj32ELj4EENSt9enable_ifIXsr10test_utilsE35device_test_enabled_for_warp_size_vIXT1_EEEvE4typeEPT_S7_
	.globl	_Z26warp_inclusive_scan_kernelIN10test_utils16custom_test_typeIfEELj32ELj4EENSt9enable_ifIXsr10test_utilsE35device_test_enabled_for_warp_size_vIXT1_EEEvE4typeEPT_S7_
	.p2align	8
	.type	_Z26warp_inclusive_scan_kernelIN10test_utils16custom_test_typeIfEELj32ELj4EENSt9enable_ifIXsr10test_utilsE35device_test_enabled_for_warp_size_vIXT1_EEEvE4typeEPT_S7_,@function
_Z26warp_inclusive_scan_kernelIN10test_utils16custom_test_typeIfEELj32ELj4EENSt9enable_ifIXsr10test_utilsE35device_test_enabled_for_warp_size_vIXT1_EEEvE4typeEPT_S7_: ; @_Z26warp_inclusive_scan_kernelIN10test_utils16custom_test_typeIfEELj32ELj4EENSt9enable_ifIXsr10test_utilsE35device_test_enabled_for_warp_size_vIXT1_EEEvE4typeEPT_S7_
; %bb.0:
	s_clause 0x1
	s_load_b32 s4, s[0:1], 0x1c
	s_load_b128 s[0:3], s[0:1], 0x0
	v_mbcnt_lo_u32_b32 v4, -1, 0
	s_delay_alu instid0(VALU_DEP_1) | instskip(SKIP_2) | instid1(SALU_CYCLE_1)
	v_and_b32_e32 v4, 3, v4
	s_waitcnt lgkmcnt(0)
	s_and_b32 s4, s4, 0xffff
	v_mad_u64_u32 v[1:2], null, s15, s4, v[0:1]
	v_mov_b32_e32 v2, 0
	s_delay_alu instid0(VALU_DEP_1) | instskip(NEXT) | instid1(VALU_DEP_1)
	v_lshlrev_b64 v[0:1], 3, v[1:2]
	v_add_co_u32 v2, vcc_lo, s0, v0
	s_delay_alu instid0(VALU_DEP_2)
	v_add_co_ci_u32_e32 v3, vcc_lo, s1, v1, vcc_lo
	s_mov_b32 s0, exec_lo
	global_load_b64 v[2:3], v[2:3], off
	s_waitcnt vmcnt(0)
	v_mov_b32_dpp v5, v2 row_shr:1 row_mask:0xf bank_mask:0xf
	v_mov_b32_dpp v6, v3 row_shr:1 row_mask:0xf bank_mask:0xf
	v_cmpx_ne_u32_e32 0, v4
; %bb.1:
	s_delay_alu instid0(VALU_DEP_2)
	v_dual_add_f32 v3, v3, v6 :: v_dual_add_f32 v2, v2, v5
; %bb.2:
	s_or_b32 exec_lo, exec_lo, s0
	s_delay_alu instid0(VALU_DEP_1) | instskip(NEXT) | instid1(VALU_DEP_2)
	v_mov_b32_dpp v5, v2 row_shr:2 row_mask:0xf bank_mask:0xf
	v_mov_b32_dpp v6, v3 row_shr:2 row_mask:0xf bank_mask:0xf
	v_cmp_lt_u32_e32 vcc_lo, 1, v4
	s_delay_alu instid0(VALU_DEP_2) | instskip(NEXT) | instid1(VALU_DEP_1)
	v_dual_add_f32 v5, v2, v5 :: v_dual_add_f32 v6, v3, v6
	v_dual_cndmask_b32 v2, v2, v5 :: v_dual_cndmask_b32 v3, v3, v6
	v_add_co_u32 v0, vcc_lo, s2, v0
	v_add_co_ci_u32_e32 v1, vcc_lo, s3, v1, vcc_lo
	global_store_b64 v[0:1], v[2:3], off
	s_nop 0
	s_sendmsg sendmsg(MSG_DEALLOC_VGPRS)
	s_endpgm
	.section	.rodata,"a",@progbits
	.p2align	6, 0x0
	.amdhsa_kernel _Z26warp_inclusive_scan_kernelIN10test_utils16custom_test_typeIfEELj32ELj4EENSt9enable_ifIXsr10test_utilsE35device_test_enabled_for_warp_size_vIXT1_EEEvE4typeEPT_S7_
		.amdhsa_group_segment_fixed_size 0
		.amdhsa_private_segment_fixed_size 0
		.amdhsa_kernarg_size 272
		.amdhsa_user_sgpr_count 15
		.amdhsa_user_sgpr_dispatch_ptr 0
		.amdhsa_user_sgpr_queue_ptr 0
		.amdhsa_user_sgpr_kernarg_segment_ptr 1
		.amdhsa_user_sgpr_dispatch_id 0
		.amdhsa_user_sgpr_private_segment_size 0
		.amdhsa_wavefront_size32 1
		.amdhsa_uses_dynamic_stack 0
		.amdhsa_enable_private_segment 0
		.amdhsa_system_sgpr_workgroup_id_x 1
		.amdhsa_system_sgpr_workgroup_id_y 0
		.amdhsa_system_sgpr_workgroup_id_z 0
		.amdhsa_system_sgpr_workgroup_info 0
		.amdhsa_system_vgpr_workitem_id 0
		.amdhsa_next_free_vgpr 7
		.amdhsa_next_free_sgpr 16
		.amdhsa_reserve_vcc 1
		.amdhsa_float_round_mode_32 0
		.amdhsa_float_round_mode_16_64 0
		.amdhsa_float_denorm_mode_32 3
		.amdhsa_float_denorm_mode_16_64 3
		.amdhsa_dx10_clamp 1
		.amdhsa_ieee_mode 1
		.amdhsa_fp16_overflow 0
		.amdhsa_workgroup_processor_mode 1
		.amdhsa_memory_ordered 1
		.amdhsa_forward_progress 0
		.amdhsa_shared_vgpr_count 0
		.amdhsa_exception_fp_ieee_invalid_op 0
		.amdhsa_exception_fp_denorm_src 0
		.amdhsa_exception_fp_ieee_div_zero 0
		.amdhsa_exception_fp_ieee_overflow 0
		.amdhsa_exception_fp_ieee_underflow 0
		.amdhsa_exception_fp_ieee_inexact 0
		.amdhsa_exception_int_div_zero 0
	.end_amdhsa_kernel
	.section	.text._Z26warp_inclusive_scan_kernelIN10test_utils16custom_test_typeIfEELj32ELj4EENSt9enable_ifIXsr10test_utilsE35device_test_enabled_for_warp_size_vIXT1_EEEvE4typeEPT_S7_,"axG",@progbits,_Z26warp_inclusive_scan_kernelIN10test_utils16custom_test_typeIfEELj32ELj4EENSt9enable_ifIXsr10test_utilsE35device_test_enabled_for_warp_size_vIXT1_EEEvE4typeEPT_S7_,comdat
.Lfunc_end323:
	.size	_Z26warp_inclusive_scan_kernelIN10test_utils16custom_test_typeIfEELj32ELj4EENSt9enable_ifIXsr10test_utilsE35device_test_enabled_for_warp_size_vIXT1_EEEvE4typeEPT_S7_, .Lfunc_end323-_Z26warp_inclusive_scan_kernelIN10test_utils16custom_test_typeIfEELj32ELj4EENSt9enable_ifIXsr10test_utilsE35device_test_enabled_for_warp_size_vIXT1_EEEvE4typeEPT_S7_
                                        ; -- End function
	.section	.AMDGPU.csdata,"",@progbits
; Kernel info:
; codeLenInByte = 216
; NumSgprs: 18
; NumVgprs: 7
; ScratchSize: 0
; MemoryBound: 0
; FloatMode: 240
; IeeeMode: 1
; LDSByteSize: 0 bytes/workgroup (compile time only)
; SGPRBlocks: 2
; VGPRBlocks: 0
; NumSGPRsForWavesPerEU: 18
; NumVGPRsForWavesPerEU: 7
; Occupancy: 16
; WaveLimiterHint : 0
; COMPUTE_PGM_RSRC2:SCRATCH_EN: 0
; COMPUTE_PGM_RSRC2:USER_SGPR: 15
; COMPUTE_PGM_RSRC2:TRAP_HANDLER: 0
; COMPUTE_PGM_RSRC2:TGID_X_EN: 1
; COMPUTE_PGM_RSRC2:TGID_Y_EN: 0
; COMPUTE_PGM_RSRC2:TGID_Z_EN: 0
; COMPUTE_PGM_RSRC2:TIDIG_COMP_CNT: 0
	.section	.text._Z26warp_inclusive_scan_kernelIN10test_utils16custom_test_typeIfEELj64ELj4EENSt9enable_ifIXsr10test_utilsE35device_test_enabled_for_warp_size_vIXT1_EEEvE4typeEPT_S7_,"axG",@progbits,_Z26warp_inclusive_scan_kernelIN10test_utils16custom_test_typeIfEELj64ELj4EENSt9enable_ifIXsr10test_utilsE35device_test_enabled_for_warp_size_vIXT1_EEEvE4typeEPT_S7_,comdat
	.protected	_Z26warp_inclusive_scan_kernelIN10test_utils16custom_test_typeIfEELj64ELj4EENSt9enable_ifIXsr10test_utilsE35device_test_enabled_for_warp_size_vIXT1_EEEvE4typeEPT_S7_ ; -- Begin function _Z26warp_inclusive_scan_kernelIN10test_utils16custom_test_typeIfEELj64ELj4EENSt9enable_ifIXsr10test_utilsE35device_test_enabled_for_warp_size_vIXT1_EEEvE4typeEPT_S7_
	.globl	_Z26warp_inclusive_scan_kernelIN10test_utils16custom_test_typeIfEELj64ELj4EENSt9enable_ifIXsr10test_utilsE35device_test_enabled_for_warp_size_vIXT1_EEEvE4typeEPT_S7_
	.p2align	8
	.type	_Z26warp_inclusive_scan_kernelIN10test_utils16custom_test_typeIfEELj64ELj4EENSt9enable_ifIXsr10test_utilsE35device_test_enabled_for_warp_size_vIXT1_EEEvE4typeEPT_S7_,@function
_Z26warp_inclusive_scan_kernelIN10test_utils16custom_test_typeIfEELj64ELj4EENSt9enable_ifIXsr10test_utilsE35device_test_enabled_for_warp_size_vIXT1_EEEvE4typeEPT_S7_: ; @_Z26warp_inclusive_scan_kernelIN10test_utils16custom_test_typeIfEELj64ELj4EENSt9enable_ifIXsr10test_utilsE35device_test_enabled_for_warp_size_vIXT1_EEEvE4typeEPT_S7_
; %bb.0:
	s_clause 0x1
	s_load_b32 s4, s[0:1], 0x1c
	s_load_b128 s[0:3], s[0:1], 0x0
	v_mbcnt_lo_u32_b32 v4, -1, 0
	s_delay_alu instid0(VALU_DEP_1) | instskip(SKIP_2) | instid1(SALU_CYCLE_1)
	v_and_b32_e32 v4, 3, v4
	s_waitcnt lgkmcnt(0)
	s_and_b32 s4, s4, 0xffff
	v_mad_u64_u32 v[1:2], null, s15, s4, v[0:1]
	v_mov_b32_e32 v2, 0
	s_delay_alu instid0(VALU_DEP_1) | instskip(NEXT) | instid1(VALU_DEP_1)
	v_lshlrev_b64 v[0:1], 3, v[1:2]
	v_add_co_u32 v2, vcc_lo, s0, v0
	s_delay_alu instid0(VALU_DEP_2)
	v_add_co_ci_u32_e32 v3, vcc_lo, s1, v1, vcc_lo
	s_mov_b32 s0, exec_lo
	global_load_b64 v[2:3], v[2:3], off
	s_waitcnt vmcnt(0)
	v_mov_b32_dpp v5, v2 row_shr:1 row_mask:0xf bank_mask:0xf
	v_mov_b32_dpp v6, v3 row_shr:1 row_mask:0xf bank_mask:0xf
	v_cmpx_ne_u32_e32 0, v4
; %bb.1:
	s_delay_alu instid0(VALU_DEP_2)
	v_dual_add_f32 v3, v3, v6 :: v_dual_add_f32 v2, v2, v5
; %bb.2:
	s_or_b32 exec_lo, exec_lo, s0
	s_delay_alu instid0(VALU_DEP_1) | instskip(NEXT) | instid1(VALU_DEP_2)
	v_mov_b32_dpp v5, v2 row_shr:2 row_mask:0xf bank_mask:0xf
	v_mov_b32_dpp v6, v3 row_shr:2 row_mask:0xf bank_mask:0xf
	v_cmp_lt_u32_e32 vcc_lo, 1, v4
	s_delay_alu instid0(VALU_DEP_2) | instskip(NEXT) | instid1(VALU_DEP_1)
	v_dual_add_f32 v5, v2, v5 :: v_dual_add_f32 v6, v3, v6
	v_dual_cndmask_b32 v2, v2, v5 :: v_dual_cndmask_b32 v3, v3, v6
	v_add_co_u32 v0, vcc_lo, s2, v0
	v_add_co_ci_u32_e32 v1, vcc_lo, s3, v1, vcc_lo
	global_store_b64 v[0:1], v[2:3], off
	s_nop 0
	s_sendmsg sendmsg(MSG_DEALLOC_VGPRS)
	s_endpgm
	.section	.rodata,"a",@progbits
	.p2align	6, 0x0
	.amdhsa_kernel _Z26warp_inclusive_scan_kernelIN10test_utils16custom_test_typeIfEELj64ELj4EENSt9enable_ifIXsr10test_utilsE35device_test_enabled_for_warp_size_vIXT1_EEEvE4typeEPT_S7_
		.amdhsa_group_segment_fixed_size 0
		.amdhsa_private_segment_fixed_size 0
		.amdhsa_kernarg_size 272
		.amdhsa_user_sgpr_count 15
		.amdhsa_user_sgpr_dispatch_ptr 0
		.amdhsa_user_sgpr_queue_ptr 0
		.amdhsa_user_sgpr_kernarg_segment_ptr 1
		.amdhsa_user_sgpr_dispatch_id 0
		.amdhsa_user_sgpr_private_segment_size 0
		.amdhsa_wavefront_size32 1
		.amdhsa_uses_dynamic_stack 0
		.amdhsa_enable_private_segment 0
		.amdhsa_system_sgpr_workgroup_id_x 1
		.amdhsa_system_sgpr_workgroup_id_y 0
		.amdhsa_system_sgpr_workgroup_id_z 0
		.amdhsa_system_sgpr_workgroup_info 0
		.amdhsa_system_vgpr_workitem_id 0
		.amdhsa_next_free_vgpr 7
		.amdhsa_next_free_sgpr 16
		.amdhsa_reserve_vcc 1
		.amdhsa_float_round_mode_32 0
		.amdhsa_float_round_mode_16_64 0
		.amdhsa_float_denorm_mode_32 3
		.amdhsa_float_denorm_mode_16_64 3
		.amdhsa_dx10_clamp 1
		.amdhsa_ieee_mode 1
		.amdhsa_fp16_overflow 0
		.amdhsa_workgroup_processor_mode 1
		.amdhsa_memory_ordered 1
		.amdhsa_forward_progress 0
		.amdhsa_shared_vgpr_count 0
		.amdhsa_exception_fp_ieee_invalid_op 0
		.amdhsa_exception_fp_denorm_src 0
		.amdhsa_exception_fp_ieee_div_zero 0
		.amdhsa_exception_fp_ieee_overflow 0
		.amdhsa_exception_fp_ieee_underflow 0
		.amdhsa_exception_fp_ieee_inexact 0
		.amdhsa_exception_int_div_zero 0
	.end_amdhsa_kernel
	.section	.text._Z26warp_inclusive_scan_kernelIN10test_utils16custom_test_typeIfEELj64ELj4EENSt9enable_ifIXsr10test_utilsE35device_test_enabled_for_warp_size_vIXT1_EEEvE4typeEPT_S7_,"axG",@progbits,_Z26warp_inclusive_scan_kernelIN10test_utils16custom_test_typeIfEELj64ELj4EENSt9enable_ifIXsr10test_utilsE35device_test_enabled_for_warp_size_vIXT1_EEEvE4typeEPT_S7_,comdat
.Lfunc_end324:
	.size	_Z26warp_inclusive_scan_kernelIN10test_utils16custom_test_typeIfEELj64ELj4EENSt9enable_ifIXsr10test_utilsE35device_test_enabled_for_warp_size_vIXT1_EEEvE4typeEPT_S7_, .Lfunc_end324-_Z26warp_inclusive_scan_kernelIN10test_utils16custom_test_typeIfEELj64ELj4EENSt9enable_ifIXsr10test_utilsE35device_test_enabled_for_warp_size_vIXT1_EEEvE4typeEPT_S7_
                                        ; -- End function
	.section	.AMDGPU.csdata,"",@progbits
; Kernel info:
; codeLenInByte = 216
; NumSgprs: 18
; NumVgprs: 7
; ScratchSize: 0
; MemoryBound: 0
; FloatMode: 240
; IeeeMode: 1
; LDSByteSize: 0 bytes/workgroup (compile time only)
; SGPRBlocks: 2
; VGPRBlocks: 0
; NumSGPRsForWavesPerEU: 18
; NumVGPRsForWavesPerEU: 7
; Occupancy: 16
; WaveLimiterHint : 0
; COMPUTE_PGM_RSRC2:SCRATCH_EN: 0
; COMPUTE_PGM_RSRC2:USER_SGPR: 15
; COMPUTE_PGM_RSRC2:TRAP_HANDLER: 0
; COMPUTE_PGM_RSRC2:TGID_X_EN: 1
; COMPUTE_PGM_RSRC2:TGID_Y_EN: 0
; COMPUTE_PGM_RSRC2:TGID_Z_EN: 0
; COMPUTE_PGM_RSRC2:TIDIG_COMP_CNT: 0
	.section	.text._Z26warp_inclusive_scan_kernelIN10test_utils16custom_test_typeIfEELj32ELj2EENSt9enable_ifIXsr10test_utilsE35device_test_enabled_for_warp_size_vIXT1_EEEvE4typeEPT_S7_,"axG",@progbits,_Z26warp_inclusive_scan_kernelIN10test_utils16custom_test_typeIfEELj32ELj2EENSt9enable_ifIXsr10test_utilsE35device_test_enabled_for_warp_size_vIXT1_EEEvE4typeEPT_S7_,comdat
	.protected	_Z26warp_inclusive_scan_kernelIN10test_utils16custom_test_typeIfEELj32ELj2EENSt9enable_ifIXsr10test_utilsE35device_test_enabled_for_warp_size_vIXT1_EEEvE4typeEPT_S7_ ; -- Begin function _Z26warp_inclusive_scan_kernelIN10test_utils16custom_test_typeIfEELj32ELj2EENSt9enable_ifIXsr10test_utilsE35device_test_enabled_for_warp_size_vIXT1_EEEvE4typeEPT_S7_
	.globl	_Z26warp_inclusive_scan_kernelIN10test_utils16custom_test_typeIfEELj32ELj2EENSt9enable_ifIXsr10test_utilsE35device_test_enabled_for_warp_size_vIXT1_EEEvE4typeEPT_S7_
	.p2align	8
	.type	_Z26warp_inclusive_scan_kernelIN10test_utils16custom_test_typeIfEELj32ELj2EENSt9enable_ifIXsr10test_utilsE35device_test_enabled_for_warp_size_vIXT1_EEEvE4typeEPT_S7_,@function
_Z26warp_inclusive_scan_kernelIN10test_utils16custom_test_typeIfEELj32ELj2EENSt9enable_ifIXsr10test_utilsE35device_test_enabled_for_warp_size_vIXT1_EEEvE4typeEPT_S7_: ; @_Z26warp_inclusive_scan_kernelIN10test_utils16custom_test_typeIfEELj32ELj2EENSt9enable_ifIXsr10test_utilsE35device_test_enabled_for_warp_size_vIXT1_EEEvE4typeEPT_S7_
; %bb.0:
	s_clause 0x1
	s_load_b32 s4, s[0:1], 0x1c
	s_load_b128 s[0:3], s[0:1], 0x0
	v_mbcnt_lo_u32_b32 v4, -1, 0
	s_waitcnt lgkmcnt(0)
	s_and_b32 s4, s4, 0xffff
	s_delay_alu instid0(SALU_CYCLE_1) | instskip(SKIP_1) | instid1(VALU_DEP_1)
	v_mad_u64_u32 v[1:2], null, s15, s4, v[0:1]
	v_mov_b32_e32 v2, 0
	v_lshlrev_b64 v[0:1], 3, v[1:2]
	s_delay_alu instid0(VALU_DEP_1) | instskip(NEXT) | instid1(VALU_DEP_2)
	v_add_co_u32 v2, vcc_lo, s0, v0
	v_add_co_ci_u32_e32 v3, vcc_lo, s1, v1, vcc_lo
	global_load_b64 v[2:3], v[2:3], off
	s_waitcnt vmcnt(0)
	v_mov_b32_dpp v5, v2 row_shr:1 row_mask:0xf bank_mask:0xf
	v_mov_b32_dpp v6, v3 row_shr:1 row_mask:0xf bank_mask:0xf
	s_delay_alu instid0(VALU_DEP_2) | instskip(NEXT) | instid1(VALU_DEP_2)
	v_dual_add_f32 v5, v2, v5 :: v_dual_and_b32 v4, 1, v4
	v_add_f32_e32 v6, v3, v6
	s_delay_alu instid0(VALU_DEP_2) | instskip(NEXT) | instid1(VALU_DEP_2)
	v_cmp_eq_u32_e32 vcc_lo, 0, v4
	v_dual_cndmask_b32 v2, v5, v2 :: v_dual_cndmask_b32 v3, v6, v3
	v_add_co_u32 v0, vcc_lo, s2, v0
	v_add_co_ci_u32_e32 v1, vcc_lo, s3, v1, vcc_lo
	global_store_b64 v[0:1], v[2:3], off
	s_nop 0
	s_sendmsg sendmsg(MSG_DEALLOC_VGPRS)
	s_endpgm
	.section	.rodata,"a",@progbits
	.p2align	6, 0x0
	.amdhsa_kernel _Z26warp_inclusive_scan_kernelIN10test_utils16custom_test_typeIfEELj32ELj2EENSt9enable_ifIXsr10test_utilsE35device_test_enabled_for_warp_size_vIXT1_EEEvE4typeEPT_S7_
		.amdhsa_group_segment_fixed_size 0
		.amdhsa_private_segment_fixed_size 0
		.amdhsa_kernarg_size 272
		.amdhsa_user_sgpr_count 15
		.amdhsa_user_sgpr_dispatch_ptr 0
		.amdhsa_user_sgpr_queue_ptr 0
		.amdhsa_user_sgpr_kernarg_segment_ptr 1
		.amdhsa_user_sgpr_dispatch_id 0
		.amdhsa_user_sgpr_private_segment_size 0
		.amdhsa_wavefront_size32 1
		.amdhsa_uses_dynamic_stack 0
		.amdhsa_enable_private_segment 0
		.amdhsa_system_sgpr_workgroup_id_x 1
		.amdhsa_system_sgpr_workgroup_id_y 0
		.amdhsa_system_sgpr_workgroup_id_z 0
		.amdhsa_system_sgpr_workgroup_info 0
		.amdhsa_system_vgpr_workitem_id 0
		.amdhsa_next_free_vgpr 7
		.amdhsa_next_free_sgpr 16
		.amdhsa_reserve_vcc 1
		.amdhsa_float_round_mode_32 0
		.amdhsa_float_round_mode_16_64 0
		.amdhsa_float_denorm_mode_32 3
		.amdhsa_float_denorm_mode_16_64 3
		.amdhsa_dx10_clamp 1
		.amdhsa_ieee_mode 1
		.amdhsa_fp16_overflow 0
		.amdhsa_workgroup_processor_mode 1
		.amdhsa_memory_ordered 1
		.amdhsa_forward_progress 0
		.amdhsa_shared_vgpr_count 0
		.amdhsa_exception_fp_ieee_invalid_op 0
		.amdhsa_exception_fp_denorm_src 0
		.amdhsa_exception_fp_ieee_div_zero 0
		.amdhsa_exception_fp_ieee_overflow 0
		.amdhsa_exception_fp_ieee_underflow 0
		.amdhsa_exception_fp_ieee_inexact 0
		.amdhsa_exception_int_div_zero 0
	.end_amdhsa_kernel
	.section	.text._Z26warp_inclusive_scan_kernelIN10test_utils16custom_test_typeIfEELj32ELj2EENSt9enable_ifIXsr10test_utilsE35device_test_enabled_for_warp_size_vIXT1_EEEvE4typeEPT_S7_,"axG",@progbits,_Z26warp_inclusive_scan_kernelIN10test_utils16custom_test_typeIfEELj32ELj2EENSt9enable_ifIXsr10test_utilsE35device_test_enabled_for_warp_size_vIXT1_EEEvE4typeEPT_S7_,comdat
.Lfunc_end325:
	.size	_Z26warp_inclusive_scan_kernelIN10test_utils16custom_test_typeIfEELj32ELj2EENSt9enable_ifIXsr10test_utilsE35device_test_enabled_for_warp_size_vIXT1_EEEvE4typeEPT_S7_, .Lfunc_end325-_Z26warp_inclusive_scan_kernelIN10test_utils16custom_test_typeIfEELj32ELj2EENSt9enable_ifIXsr10test_utilsE35device_test_enabled_for_warp_size_vIXT1_EEEvE4typeEPT_S7_
                                        ; -- End function
	.section	.AMDGPU.csdata,"",@progbits
; Kernel info:
; codeLenInByte = 172
; NumSgprs: 18
; NumVgprs: 7
; ScratchSize: 0
; MemoryBound: 0
; FloatMode: 240
; IeeeMode: 1
; LDSByteSize: 0 bytes/workgroup (compile time only)
; SGPRBlocks: 2
; VGPRBlocks: 0
; NumSGPRsForWavesPerEU: 18
; NumVGPRsForWavesPerEU: 7
; Occupancy: 16
; WaveLimiterHint : 0
; COMPUTE_PGM_RSRC2:SCRATCH_EN: 0
; COMPUTE_PGM_RSRC2:USER_SGPR: 15
; COMPUTE_PGM_RSRC2:TRAP_HANDLER: 0
; COMPUTE_PGM_RSRC2:TGID_X_EN: 1
; COMPUTE_PGM_RSRC2:TGID_Y_EN: 0
; COMPUTE_PGM_RSRC2:TGID_Z_EN: 0
; COMPUTE_PGM_RSRC2:TIDIG_COMP_CNT: 0
	.section	.text._Z26warp_inclusive_scan_kernelIN10test_utils16custom_test_typeIfEELj64ELj2EENSt9enable_ifIXsr10test_utilsE35device_test_enabled_for_warp_size_vIXT1_EEEvE4typeEPT_S7_,"axG",@progbits,_Z26warp_inclusive_scan_kernelIN10test_utils16custom_test_typeIfEELj64ELj2EENSt9enable_ifIXsr10test_utilsE35device_test_enabled_for_warp_size_vIXT1_EEEvE4typeEPT_S7_,comdat
	.protected	_Z26warp_inclusive_scan_kernelIN10test_utils16custom_test_typeIfEELj64ELj2EENSt9enable_ifIXsr10test_utilsE35device_test_enabled_for_warp_size_vIXT1_EEEvE4typeEPT_S7_ ; -- Begin function _Z26warp_inclusive_scan_kernelIN10test_utils16custom_test_typeIfEELj64ELj2EENSt9enable_ifIXsr10test_utilsE35device_test_enabled_for_warp_size_vIXT1_EEEvE4typeEPT_S7_
	.globl	_Z26warp_inclusive_scan_kernelIN10test_utils16custom_test_typeIfEELj64ELj2EENSt9enable_ifIXsr10test_utilsE35device_test_enabled_for_warp_size_vIXT1_EEEvE4typeEPT_S7_
	.p2align	8
	.type	_Z26warp_inclusive_scan_kernelIN10test_utils16custom_test_typeIfEELj64ELj2EENSt9enable_ifIXsr10test_utilsE35device_test_enabled_for_warp_size_vIXT1_EEEvE4typeEPT_S7_,@function
_Z26warp_inclusive_scan_kernelIN10test_utils16custom_test_typeIfEELj64ELj2EENSt9enable_ifIXsr10test_utilsE35device_test_enabled_for_warp_size_vIXT1_EEEvE4typeEPT_S7_: ; @_Z26warp_inclusive_scan_kernelIN10test_utils16custom_test_typeIfEELj64ELj2EENSt9enable_ifIXsr10test_utilsE35device_test_enabled_for_warp_size_vIXT1_EEEvE4typeEPT_S7_
; %bb.0:
	s_clause 0x1
	s_load_b32 s4, s[0:1], 0x1c
	s_load_b128 s[0:3], s[0:1], 0x0
	v_mbcnt_lo_u32_b32 v4, -1, 0
	s_waitcnt lgkmcnt(0)
	s_and_b32 s4, s4, 0xffff
	s_delay_alu instid0(SALU_CYCLE_1) | instskip(SKIP_1) | instid1(VALU_DEP_1)
	v_mad_u64_u32 v[1:2], null, s15, s4, v[0:1]
	v_mov_b32_e32 v2, 0
	v_lshlrev_b64 v[0:1], 3, v[1:2]
	s_delay_alu instid0(VALU_DEP_1) | instskip(NEXT) | instid1(VALU_DEP_2)
	v_add_co_u32 v2, vcc_lo, s0, v0
	v_add_co_ci_u32_e32 v3, vcc_lo, s1, v1, vcc_lo
	global_load_b64 v[2:3], v[2:3], off
	s_waitcnt vmcnt(0)
	v_mov_b32_dpp v5, v2 row_shr:1 row_mask:0xf bank_mask:0xf
	v_mov_b32_dpp v6, v3 row_shr:1 row_mask:0xf bank_mask:0xf
	s_delay_alu instid0(VALU_DEP_2) | instskip(NEXT) | instid1(VALU_DEP_2)
	v_dual_add_f32 v5, v2, v5 :: v_dual_and_b32 v4, 1, v4
	v_add_f32_e32 v6, v3, v6
	s_delay_alu instid0(VALU_DEP_2) | instskip(NEXT) | instid1(VALU_DEP_2)
	v_cmp_eq_u32_e32 vcc_lo, 0, v4
	v_dual_cndmask_b32 v2, v5, v2 :: v_dual_cndmask_b32 v3, v6, v3
	v_add_co_u32 v0, vcc_lo, s2, v0
	v_add_co_ci_u32_e32 v1, vcc_lo, s3, v1, vcc_lo
	global_store_b64 v[0:1], v[2:3], off
	s_nop 0
	s_sendmsg sendmsg(MSG_DEALLOC_VGPRS)
	s_endpgm
	.section	.rodata,"a",@progbits
	.p2align	6, 0x0
	.amdhsa_kernel _Z26warp_inclusive_scan_kernelIN10test_utils16custom_test_typeIfEELj64ELj2EENSt9enable_ifIXsr10test_utilsE35device_test_enabled_for_warp_size_vIXT1_EEEvE4typeEPT_S7_
		.amdhsa_group_segment_fixed_size 0
		.amdhsa_private_segment_fixed_size 0
		.amdhsa_kernarg_size 272
		.amdhsa_user_sgpr_count 15
		.amdhsa_user_sgpr_dispatch_ptr 0
		.amdhsa_user_sgpr_queue_ptr 0
		.amdhsa_user_sgpr_kernarg_segment_ptr 1
		.amdhsa_user_sgpr_dispatch_id 0
		.amdhsa_user_sgpr_private_segment_size 0
		.amdhsa_wavefront_size32 1
		.amdhsa_uses_dynamic_stack 0
		.amdhsa_enable_private_segment 0
		.amdhsa_system_sgpr_workgroup_id_x 1
		.amdhsa_system_sgpr_workgroup_id_y 0
		.amdhsa_system_sgpr_workgroup_id_z 0
		.amdhsa_system_sgpr_workgroup_info 0
		.amdhsa_system_vgpr_workitem_id 0
		.amdhsa_next_free_vgpr 7
		.amdhsa_next_free_sgpr 16
		.amdhsa_reserve_vcc 1
		.amdhsa_float_round_mode_32 0
		.amdhsa_float_round_mode_16_64 0
		.amdhsa_float_denorm_mode_32 3
		.amdhsa_float_denorm_mode_16_64 3
		.amdhsa_dx10_clamp 1
		.amdhsa_ieee_mode 1
		.amdhsa_fp16_overflow 0
		.amdhsa_workgroup_processor_mode 1
		.amdhsa_memory_ordered 1
		.amdhsa_forward_progress 0
		.amdhsa_shared_vgpr_count 0
		.amdhsa_exception_fp_ieee_invalid_op 0
		.amdhsa_exception_fp_denorm_src 0
		.amdhsa_exception_fp_ieee_div_zero 0
		.amdhsa_exception_fp_ieee_overflow 0
		.amdhsa_exception_fp_ieee_underflow 0
		.amdhsa_exception_fp_ieee_inexact 0
		.amdhsa_exception_int_div_zero 0
	.end_amdhsa_kernel
	.section	.text._Z26warp_inclusive_scan_kernelIN10test_utils16custom_test_typeIfEELj64ELj2EENSt9enable_ifIXsr10test_utilsE35device_test_enabled_for_warp_size_vIXT1_EEEvE4typeEPT_S7_,"axG",@progbits,_Z26warp_inclusive_scan_kernelIN10test_utils16custom_test_typeIfEELj64ELj2EENSt9enable_ifIXsr10test_utilsE35device_test_enabled_for_warp_size_vIXT1_EEEvE4typeEPT_S7_,comdat
.Lfunc_end326:
	.size	_Z26warp_inclusive_scan_kernelIN10test_utils16custom_test_typeIfEELj64ELj2EENSt9enable_ifIXsr10test_utilsE35device_test_enabled_for_warp_size_vIXT1_EEEvE4typeEPT_S7_, .Lfunc_end326-_Z26warp_inclusive_scan_kernelIN10test_utils16custom_test_typeIfEELj64ELj2EENSt9enable_ifIXsr10test_utilsE35device_test_enabled_for_warp_size_vIXT1_EEEvE4typeEPT_S7_
                                        ; -- End function
	.section	.AMDGPU.csdata,"",@progbits
; Kernel info:
; codeLenInByte = 172
; NumSgprs: 18
; NumVgprs: 7
; ScratchSize: 0
; MemoryBound: 0
; FloatMode: 240
; IeeeMode: 1
; LDSByteSize: 0 bytes/workgroup (compile time only)
; SGPRBlocks: 2
; VGPRBlocks: 0
; NumSGPRsForWavesPerEU: 18
; NumVGPRsForWavesPerEU: 7
; Occupancy: 16
; WaveLimiterHint : 0
; COMPUTE_PGM_RSRC2:SCRATCH_EN: 0
; COMPUTE_PGM_RSRC2:USER_SGPR: 15
; COMPUTE_PGM_RSRC2:TRAP_HANDLER: 0
; COMPUTE_PGM_RSRC2:TGID_X_EN: 1
; COMPUTE_PGM_RSRC2:TGID_Y_EN: 0
; COMPUTE_PGM_RSRC2:TGID_Z_EN: 0
; COMPUTE_PGM_RSRC2:TIDIG_COMP_CNT: 0
	.section	.text._Z26warp_inclusive_scan_kernelIN10test_utils16custom_test_typeIiEELj256ELj64EENSt9enable_ifIXntsr10test_utilsE35device_test_enabled_for_warp_size_vIXT1_EEEvE4typeEPT_S7_,"axG",@progbits,_Z26warp_inclusive_scan_kernelIN10test_utils16custom_test_typeIiEELj256ELj64EENSt9enable_ifIXntsr10test_utilsE35device_test_enabled_for_warp_size_vIXT1_EEEvE4typeEPT_S7_,comdat
	.protected	_Z26warp_inclusive_scan_kernelIN10test_utils16custom_test_typeIiEELj256ELj64EENSt9enable_ifIXntsr10test_utilsE35device_test_enabled_for_warp_size_vIXT1_EEEvE4typeEPT_S7_ ; -- Begin function _Z26warp_inclusive_scan_kernelIN10test_utils16custom_test_typeIiEELj256ELj64EENSt9enable_ifIXntsr10test_utilsE35device_test_enabled_for_warp_size_vIXT1_EEEvE4typeEPT_S7_
	.globl	_Z26warp_inclusive_scan_kernelIN10test_utils16custom_test_typeIiEELj256ELj64EENSt9enable_ifIXntsr10test_utilsE35device_test_enabled_for_warp_size_vIXT1_EEEvE4typeEPT_S7_
	.p2align	8
	.type	_Z26warp_inclusive_scan_kernelIN10test_utils16custom_test_typeIiEELj256ELj64EENSt9enable_ifIXntsr10test_utilsE35device_test_enabled_for_warp_size_vIXT1_EEEvE4typeEPT_S7_,@function
_Z26warp_inclusive_scan_kernelIN10test_utils16custom_test_typeIiEELj256ELj64EENSt9enable_ifIXntsr10test_utilsE35device_test_enabled_for_warp_size_vIXT1_EEEvE4typeEPT_S7_: ; @_Z26warp_inclusive_scan_kernelIN10test_utils16custom_test_typeIiEELj256ELj64EENSt9enable_ifIXntsr10test_utilsE35device_test_enabled_for_warp_size_vIXT1_EEEvE4typeEPT_S7_
; %bb.0:
	s_endpgm
	.section	.rodata,"a",@progbits
	.p2align	6, 0x0
	.amdhsa_kernel _Z26warp_inclusive_scan_kernelIN10test_utils16custom_test_typeIiEELj256ELj64EENSt9enable_ifIXntsr10test_utilsE35device_test_enabled_for_warp_size_vIXT1_EEEvE4typeEPT_S7_
		.amdhsa_group_segment_fixed_size 0
		.amdhsa_private_segment_fixed_size 0
		.amdhsa_kernarg_size 16
		.amdhsa_user_sgpr_count 15
		.amdhsa_user_sgpr_dispatch_ptr 0
		.amdhsa_user_sgpr_queue_ptr 0
		.amdhsa_user_sgpr_kernarg_segment_ptr 1
		.amdhsa_user_sgpr_dispatch_id 0
		.amdhsa_user_sgpr_private_segment_size 0
		.amdhsa_wavefront_size32 1
		.amdhsa_uses_dynamic_stack 0
		.amdhsa_enable_private_segment 0
		.amdhsa_system_sgpr_workgroup_id_x 1
		.amdhsa_system_sgpr_workgroup_id_y 0
		.amdhsa_system_sgpr_workgroup_id_z 0
		.amdhsa_system_sgpr_workgroup_info 0
		.amdhsa_system_vgpr_workitem_id 0
		.amdhsa_next_free_vgpr 1
		.amdhsa_next_free_sgpr 1
		.amdhsa_reserve_vcc 0
		.amdhsa_float_round_mode_32 0
		.amdhsa_float_round_mode_16_64 0
		.amdhsa_float_denorm_mode_32 3
		.amdhsa_float_denorm_mode_16_64 3
		.amdhsa_dx10_clamp 1
		.amdhsa_ieee_mode 1
		.amdhsa_fp16_overflow 0
		.amdhsa_workgroup_processor_mode 1
		.amdhsa_memory_ordered 1
		.amdhsa_forward_progress 0
		.amdhsa_shared_vgpr_count 0
		.amdhsa_exception_fp_ieee_invalid_op 0
		.amdhsa_exception_fp_denorm_src 0
		.amdhsa_exception_fp_ieee_div_zero 0
		.amdhsa_exception_fp_ieee_overflow 0
		.amdhsa_exception_fp_ieee_underflow 0
		.amdhsa_exception_fp_ieee_inexact 0
		.amdhsa_exception_int_div_zero 0
	.end_amdhsa_kernel
	.section	.text._Z26warp_inclusive_scan_kernelIN10test_utils16custom_test_typeIiEELj256ELj64EENSt9enable_ifIXntsr10test_utilsE35device_test_enabled_for_warp_size_vIXT1_EEEvE4typeEPT_S7_,"axG",@progbits,_Z26warp_inclusive_scan_kernelIN10test_utils16custom_test_typeIiEELj256ELj64EENSt9enable_ifIXntsr10test_utilsE35device_test_enabled_for_warp_size_vIXT1_EEEvE4typeEPT_S7_,comdat
.Lfunc_end327:
	.size	_Z26warp_inclusive_scan_kernelIN10test_utils16custom_test_typeIiEELj256ELj64EENSt9enable_ifIXntsr10test_utilsE35device_test_enabled_for_warp_size_vIXT1_EEEvE4typeEPT_S7_, .Lfunc_end327-_Z26warp_inclusive_scan_kernelIN10test_utils16custom_test_typeIiEELj256ELj64EENSt9enable_ifIXntsr10test_utilsE35device_test_enabled_for_warp_size_vIXT1_EEEvE4typeEPT_S7_
                                        ; -- End function
	.section	.AMDGPU.csdata,"",@progbits
; Kernel info:
; codeLenInByte = 4
; NumSgprs: 0
; NumVgprs: 0
; ScratchSize: 0
; MemoryBound: 0
; FloatMode: 240
; IeeeMode: 1
; LDSByteSize: 0 bytes/workgroup (compile time only)
; SGPRBlocks: 0
; VGPRBlocks: 0
; NumSGPRsForWavesPerEU: 1
; NumVGPRsForWavesPerEU: 1
; Occupancy: 16
; WaveLimiterHint : 0
; COMPUTE_PGM_RSRC2:SCRATCH_EN: 0
; COMPUTE_PGM_RSRC2:USER_SGPR: 15
; COMPUTE_PGM_RSRC2:TRAP_HANDLER: 0
; COMPUTE_PGM_RSRC2:TGID_X_EN: 1
; COMPUTE_PGM_RSRC2:TGID_Y_EN: 0
; COMPUTE_PGM_RSRC2:TGID_Z_EN: 0
; COMPUTE_PGM_RSRC2:TIDIG_COMP_CNT: 0
	.section	.text._Z26warp_inclusive_scan_kernelIN10test_utils16custom_test_typeIiEELj128ELj32EENSt9enable_ifIXsr10test_utilsE35device_test_enabled_for_warp_size_vIXT1_EEEvE4typeEPT_S7_,"axG",@progbits,_Z26warp_inclusive_scan_kernelIN10test_utils16custom_test_typeIiEELj128ELj32EENSt9enable_ifIXsr10test_utilsE35device_test_enabled_for_warp_size_vIXT1_EEEvE4typeEPT_S7_,comdat
	.protected	_Z26warp_inclusive_scan_kernelIN10test_utils16custom_test_typeIiEELj128ELj32EENSt9enable_ifIXsr10test_utilsE35device_test_enabled_for_warp_size_vIXT1_EEEvE4typeEPT_S7_ ; -- Begin function _Z26warp_inclusive_scan_kernelIN10test_utils16custom_test_typeIiEELj128ELj32EENSt9enable_ifIXsr10test_utilsE35device_test_enabled_for_warp_size_vIXT1_EEEvE4typeEPT_S7_
	.globl	_Z26warp_inclusive_scan_kernelIN10test_utils16custom_test_typeIiEELj128ELj32EENSt9enable_ifIXsr10test_utilsE35device_test_enabled_for_warp_size_vIXT1_EEEvE4typeEPT_S7_
	.p2align	8
	.type	_Z26warp_inclusive_scan_kernelIN10test_utils16custom_test_typeIiEELj128ELj32EENSt9enable_ifIXsr10test_utilsE35device_test_enabled_for_warp_size_vIXT1_EEEvE4typeEPT_S7_,@function
_Z26warp_inclusive_scan_kernelIN10test_utils16custom_test_typeIiEELj128ELj32EENSt9enable_ifIXsr10test_utilsE35device_test_enabled_for_warp_size_vIXT1_EEEvE4typeEPT_S7_: ; @_Z26warp_inclusive_scan_kernelIN10test_utils16custom_test_typeIiEELj128ELj32EENSt9enable_ifIXsr10test_utilsE35device_test_enabled_for_warp_size_vIXT1_EEEvE4typeEPT_S7_
; %bb.0:
	s_clause 0x1
	s_load_b32 s4, s[0:1], 0x1c
	s_load_b128 s[0:3], s[0:1], 0x0
	v_mbcnt_lo_u32_b32 v4, -1, 0
	s_delay_alu instid0(VALU_DEP_1) | instskip(SKIP_3) | instid1(SALU_CYCLE_1)
	v_and_b32_e32 v5, 15, v4
	v_bfe_i32 v4, v4, 4, 1
	s_waitcnt lgkmcnt(0)
	s_and_b32 s4, s4, 0xffff
	v_mad_u64_u32 v[1:2], null, s15, s4, v[0:1]
	v_mov_b32_e32 v2, 0
	s_delay_alu instid0(VALU_DEP_1) | instskip(NEXT) | instid1(VALU_DEP_1)
	v_lshlrev_b64 v[0:1], 3, v[1:2]
	v_add_co_u32 v2, vcc_lo, s0, v0
	s_delay_alu instid0(VALU_DEP_2)
	v_add_co_ci_u32_e32 v3, vcc_lo, s1, v1, vcc_lo
	v_cmp_eq_u32_e32 vcc_lo, 0, v5
	global_load_b64 v[2:3], v[2:3], off
	s_waitcnt vmcnt(0)
	v_mov_b32_dpp v7, v3 row_shr:1 row_mask:0xf bank_mask:0xf
	v_mov_b32_dpp v6, v2 row_shr:1 row_mask:0xf bank_mask:0xf
	s_delay_alu instid0(VALU_DEP_2) | instskip(NEXT) | instid1(VALU_DEP_2)
	v_cndmask_b32_e64 v7, v7, 0, vcc_lo
	v_cndmask_b32_e64 v6, v6, 0, vcc_lo
	v_cmp_lt_u32_e32 vcc_lo, 1, v5
	s_delay_alu instid0(VALU_DEP_3) | instskip(NEXT) | instid1(VALU_DEP_1)
	v_add_nc_u32_e32 v3, v7, v3
	v_mov_b32_dpp v7, v3 row_shr:2 row_mask:0xf bank_mask:0xf
	s_delay_alu instid0(VALU_DEP_1) | instskip(NEXT) | instid1(VALU_DEP_1)
	v_dual_cndmask_b32 v7, 0, v7 :: v_dual_add_nc_u32 v2, v6, v2
	v_mov_b32_dpp v6, v2 row_shr:2 row_mask:0xf bank_mask:0xf
	s_delay_alu instid0(VALU_DEP_1) | instskip(SKIP_1) | instid1(VALU_DEP_4)
	v_cndmask_b32_e32 v6, 0, v6, vcc_lo
	v_cmp_lt_u32_e32 vcc_lo, 3, v5
	v_add_nc_u32_e32 v3, v3, v7
	s_delay_alu instid0(VALU_DEP_1) | instskip(NEXT) | instid1(VALU_DEP_1)
	v_mov_b32_dpp v7, v3 row_shr:4 row_mask:0xf bank_mask:0xf
	v_dual_cndmask_b32 v7, 0, v7 :: v_dual_add_nc_u32 v2, v2, v6
	s_delay_alu instid0(VALU_DEP_1) | instskip(NEXT) | instid1(VALU_DEP_1)
	v_mov_b32_dpp v6, v2 row_shr:4 row_mask:0xf bank_mask:0xf
	v_cndmask_b32_e32 v6, 0, v6, vcc_lo
	v_cmp_lt_u32_e32 vcc_lo, 7, v5
	s_delay_alu instid0(VALU_DEP_4) | instskip(NEXT) | instid1(VALU_DEP_1)
	v_add_nc_u32_e32 v3, v3, v7
	v_mov_b32_dpp v7, v3 row_shr:8 row_mask:0xf bank_mask:0xf
	s_delay_alu instid0(VALU_DEP_1) | instskip(NEXT) | instid1(VALU_DEP_1)
	v_dual_cndmask_b32 v5, 0, v7 :: v_dual_add_nc_u32 v2, v2, v6
	v_mov_b32_dpp v6, v2 row_shr:8 row_mask:0xf bank_mask:0xf
	s_delay_alu instid0(VALU_DEP_1) | instskip(SKIP_2) | instid1(VALU_DEP_3)
	v_dual_cndmask_b32 v6, 0, v6 :: v_dual_add_nc_u32 v3, v3, v5
	v_add_co_u32 v0, vcc_lo, s2, v0
	v_add_co_ci_u32_e32 v1, vcc_lo, s3, v1, vcc_lo
	v_add_nc_u32_e32 v2, v2, v6
	ds_swizzle_b32 v6, v3 offset:swizzle(BROADCAST,32,15)
	ds_swizzle_b32 v5, v2 offset:swizzle(BROADCAST,32,15)
	s_waitcnt lgkmcnt(0)
	v_and_b32_e32 v5, v4, v5
	v_and_b32_e32 v4, v4, v6
	s_delay_alu instid0(VALU_DEP_2) | instskip(NEXT) | instid1(VALU_DEP_2)
	v_add_nc_u32_e32 v2, v5, v2
	v_add_nc_u32_e32 v3, v4, v3
	global_store_b64 v[0:1], v[2:3], off
	s_nop 0
	s_sendmsg sendmsg(MSG_DEALLOC_VGPRS)
	s_endpgm
	.section	.rodata,"a",@progbits
	.p2align	6, 0x0
	.amdhsa_kernel _Z26warp_inclusive_scan_kernelIN10test_utils16custom_test_typeIiEELj128ELj32EENSt9enable_ifIXsr10test_utilsE35device_test_enabled_for_warp_size_vIXT1_EEEvE4typeEPT_S7_
		.amdhsa_group_segment_fixed_size 0
		.amdhsa_private_segment_fixed_size 0
		.amdhsa_kernarg_size 272
		.amdhsa_user_sgpr_count 15
		.amdhsa_user_sgpr_dispatch_ptr 0
		.amdhsa_user_sgpr_queue_ptr 0
		.amdhsa_user_sgpr_kernarg_segment_ptr 1
		.amdhsa_user_sgpr_dispatch_id 0
		.amdhsa_user_sgpr_private_segment_size 0
		.amdhsa_wavefront_size32 1
		.amdhsa_uses_dynamic_stack 0
		.amdhsa_enable_private_segment 0
		.amdhsa_system_sgpr_workgroup_id_x 1
		.amdhsa_system_sgpr_workgroup_id_y 0
		.amdhsa_system_sgpr_workgroup_id_z 0
		.amdhsa_system_sgpr_workgroup_info 0
		.amdhsa_system_vgpr_workitem_id 0
		.amdhsa_next_free_vgpr 8
		.amdhsa_next_free_sgpr 16
		.amdhsa_reserve_vcc 1
		.amdhsa_float_round_mode_32 0
		.amdhsa_float_round_mode_16_64 0
		.amdhsa_float_denorm_mode_32 3
		.amdhsa_float_denorm_mode_16_64 3
		.amdhsa_dx10_clamp 1
		.amdhsa_ieee_mode 1
		.amdhsa_fp16_overflow 0
		.amdhsa_workgroup_processor_mode 1
		.amdhsa_memory_ordered 1
		.amdhsa_forward_progress 0
		.amdhsa_shared_vgpr_count 0
		.amdhsa_exception_fp_ieee_invalid_op 0
		.amdhsa_exception_fp_denorm_src 0
		.amdhsa_exception_fp_ieee_div_zero 0
		.amdhsa_exception_fp_ieee_overflow 0
		.amdhsa_exception_fp_ieee_underflow 0
		.amdhsa_exception_fp_ieee_inexact 0
		.amdhsa_exception_int_div_zero 0
	.end_amdhsa_kernel
	.section	.text._Z26warp_inclusive_scan_kernelIN10test_utils16custom_test_typeIiEELj128ELj32EENSt9enable_ifIXsr10test_utilsE35device_test_enabled_for_warp_size_vIXT1_EEEvE4typeEPT_S7_,"axG",@progbits,_Z26warp_inclusive_scan_kernelIN10test_utils16custom_test_typeIiEELj128ELj32EENSt9enable_ifIXsr10test_utilsE35device_test_enabled_for_warp_size_vIXT1_EEEvE4typeEPT_S7_,comdat
.Lfunc_end328:
	.size	_Z26warp_inclusive_scan_kernelIN10test_utils16custom_test_typeIiEELj128ELj32EENSt9enable_ifIXsr10test_utilsE35device_test_enabled_for_warp_size_vIXT1_EEEvE4typeEPT_S7_, .Lfunc_end328-_Z26warp_inclusive_scan_kernelIN10test_utils16custom_test_typeIiEELj128ELj32EENSt9enable_ifIXsr10test_utilsE35device_test_enabled_for_warp_size_vIXT1_EEEvE4typeEPT_S7_
                                        ; -- End function
	.section	.AMDGPU.csdata,"",@progbits
; Kernel info:
; codeLenInByte = 368
; NumSgprs: 18
; NumVgprs: 8
; ScratchSize: 0
; MemoryBound: 0
; FloatMode: 240
; IeeeMode: 1
; LDSByteSize: 0 bytes/workgroup (compile time only)
; SGPRBlocks: 2
; VGPRBlocks: 0
; NumSGPRsForWavesPerEU: 18
; NumVGPRsForWavesPerEU: 8
; Occupancy: 16
; WaveLimiterHint : 0
; COMPUTE_PGM_RSRC2:SCRATCH_EN: 0
; COMPUTE_PGM_RSRC2:USER_SGPR: 15
; COMPUTE_PGM_RSRC2:TRAP_HANDLER: 0
; COMPUTE_PGM_RSRC2:TGID_X_EN: 1
; COMPUTE_PGM_RSRC2:TGID_Y_EN: 0
; COMPUTE_PGM_RSRC2:TGID_Z_EN: 0
; COMPUTE_PGM_RSRC2:TIDIG_COMP_CNT: 0
	.section	.text._Z26warp_inclusive_scan_kernelIN10test_utils16custom_test_typeIiEELj64ELj16EENSt9enable_ifIXsr10test_utilsE35device_test_enabled_for_warp_size_vIXT1_EEEvE4typeEPT_S7_,"axG",@progbits,_Z26warp_inclusive_scan_kernelIN10test_utils16custom_test_typeIiEELj64ELj16EENSt9enable_ifIXsr10test_utilsE35device_test_enabled_for_warp_size_vIXT1_EEEvE4typeEPT_S7_,comdat
	.protected	_Z26warp_inclusive_scan_kernelIN10test_utils16custom_test_typeIiEELj64ELj16EENSt9enable_ifIXsr10test_utilsE35device_test_enabled_for_warp_size_vIXT1_EEEvE4typeEPT_S7_ ; -- Begin function _Z26warp_inclusive_scan_kernelIN10test_utils16custom_test_typeIiEELj64ELj16EENSt9enable_ifIXsr10test_utilsE35device_test_enabled_for_warp_size_vIXT1_EEEvE4typeEPT_S7_
	.globl	_Z26warp_inclusive_scan_kernelIN10test_utils16custom_test_typeIiEELj64ELj16EENSt9enable_ifIXsr10test_utilsE35device_test_enabled_for_warp_size_vIXT1_EEEvE4typeEPT_S7_
	.p2align	8
	.type	_Z26warp_inclusive_scan_kernelIN10test_utils16custom_test_typeIiEELj64ELj16EENSt9enable_ifIXsr10test_utilsE35device_test_enabled_for_warp_size_vIXT1_EEEvE4typeEPT_S7_,@function
_Z26warp_inclusive_scan_kernelIN10test_utils16custom_test_typeIiEELj64ELj16EENSt9enable_ifIXsr10test_utilsE35device_test_enabled_for_warp_size_vIXT1_EEEvE4typeEPT_S7_: ; @_Z26warp_inclusive_scan_kernelIN10test_utils16custom_test_typeIiEELj64ELj16EENSt9enable_ifIXsr10test_utilsE35device_test_enabled_for_warp_size_vIXT1_EEEvE4typeEPT_S7_
; %bb.0:
	s_clause 0x1
	s_load_b32 s4, s[0:1], 0x1c
	s_load_b128 s[0:3], s[0:1], 0x0
	v_mbcnt_lo_u32_b32 v4, -1, 0
	s_delay_alu instid0(VALU_DEP_1) | instskip(SKIP_2) | instid1(SALU_CYCLE_1)
	v_and_b32_e32 v4, 15, v4
	s_waitcnt lgkmcnt(0)
	s_and_b32 s4, s4, 0xffff
	v_mad_u64_u32 v[1:2], null, s15, s4, v[0:1]
	v_mov_b32_e32 v2, 0
	s_delay_alu instid0(VALU_DEP_1) | instskip(NEXT) | instid1(VALU_DEP_1)
	v_lshlrev_b64 v[0:1], 3, v[1:2]
	v_add_co_u32 v2, vcc_lo, s0, v0
	s_delay_alu instid0(VALU_DEP_2)
	v_add_co_ci_u32_e32 v3, vcc_lo, s1, v1, vcc_lo
	v_cmp_eq_u32_e32 vcc_lo, 0, v4
	global_load_b64 v[2:3], v[2:3], off
	s_waitcnt vmcnt(0)
	v_mov_b32_dpp v6, v3 row_shr:1 row_mask:0xf bank_mask:0xf
	v_mov_b32_dpp v5, v2 row_shr:1 row_mask:0xf bank_mask:0xf
	s_delay_alu instid0(VALU_DEP_2) | instskip(NEXT) | instid1(VALU_DEP_2)
	v_cndmask_b32_e64 v6, v6, 0, vcc_lo
	v_cndmask_b32_e64 v5, v5, 0, vcc_lo
	v_cmp_lt_u32_e32 vcc_lo, 1, v4
	s_delay_alu instid0(VALU_DEP_3) | instskip(NEXT) | instid1(VALU_DEP_3)
	v_add_nc_u32_e32 v3, v6, v3
	v_add_nc_u32_e32 v2, v5, v2
	s_delay_alu instid0(VALU_DEP_2) | instskip(NEXT) | instid1(VALU_DEP_2)
	v_mov_b32_dpp v6, v3 row_shr:2 row_mask:0xf bank_mask:0xf
	v_mov_b32_dpp v5, v2 row_shr:2 row_mask:0xf bank_mask:0xf
	s_delay_alu instid0(VALU_DEP_1) | instskip(SKIP_1) | instid1(VALU_DEP_2)
	v_dual_cndmask_b32 v6, 0, v6 :: v_dual_cndmask_b32 v5, 0, v5
	v_cmp_lt_u32_e32 vcc_lo, 3, v4
	v_add_nc_u32_e32 v3, v3, v6
	s_delay_alu instid0(VALU_DEP_1) | instskip(NEXT) | instid1(VALU_DEP_1)
	v_mov_b32_dpp v6, v3 row_shr:4 row_mask:0xf bank_mask:0xf
	v_cndmask_b32_e32 v6, 0, v6, vcc_lo
	s_delay_alu instid0(VALU_DEP_1) | instskip(NEXT) | instid1(VALU_DEP_1)
	v_add_nc_u32_e32 v3, v3, v6
	v_mov_b32_dpp v6, v3 row_shr:8 row_mask:0xf bank_mask:0xf
	v_add_nc_u32_e32 v2, v2, v5
	s_delay_alu instid0(VALU_DEP_1) | instskip(NEXT) | instid1(VALU_DEP_1)
	v_mov_b32_dpp v5, v2 row_shr:4 row_mask:0xf bank_mask:0xf
	v_cndmask_b32_e32 v5, 0, v5, vcc_lo
	v_cmp_lt_u32_e32 vcc_lo, 7, v4
	s_delay_alu instid0(VALU_DEP_2) | instskip(NEXT) | instid1(VALU_DEP_1)
	v_add_nc_u32_e32 v2, v2, v5
	v_mov_b32_dpp v5, v2 row_shr:8 row_mask:0xf bank_mask:0xf
	s_delay_alu instid0(VALU_DEP_1) | instskip(SKIP_2) | instid1(VALU_DEP_3)
	v_dual_cndmask_b32 v4, 0, v5 :: v_dual_cndmask_b32 v5, 0, v6
	v_add_co_u32 v0, vcc_lo, s2, v0
	v_add_co_ci_u32_e32 v1, vcc_lo, s3, v1, vcc_lo
	v_add_nc_u32_e32 v2, v4, v2
	s_delay_alu instid0(VALU_DEP_4)
	v_add_nc_u32_e32 v3, v5, v3
	global_store_b64 v[0:1], v[2:3], off
	s_nop 0
	s_sendmsg sendmsg(MSG_DEALLOC_VGPRS)
	s_endpgm
	.section	.rodata,"a",@progbits
	.p2align	6, 0x0
	.amdhsa_kernel _Z26warp_inclusive_scan_kernelIN10test_utils16custom_test_typeIiEELj64ELj16EENSt9enable_ifIXsr10test_utilsE35device_test_enabled_for_warp_size_vIXT1_EEEvE4typeEPT_S7_
		.amdhsa_group_segment_fixed_size 0
		.amdhsa_private_segment_fixed_size 0
		.amdhsa_kernarg_size 272
		.amdhsa_user_sgpr_count 15
		.amdhsa_user_sgpr_dispatch_ptr 0
		.amdhsa_user_sgpr_queue_ptr 0
		.amdhsa_user_sgpr_kernarg_segment_ptr 1
		.amdhsa_user_sgpr_dispatch_id 0
		.amdhsa_user_sgpr_private_segment_size 0
		.amdhsa_wavefront_size32 1
		.amdhsa_uses_dynamic_stack 0
		.amdhsa_enable_private_segment 0
		.amdhsa_system_sgpr_workgroup_id_x 1
		.amdhsa_system_sgpr_workgroup_id_y 0
		.amdhsa_system_sgpr_workgroup_id_z 0
		.amdhsa_system_sgpr_workgroup_info 0
		.amdhsa_system_vgpr_workitem_id 0
		.amdhsa_next_free_vgpr 7
		.amdhsa_next_free_sgpr 16
		.amdhsa_reserve_vcc 1
		.amdhsa_float_round_mode_32 0
		.amdhsa_float_round_mode_16_64 0
		.amdhsa_float_denorm_mode_32 3
		.amdhsa_float_denorm_mode_16_64 3
		.amdhsa_dx10_clamp 1
		.amdhsa_ieee_mode 1
		.amdhsa_fp16_overflow 0
		.amdhsa_workgroup_processor_mode 1
		.amdhsa_memory_ordered 1
		.amdhsa_forward_progress 0
		.amdhsa_shared_vgpr_count 0
		.amdhsa_exception_fp_ieee_invalid_op 0
		.amdhsa_exception_fp_denorm_src 0
		.amdhsa_exception_fp_ieee_div_zero 0
		.amdhsa_exception_fp_ieee_overflow 0
		.amdhsa_exception_fp_ieee_underflow 0
		.amdhsa_exception_fp_ieee_inexact 0
		.amdhsa_exception_int_div_zero 0
	.end_amdhsa_kernel
	.section	.text._Z26warp_inclusive_scan_kernelIN10test_utils16custom_test_typeIiEELj64ELj16EENSt9enable_ifIXsr10test_utilsE35device_test_enabled_for_warp_size_vIXT1_EEEvE4typeEPT_S7_,"axG",@progbits,_Z26warp_inclusive_scan_kernelIN10test_utils16custom_test_typeIiEELj64ELj16EENSt9enable_ifIXsr10test_utilsE35device_test_enabled_for_warp_size_vIXT1_EEEvE4typeEPT_S7_,comdat
.Lfunc_end329:
	.size	_Z26warp_inclusive_scan_kernelIN10test_utils16custom_test_typeIiEELj64ELj16EENSt9enable_ifIXsr10test_utilsE35device_test_enabled_for_warp_size_vIXT1_EEEvE4typeEPT_S7_, .Lfunc_end329-_Z26warp_inclusive_scan_kernelIN10test_utils16custom_test_typeIiEELj64ELj16EENSt9enable_ifIXsr10test_utilsE35device_test_enabled_for_warp_size_vIXT1_EEEvE4typeEPT_S7_
                                        ; -- End function
	.section	.AMDGPU.csdata,"",@progbits
; Kernel info:
; codeLenInByte = 324
; NumSgprs: 18
; NumVgprs: 7
; ScratchSize: 0
; MemoryBound: 0
; FloatMode: 240
; IeeeMode: 1
; LDSByteSize: 0 bytes/workgroup (compile time only)
; SGPRBlocks: 2
; VGPRBlocks: 0
; NumSGPRsForWavesPerEU: 18
; NumVGPRsForWavesPerEU: 7
; Occupancy: 16
; WaveLimiterHint : 0
; COMPUTE_PGM_RSRC2:SCRATCH_EN: 0
; COMPUTE_PGM_RSRC2:USER_SGPR: 15
; COMPUTE_PGM_RSRC2:TRAP_HANDLER: 0
; COMPUTE_PGM_RSRC2:TGID_X_EN: 1
; COMPUTE_PGM_RSRC2:TGID_Y_EN: 0
; COMPUTE_PGM_RSRC2:TGID_Z_EN: 0
; COMPUTE_PGM_RSRC2:TIDIG_COMP_CNT: 0
	.section	.text._Z26warp_inclusive_scan_kernelIN10test_utils16custom_test_typeIiEELj32ELj8EENSt9enable_ifIXsr10test_utilsE35device_test_enabled_for_warp_size_vIXT1_EEEvE4typeEPT_S7_,"axG",@progbits,_Z26warp_inclusive_scan_kernelIN10test_utils16custom_test_typeIiEELj32ELj8EENSt9enable_ifIXsr10test_utilsE35device_test_enabled_for_warp_size_vIXT1_EEEvE4typeEPT_S7_,comdat
	.protected	_Z26warp_inclusive_scan_kernelIN10test_utils16custom_test_typeIiEELj32ELj8EENSt9enable_ifIXsr10test_utilsE35device_test_enabled_for_warp_size_vIXT1_EEEvE4typeEPT_S7_ ; -- Begin function _Z26warp_inclusive_scan_kernelIN10test_utils16custom_test_typeIiEELj32ELj8EENSt9enable_ifIXsr10test_utilsE35device_test_enabled_for_warp_size_vIXT1_EEEvE4typeEPT_S7_
	.globl	_Z26warp_inclusive_scan_kernelIN10test_utils16custom_test_typeIiEELj32ELj8EENSt9enable_ifIXsr10test_utilsE35device_test_enabled_for_warp_size_vIXT1_EEEvE4typeEPT_S7_
	.p2align	8
	.type	_Z26warp_inclusive_scan_kernelIN10test_utils16custom_test_typeIiEELj32ELj8EENSt9enable_ifIXsr10test_utilsE35device_test_enabled_for_warp_size_vIXT1_EEEvE4typeEPT_S7_,@function
_Z26warp_inclusive_scan_kernelIN10test_utils16custom_test_typeIiEELj32ELj8EENSt9enable_ifIXsr10test_utilsE35device_test_enabled_for_warp_size_vIXT1_EEEvE4typeEPT_S7_: ; @_Z26warp_inclusive_scan_kernelIN10test_utils16custom_test_typeIiEELj32ELj8EENSt9enable_ifIXsr10test_utilsE35device_test_enabled_for_warp_size_vIXT1_EEEvE4typeEPT_S7_
; %bb.0:
	s_clause 0x1
	s_load_b32 s4, s[0:1], 0x1c
	s_load_b128 s[0:3], s[0:1], 0x0
	v_mbcnt_lo_u32_b32 v4, -1, 0
	s_delay_alu instid0(VALU_DEP_1) | instskip(SKIP_2) | instid1(SALU_CYCLE_1)
	v_and_b32_e32 v4, 7, v4
	s_waitcnt lgkmcnt(0)
	s_and_b32 s4, s4, 0xffff
	v_mad_u64_u32 v[1:2], null, s15, s4, v[0:1]
	v_mov_b32_e32 v2, 0
	s_delay_alu instid0(VALU_DEP_1) | instskip(NEXT) | instid1(VALU_DEP_1)
	v_lshlrev_b64 v[0:1], 3, v[1:2]
	v_add_co_u32 v2, vcc_lo, s0, v0
	s_delay_alu instid0(VALU_DEP_2)
	v_add_co_ci_u32_e32 v3, vcc_lo, s1, v1, vcc_lo
	v_cmp_eq_u32_e32 vcc_lo, 0, v4
	global_load_b64 v[2:3], v[2:3], off
	s_waitcnt vmcnt(0)
	v_mov_b32_dpp v6, v3 row_shr:1 row_mask:0xf bank_mask:0xf
	v_mov_b32_dpp v5, v2 row_shr:1 row_mask:0xf bank_mask:0xf
	s_delay_alu instid0(VALU_DEP_2) | instskip(NEXT) | instid1(VALU_DEP_2)
	v_cndmask_b32_e64 v6, v6, 0, vcc_lo
	v_cndmask_b32_e64 v5, v5, 0, vcc_lo
	v_cmp_lt_u32_e32 vcc_lo, 1, v4
	s_delay_alu instid0(VALU_DEP_3) | instskip(NEXT) | instid1(VALU_DEP_3)
	v_add_nc_u32_e32 v3, v6, v3
	v_add_nc_u32_e32 v2, v5, v2
	s_delay_alu instid0(VALU_DEP_2) | instskip(NEXT) | instid1(VALU_DEP_2)
	v_mov_b32_dpp v6, v3 row_shr:2 row_mask:0xf bank_mask:0xf
	v_mov_b32_dpp v5, v2 row_shr:2 row_mask:0xf bank_mask:0xf
	s_delay_alu instid0(VALU_DEP_1) | instskip(SKIP_1) | instid1(VALU_DEP_2)
	v_dual_cndmask_b32 v6, 0, v6 :: v_dual_cndmask_b32 v5, 0, v5
	v_cmp_lt_u32_e32 vcc_lo, 3, v4
	v_add_nc_u32_e32 v3, v3, v6
	s_delay_alu instid0(VALU_DEP_1) | instskip(NEXT) | instid1(VALU_DEP_4)
	v_mov_b32_dpp v6, v3 row_shr:4 row_mask:0xf bank_mask:0xf
	v_add_nc_u32_e32 v2, v2, v5
	s_delay_alu instid0(VALU_DEP_1) | instskip(NEXT) | instid1(VALU_DEP_1)
	v_mov_b32_dpp v5, v2 row_shr:4 row_mask:0xf bank_mask:0xf
	v_dual_cndmask_b32 v4, 0, v5 :: v_dual_cndmask_b32 v5, 0, v6
	v_add_co_u32 v0, vcc_lo, s2, v0
	v_add_co_ci_u32_e32 v1, vcc_lo, s3, v1, vcc_lo
	s_delay_alu instid0(VALU_DEP_3) | instskip(NEXT) | instid1(VALU_DEP_4)
	v_add_nc_u32_e32 v2, v4, v2
	v_add_nc_u32_e32 v3, v5, v3
	global_store_b64 v[0:1], v[2:3], off
	s_nop 0
	s_sendmsg sendmsg(MSG_DEALLOC_VGPRS)
	s_endpgm
	.section	.rodata,"a",@progbits
	.p2align	6, 0x0
	.amdhsa_kernel _Z26warp_inclusive_scan_kernelIN10test_utils16custom_test_typeIiEELj32ELj8EENSt9enable_ifIXsr10test_utilsE35device_test_enabled_for_warp_size_vIXT1_EEEvE4typeEPT_S7_
		.amdhsa_group_segment_fixed_size 0
		.amdhsa_private_segment_fixed_size 0
		.amdhsa_kernarg_size 272
		.amdhsa_user_sgpr_count 15
		.amdhsa_user_sgpr_dispatch_ptr 0
		.amdhsa_user_sgpr_queue_ptr 0
		.amdhsa_user_sgpr_kernarg_segment_ptr 1
		.amdhsa_user_sgpr_dispatch_id 0
		.amdhsa_user_sgpr_private_segment_size 0
		.amdhsa_wavefront_size32 1
		.amdhsa_uses_dynamic_stack 0
		.amdhsa_enable_private_segment 0
		.amdhsa_system_sgpr_workgroup_id_x 1
		.amdhsa_system_sgpr_workgroup_id_y 0
		.amdhsa_system_sgpr_workgroup_id_z 0
		.amdhsa_system_sgpr_workgroup_info 0
		.amdhsa_system_vgpr_workitem_id 0
		.amdhsa_next_free_vgpr 7
		.amdhsa_next_free_sgpr 16
		.amdhsa_reserve_vcc 1
		.amdhsa_float_round_mode_32 0
		.amdhsa_float_round_mode_16_64 0
		.amdhsa_float_denorm_mode_32 3
		.amdhsa_float_denorm_mode_16_64 3
		.amdhsa_dx10_clamp 1
		.amdhsa_ieee_mode 1
		.amdhsa_fp16_overflow 0
		.amdhsa_workgroup_processor_mode 1
		.amdhsa_memory_ordered 1
		.amdhsa_forward_progress 0
		.amdhsa_shared_vgpr_count 0
		.amdhsa_exception_fp_ieee_invalid_op 0
		.amdhsa_exception_fp_denorm_src 0
		.amdhsa_exception_fp_ieee_div_zero 0
		.amdhsa_exception_fp_ieee_overflow 0
		.amdhsa_exception_fp_ieee_underflow 0
		.amdhsa_exception_fp_ieee_inexact 0
		.amdhsa_exception_int_div_zero 0
	.end_amdhsa_kernel
	.section	.text._Z26warp_inclusive_scan_kernelIN10test_utils16custom_test_typeIiEELj32ELj8EENSt9enable_ifIXsr10test_utilsE35device_test_enabled_for_warp_size_vIXT1_EEEvE4typeEPT_S7_,"axG",@progbits,_Z26warp_inclusive_scan_kernelIN10test_utils16custom_test_typeIiEELj32ELj8EENSt9enable_ifIXsr10test_utilsE35device_test_enabled_for_warp_size_vIXT1_EEEvE4typeEPT_S7_,comdat
.Lfunc_end330:
	.size	_Z26warp_inclusive_scan_kernelIN10test_utils16custom_test_typeIiEELj32ELj8EENSt9enable_ifIXsr10test_utilsE35device_test_enabled_for_warp_size_vIXT1_EEEvE4typeEPT_S7_, .Lfunc_end330-_Z26warp_inclusive_scan_kernelIN10test_utils16custom_test_typeIiEELj32ELj8EENSt9enable_ifIXsr10test_utilsE35device_test_enabled_for_warp_size_vIXT1_EEEvE4typeEPT_S7_
                                        ; -- End function
	.section	.AMDGPU.csdata,"",@progbits
; Kernel info:
; codeLenInByte = 276
; NumSgprs: 18
; NumVgprs: 7
; ScratchSize: 0
; MemoryBound: 0
; FloatMode: 240
; IeeeMode: 1
; LDSByteSize: 0 bytes/workgroup (compile time only)
; SGPRBlocks: 2
; VGPRBlocks: 0
; NumSGPRsForWavesPerEU: 18
; NumVGPRsForWavesPerEU: 7
; Occupancy: 16
; WaveLimiterHint : 0
; COMPUTE_PGM_RSRC2:SCRATCH_EN: 0
; COMPUTE_PGM_RSRC2:USER_SGPR: 15
; COMPUTE_PGM_RSRC2:TRAP_HANDLER: 0
; COMPUTE_PGM_RSRC2:TGID_X_EN: 1
; COMPUTE_PGM_RSRC2:TGID_Y_EN: 0
; COMPUTE_PGM_RSRC2:TGID_Z_EN: 0
; COMPUTE_PGM_RSRC2:TIDIG_COMP_CNT: 0
	.section	.text._Z26warp_inclusive_scan_kernelIN10test_utils16custom_test_typeIiEELj64ELj8EENSt9enable_ifIXsr10test_utilsE35device_test_enabled_for_warp_size_vIXT1_EEEvE4typeEPT_S7_,"axG",@progbits,_Z26warp_inclusive_scan_kernelIN10test_utils16custom_test_typeIiEELj64ELj8EENSt9enable_ifIXsr10test_utilsE35device_test_enabled_for_warp_size_vIXT1_EEEvE4typeEPT_S7_,comdat
	.protected	_Z26warp_inclusive_scan_kernelIN10test_utils16custom_test_typeIiEELj64ELj8EENSt9enable_ifIXsr10test_utilsE35device_test_enabled_for_warp_size_vIXT1_EEEvE4typeEPT_S7_ ; -- Begin function _Z26warp_inclusive_scan_kernelIN10test_utils16custom_test_typeIiEELj64ELj8EENSt9enable_ifIXsr10test_utilsE35device_test_enabled_for_warp_size_vIXT1_EEEvE4typeEPT_S7_
	.globl	_Z26warp_inclusive_scan_kernelIN10test_utils16custom_test_typeIiEELj64ELj8EENSt9enable_ifIXsr10test_utilsE35device_test_enabled_for_warp_size_vIXT1_EEEvE4typeEPT_S7_
	.p2align	8
	.type	_Z26warp_inclusive_scan_kernelIN10test_utils16custom_test_typeIiEELj64ELj8EENSt9enable_ifIXsr10test_utilsE35device_test_enabled_for_warp_size_vIXT1_EEEvE4typeEPT_S7_,@function
_Z26warp_inclusive_scan_kernelIN10test_utils16custom_test_typeIiEELj64ELj8EENSt9enable_ifIXsr10test_utilsE35device_test_enabled_for_warp_size_vIXT1_EEEvE4typeEPT_S7_: ; @_Z26warp_inclusive_scan_kernelIN10test_utils16custom_test_typeIiEELj64ELj8EENSt9enable_ifIXsr10test_utilsE35device_test_enabled_for_warp_size_vIXT1_EEEvE4typeEPT_S7_
; %bb.0:
	s_clause 0x1
	s_load_b32 s4, s[0:1], 0x1c
	s_load_b128 s[0:3], s[0:1], 0x0
	v_mbcnt_lo_u32_b32 v4, -1, 0
	s_delay_alu instid0(VALU_DEP_1) | instskip(SKIP_2) | instid1(SALU_CYCLE_1)
	v_and_b32_e32 v4, 7, v4
	s_waitcnt lgkmcnt(0)
	s_and_b32 s4, s4, 0xffff
	v_mad_u64_u32 v[1:2], null, s15, s4, v[0:1]
	v_mov_b32_e32 v2, 0
	s_delay_alu instid0(VALU_DEP_1) | instskip(NEXT) | instid1(VALU_DEP_1)
	v_lshlrev_b64 v[0:1], 3, v[1:2]
	v_add_co_u32 v2, vcc_lo, s0, v0
	s_delay_alu instid0(VALU_DEP_2)
	v_add_co_ci_u32_e32 v3, vcc_lo, s1, v1, vcc_lo
	v_cmp_eq_u32_e32 vcc_lo, 0, v4
	global_load_b64 v[2:3], v[2:3], off
	s_waitcnt vmcnt(0)
	v_mov_b32_dpp v6, v3 row_shr:1 row_mask:0xf bank_mask:0xf
	v_mov_b32_dpp v5, v2 row_shr:1 row_mask:0xf bank_mask:0xf
	s_delay_alu instid0(VALU_DEP_2) | instskip(NEXT) | instid1(VALU_DEP_2)
	v_cndmask_b32_e64 v6, v6, 0, vcc_lo
	v_cndmask_b32_e64 v5, v5, 0, vcc_lo
	v_cmp_lt_u32_e32 vcc_lo, 1, v4
	s_delay_alu instid0(VALU_DEP_3) | instskip(NEXT) | instid1(VALU_DEP_3)
	v_add_nc_u32_e32 v3, v6, v3
	v_add_nc_u32_e32 v2, v5, v2
	s_delay_alu instid0(VALU_DEP_2) | instskip(NEXT) | instid1(VALU_DEP_2)
	v_mov_b32_dpp v6, v3 row_shr:2 row_mask:0xf bank_mask:0xf
	v_mov_b32_dpp v5, v2 row_shr:2 row_mask:0xf bank_mask:0xf
	s_delay_alu instid0(VALU_DEP_1) | instskip(SKIP_1) | instid1(VALU_DEP_2)
	v_dual_cndmask_b32 v6, 0, v6 :: v_dual_cndmask_b32 v5, 0, v5
	v_cmp_lt_u32_e32 vcc_lo, 3, v4
	v_add_nc_u32_e32 v3, v3, v6
	s_delay_alu instid0(VALU_DEP_1) | instskip(NEXT) | instid1(VALU_DEP_4)
	v_mov_b32_dpp v6, v3 row_shr:4 row_mask:0xf bank_mask:0xf
	v_add_nc_u32_e32 v2, v2, v5
	s_delay_alu instid0(VALU_DEP_1) | instskip(NEXT) | instid1(VALU_DEP_1)
	v_mov_b32_dpp v5, v2 row_shr:4 row_mask:0xf bank_mask:0xf
	v_dual_cndmask_b32 v4, 0, v5 :: v_dual_cndmask_b32 v5, 0, v6
	v_add_co_u32 v0, vcc_lo, s2, v0
	v_add_co_ci_u32_e32 v1, vcc_lo, s3, v1, vcc_lo
	s_delay_alu instid0(VALU_DEP_3) | instskip(NEXT) | instid1(VALU_DEP_4)
	v_add_nc_u32_e32 v2, v4, v2
	v_add_nc_u32_e32 v3, v5, v3
	global_store_b64 v[0:1], v[2:3], off
	s_nop 0
	s_sendmsg sendmsg(MSG_DEALLOC_VGPRS)
	s_endpgm
	.section	.rodata,"a",@progbits
	.p2align	6, 0x0
	.amdhsa_kernel _Z26warp_inclusive_scan_kernelIN10test_utils16custom_test_typeIiEELj64ELj8EENSt9enable_ifIXsr10test_utilsE35device_test_enabled_for_warp_size_vIXT1_EEEvE4typeEPT_S7_
		.amdhsa_group_segment_fixed_size 0
		.amdhsa_private_segment_fixed_size 0
		.amdhsa_kernarg_size 272
		.amdhsa_user_sgpr_count 15
		.amdhsa_user_sgpr_dispatch_ptr 0
		.amdhsa_user_sgpr_queue_ptr 0
		.amdhsa_user_sgpr_kernarg_segment_ptr 1
		.amdhsa_user_sgpr_dispatch_id 0
		.amdhsa_user_sgpr_private_segment_size 0
		.amdhsa_wavefront_size32 1
		.amdhsa_uses_dynamic_stack 0
		.amdhsa_enable_private_segment 0
		.amdhsa_system_sgpr_workgroup_id_x 1
		.amdhsa_system_sgpr_workgroup_id_y 0
		.amdhsa_system_sgpr_workgroup_id_z 0
		.amdhsa_system_sgpr_workgroup_info 0
		.amdhsa_system_vgpr_workitem_id 0
		.amdhsa_next_free_vgpr 7
		.amdhsa_next_free_sgpr 16
		.amdhsa_reserve_vcc 1
		.amdhsa_float_round_mode_32 0
		.amdhsa_float_round_mode_16_64 0
		.amdhsa_float_denorm_mode_32 3
		.amdhsa_float_denorm_mode_16_64 3
		.amdhsa_dx10_clamp 1
		.amdhsa_ieee_mode 1
		.amdhsa_fp16_overflow 0
		.amdhsa_workgroup_processor_mode 1
		.amdhsa_memory_ordered 1
		.amdhsa_forward_progress 0
		.amdhsa_shared_vgpr_count 0
		.amdhsa_exception_fp_ieee_invalid_op 0
		.amdhsa_exception_fp_denorm_src 0
		.amdhsa_exception_fp_ieee_div_zero 0
		.amdhsa_exception_fp_ieee_overflow 0
		.amdhsa_exception_fp_ieee_underflow 0
		.amdhsa_exception_fp_ieee_inexact 0
		.amdhsa_exception_int_div_zero 0
	.end_amdhsa_kernel
	.section	.text._Z26warp_inclusive_scan_kernelIN10test_utils16custom_test_typeIiEELj64ELj8EENSt9enable_ifIXsr10test_utilsE35device_test_enabled_for_warp_size_vIXT1_EEEvE4typeEPT_S7_,"axG",@progbits,_Z26warp_inclusive_scan_kernelIN10test_utils16custom_test_typeIiEELj64ELj8EENSt9enable_ifIXsr10test_utilsE35device_test_enabled_for_warp_size_vIXT1_EEEvE4typeEPT_S7_,comdat
.Lfunc_end331:
	.size	_Z26warp_inclusive_scan_kernelIN10test_utils16custom_test_typeIiEELj64ELj8EENSt9enable_ifIXsr10test_utilsE35device_test_enabled_for_warp_size_vIXT1_EEEvE4typeEPT_S7_, .Lfunc_end331-_Z26warp_inclusive_scan_kernelIN10test_utils16custom_test_typeIiEELj64ELj8EENSt9enable_ifIXsr10test_utilsE35device_test_enabled_for_warp_size_vIXT1_EEEvE4typeEPT_S7_
                                        ; -- End function
	.section	.AMDGPU.csdata,"",@progbits
; Kernel info:
; codeLenInByte = 276
; NumSgprs: 18
; NumVgprs: 7
; ScratchSize: 0
; MemoryBound: 0
; FloatMode: 240
; IeeeMode: 1
; LDSByteSize: 0 bytes/workgroup (compile time only)
; SGPRBlocks: 2
; VGPRBlocks: 0
; NumSGPRsForWavesPerEU: 18
; NumVGPRsForWavesPerEU: 7
; Occupancy: 16
; WaveLimiterHint : 0
; COMPUTE_PGM_RSRC2:SCRATCH_EN: 0
; COMPUTE_PGM_RSRC2:USER_SGPR: 15
; COMPUTE_PGM_RSRC2:TRAP_HANDLER: 0
; COMPUTE_PGM_RSRC2:TGID_X_EN: 1
; COMPUTE_PGM_RSRC2:TGID_Y_EN: 0
; COMPUTE_PGM_RSRC2:TGID_Z_EN: 0
; COMPUTE_PGM_RSRC2:TIDIG_COMP_CNT: 0
	.section	.text._Z26warp_inclusive_scan_kernelIN10test_utils16custom_test_typeIiEELj32ELj4EENSt9enable_ifIXsr10test_utilsE35device_test_enabled_for_warp_size_vIXT1_EEEvE4typeEPT_S7_,"axG",@progbits,_Z26warp_inclusive_scan_kernelIN10test_utils16custom_test_typeIiEELj32ELj4EENSt9enable_ifIXsr10test_utilsE35device_test_enabled_for_warp_size_vIXT1_EEEvE4typeEPT_S7_,comdat
	.protected	_Z26warp_inclusive_scan_kernelIN10test_utils16custom_test_typeIiEELj32ELj4EENSt9enable_ifIXsr10test_utilsE35device_test_enabled_for_warp_size_vIXT1_EEEvE4typeEPT_S7_ ; -- Begin function _Z26warp_inclusive_scan_kernelIN10test_utils16custom_test_typeIiEELj32ELj4EENSt9enable_ifIXsr10test_utilsE35device_test_enabled_for_warp_size_vIXT1_EEEvE4typeEPT_S7_
	.globl	_Z26warp_inclusive_scan_kernelIN10test_utils16custom_test_typeIiEELj32ELj4EENSt9enable_ifIXsr10test_utilsE35device_test_enabled_for_warp_size_vIXT1_EEEvE4typeEPT_S7_
	.p2align	8
	.type	_Z26warp_inclusive_scan_kernelIN10test_utils16custom_test_typeIiEELj32ELj4EENSt9enable_ifIXsr10test_utilsE35device_test_enabled_for_warp_size_vIXT1_EEEvE4typeEPT_S7_,@function
_Z26warp_inclusive_scan_kernelIN10test_utils16custom_test_typeIiEELj32ELj4EENSt9enable_ifIXsr10test_utilsE35device_test_enabled_for_warp_size_vIXT1_EEEvE4typeEPT_S7_: ; @_Z26warp_inclusive_scan_kernelIN10test_utils16custom_test_typeIiEELj32ELj4EENSt9enable_ifIXsr10test_utilsE35device_test_enabled_for_warp_size_vIXT1_EEEvE4typeEPT_S7_
; %bb.0:
	s_clause 0x1
	s_load_b32 s4, s[0:1], 0x1c
	s_load_b128 s[0:3], s[0:1], 0x0
	v_mbcnt_lo_u32_b32 v4, -1, 0
	s_delay_alu instid0(VALU_DEP_1) | instskip(SKIP_2) | instid1(SALU_CYCLE_1)
	v_and_b32_e32 v4, 3, v4
	s_waitcnt lgkmcnt(0)
	s_and_b32 s4, s4, 0xffff
	v_mad_u64_u32 v[1:2], null, s15, s4, v[0:1]
	v_mov_b32_e32 v2, 0
	s_delay_alu instid0(VALU_DEP_1) | instskip(NEXT) | instid1(VALU_DEP_1)
	v_lshlrev_b64 v[0:1], 3, v[1:2]
	v_add_co_u32 v2, vcc_lo, s0, v0
	s_delay_alu instid0(VALU_DEP_2)
	v_add_co_ci_u32_e32 v3, vcc_lo, s1, v1, vcc_lo
	v_cmp_eq_u32_e32 vcc_lo, 0, v4
	global_load_b64 v[2:3], v[2:3], off
	s_waitcnt vmcnt(0)
	v_mov_b32_dpp v5, v2 row_shr:1 row_mask:0xf bank_mask:0xf
	v_mov_b32_dpp v6, v3 row_shr:1 row_mask:0xf bank_mask:0xf
	s_delay_alu instid0(VALU_DEP_2) | instskip(NEXT) | instid1(VALU_DEP_2)
	v_cndmask_b32_e64 v5, v5, 0, vcc_lo
	v_cndmask_b32_e64 v6, v6, 0, vcc_lo
	v_cmp_lt_u32_e32 vcc_lo, 1, v4
	s_delay_alu instid0(VALU_DEP_3) | instskip(NEXT) | instid1(VALU_DEP_3)
	v_add_nc_u32_e32 v2, v5, v2
	v_add_nc_u32_e32 v3, v6, v3
	s_delay_alu instid0(VALU_DEP_2) | instskip(NEXT) | instid1(VALU_DEP_2)
	v_mov_b32_dpp v5, v2 row_shr:2 row_mask:0xf bank_mask:0xf
	v_mov_b32_dpp v6, v3 row_shr:2 row_mask:0xf bank_mask:0xf
	s_delay_alu instid0(VALU_DEP_1) | instskip(SKIP_2) | instid1(VALU_DEP_3)
	v_dual_cndmask_b32 v4, 0, v5 :: v_dual_cndmask_b32 v5, 0, v6
	v_add_co_u32 v0, vcc_lo, s2, v0
	v_add_co_ci_u32_e32 v1, vcc_lo, s3, v1, vcc_lo
	v_add_nc_u32_e32 v3, v5, v3
	s_delay_alu instid0(VALU_DEP_4)
	v_add_nc_u32_e32 v2, v4, v2
	global_store_b64 v[0:1], v[2:3], off
	s_nop 0
	s_sendmsg sendmsg(MSG_DEALLOC_VGPRS)
	s_endpgm
	.section	.rodata,"a",@progbits
	.p2align	6, 0x0
	.amdhsa_kernel _Z26warp_inclusive_scan_kernelIN10test_utils16custom_test_typeIiEELj32ELj4EENSt9enable_ifIXsr10test_utilsE35device_test_enabled_for_warp_size_vIXT1_EEEvE4typeEPT_S7_
		.amdhsa_group_segment_fixed_size 0
		.amdhsa_private_segment_fixed_size 0
		.amdhsa_kernarg_size 272
		.amdhsa_user_sgpr_count 15
		.amdhsa_user_sgpr_dispatch_ptr 0
		.amdhsa_user_sgpr_queue_ptr 0
		.amdhsa_user_sgpr_kernarg_segment_ptr 1
		.amdhsa_user_sgpr_dispatch_id 0
		.amdhsa_user_sgpr_private_segment_size 0
		.amdhsa_wavefront_size32 1
		.amdhsa_uses_dynamic_stack 0
		.amdhsa_enable_private_segment 0
		.amdhsa_system_sgpr_workgroup_id_x 1
		.amdhsa_system_sgpr_workgroup_id_y 0
		.amdhsa_system_sgpr_workgroup_id_z 0
		.amdhsa_system_sgpr_workgroup_info 0
		.amdhsa_system_vgpr_workitem_id 0
		.amdhsa_next_free_vgpr 7
		.amdhsa_next_free_sgpr 16
		.amdhsa_reserve_vcc 1
		.amdhsa_float_round_mode_32 0
		.amdhsa_float_round_mode_16_64 0
		.amdhsa_float_denorm_mode_32 3
		.amdhsa_float_denorm_mode_16_64 3
		.amdhsa_dx10_clamp 1
		.amdhsa_ieee_mode 1
		.amdhsa_fp16_overflow 0
		.amdhsa_workgroup_processor_mode 1
		.amdhsa_memory_ordered 1
		.amdhsa_forward_progress 0
		.amdhsa_shared_vgpr_count 0
		.amdhsa_exception_fp_ieee_invalid_op 0
		.amdhsa_exception_fp_denorm_src 0
		.amdhsa_exception_fp_ieee_div_zero 0
		.amdhsa_exception_fp_ieee_overflow 0
		.amdhsa_exception_fp_ieee_underflow 0
		.amdhsa_exception_fp_ieee_inexact 0
		.amdhsa_exception_int_div_zero 0
	.end_amdhsa_kernel
	.section	.text._Z26warp_inclusive_scan_kernelIN10test_utils16custom_test_typeIiEELj32ELj4EENSt9enable_ifIXsr10test_utilsE35device_test_enabled_for_warp_size_vIXT1_EEEvE4typeEPT_S7_,"axG",@progbits,_Z26warp_inclusive_scan_kernelIN10test_utils16custom_test_typeIiEELj32ELj4EENSt9enable_ifIXsr10test_utilsE35device_test_enabled_for_warp_size_vIXT1_EEEvE4typeEPT_S7_,comdat
.Lfunc_end332:
	.size	_Z26warp_inclusive_scan_kernelIN10test_utils16custom_test_typeIiEELj32ELj4EENSt9enable_ifIXsr10test_utilsE35device_test_enabled_for_warp_size_vIXT1_EEEvE4typeEPT_S7_, .Lfunc_end332-_Z26warp_inclusive_scan_kernelIN10test_utils16custom_test_typeIiEELj32ELj4EENSt9enable_ifIXsr10test_utilsE35device_test_enabled_for_warp_size_vIXT1_EEEvE4typeEPT_S7_
                                        ; -- End function
	.section	.AMDGPU.csdata,"",@progbits
; Kernel info:
; codeLenInByte = 232
; NumSgprs: 18
; NumVgprs: 7
; ScratchSize: 0
; MemoryBound: 0
; FloatMode: 240
; IeeeMode: 1
; LDSByteSize: 0 bytes/workgroup (compile time only)
; SGPRBlocks: 2
; VGPRBlocks: 0
; NumSGPRsForWavesPerEU: 18
; NumVGPRsForWavesPerEU: 7
; Occupancy: 16
; WaveLimiterHint : 0
; COMPUTE_PGM_RSRC2:SCRATCH_EN: 0
; COMPUTE_PGM_RSRC2:USER_SGPR: 15
; COMPUTE_PGM_RSRC2:TRAP_HANDLER: 0
; COMPUTE_PGM_RSRC2:TGID_X_EN: 1
; COMPUTE_PGM_RSRC2:TGID_Y_EN: 0
; COMPUTE_PGM_RSRC2:TGID_Z_EN: 0
; COMPUTE_PGM_RSRC2:TIDIG_COMP_CNT: 0
	.section	.text._Z26warp_inclusive_scan_kernelIN10test_utils16custom_test_typeIiEELj64ELj4EENSt9enable_ifIXsr10test_utilsE35device_test_enabled_for_warp_size_vIXT1_EEEvE4typeEPT_S7_,"axG",@progbits,_Z26warp_inclusive_scan_kernelIN10test_utils16custom_test_typeIiEELj64ELj4EENSt9enable_ifIXsr10test_utilsE35device_test_enabled_for_warp_size_vIXT1_EEEvE4typeEPT_S7_,comdat
	.protected	_Z26warp_inclusive_scan_kernelIN10test_utils16custom_test_typeIiEELj64ELj4EENSt9enable_ifIXsr10test_utilsE35device_test_enabled_for_warp_size_vIXT1_EEEvE4typeEPT_S7_ ; -- Begin function _Z26warp_inclusive_scan_kernelIN10test_utils16custom_test_typeIiEELj64ELj4EENSt9enable_ifIXsr10test_utilsE35device_test_enabled_for_warp_size_vIXT1_EEEvE4typeEPT_S7_
	.globl	_Z26warp_inclusive_scan_kernelIN10test_utils16custom_test_typeIiEELj64ELj4EENSt9enable_ifIXsr10test_utilsE35device_test_enabled_for_warp_size_vIXT1_EEEvE4typeEPT_S7_
	.p2align	8
	.type	_Z26warp_inclusive_scan_kernelIN10test_utils16custom_test_typeIiEELj64ELj4EENSt9enable_ifIXsr10test_utilsE35device_test_enabled_for_warp_size_vIXT1_EEEvE4typeEPT_S7_,@function
_Z26warp_inclusive_scan_kernelIN10test_utils16custom_test_typeIiEELj64ELj4EENSt9enable_ifIXsr10test_utilsE35device_test_enabled_for_warp_size_vIXT1_EEEvE4typeEPT_S7_: ; @_Z26warp_inclusive_scan_kernelIN10test_utils16custom_test_typeIiEELj64ELj4EENSt9enable_ifIXsr10test_utilsE35device_test_enabled_for_warp_size_vIXT1_EEEvE4typeEPT_S7_
; %bb.0:
	s_clause 0x1
	s_load_b32 s4, s[0:1], 0x1c
	s_load_b128 s[0:3], s[0:1], 0x0
	v_mbcnt_lo_u32_b32 v4, -1, 0
	s_delay_alu instid0(VALU_DEP_1) | instskip(SKIP_2) | instid1(SALU_CYCLE_1)
	v_and_b32_e32 v4, 3, v4
	s_waitcnt lgkmcnt(0)
	s_and_b32 s4, s4, 0xffff
	v_mad_u64_u32 v[1:2], null, s15, s4, v[0:1]
	v_mov_b32_e32 v2, 0
	s_delay_alu instid0(VALU_DEP_1) | instskip(NEXT) | instid1(VALU_DEP_1)
	v_lshlrev_b64 v[0:1], 3, v[1:2]
	v_add_co_u32 v2, vcc_lo, s0, v0
	s_delay_alu instid0(VALU_DEP_2)
	v_add_co_ci_u32_e32 v3, vcc_lo, s1, v1, vcc_lo
	v_cmp_eq_u32_e32 vcc_lo, 0, v4
	global_load_b64 v[2:3], v[2:3], off
	s_waitcnt vmcnt(0)
	v_mov_b32_dpp v5, v2 row_shr:1 row_mask:0xf bank_mask:0xf
	v_mov_b32_dpp v6, v3 row_shr:1 row_mask:0xf bank_mask:0xf
	s_delay_alu instid0(VALU_DEP_2) | instskip(NEXT) | instid1(VALU_DEP_2)
	v_cndmask_b32_e64 v5, v5, 0, vcc_lo
	v_cndmask_b32_e64 v6, v6, 0, vcc_lo
	v_cmp_lt_u32_e32 vcc_lo, 1, v4
	s_delay_alu instid0(VALU_DEP_3) | instskip(NEXT) | instid1(VALU_DEP_3)
	v_add_nc_u32_e32 v2, v5, v2
	v_add_nc_u32_e32 v3, v6, v3
	s_delay_alu instid0(VALU_DEP_2) | instskip(NEXT) | instid1(VALU_DEP_2)
	v_mov_b32_dpp v5, v2 row_shr:2 row_mask:0xf bank_mask:0xf
	v_mov_b32_dpp v6, v3 row_shr:2 row_mask:0xf bank_mask:0xf
	s_delay_alu instid0(VALU_DEP_1) | instskip(SKIP_2) | instid1(VALU_DEP_3)
	v_dual_cndmask_b32 v4, 0, v5 :: v_dual_cndmask_b32 v5, 0, v6
	v_add_co_u32 v0, vcc_lo, s2, v0
	v_add_co_ci_u32_e32 v1, vcc_lo, s3, v1, vcc_lo
	v_add_nc_u32_e32 v3, v5, v3
	s_delay_alu instid0(VALU_DEP_4)
	v_add_nc_u32_e32 v2, v4, v2
	global_store_b64 v[0:1], v[2:3], off
	s_nop 0
	s_sendmsg sendmsg(MSG_DEALLOC_VGPRS)
	s_endpgm
	.section	.rodata,"a",@progbits
	.p2align	6, 0x0
	.amdhsa_kernel _Z26warp_inclusive_scan_kernelIN10test_utils16custom_test_typeIiEELj64ELj4EENSt9enable_ifIXsr10test_utilsE35device_test_enabled_for_warp_size_vIXT1_EEEvE4typeEPT_S7_
		.amdhsa_group_segment_fixed_size 0
		.amdhsa_private_segment_fixed_size 0
		.amdhsa_kernarg_size 272
		.amdhsa_user_sgpr_count 15
		.amdhsa_user_sgpr_dispatch_ptr 0
		.amdhsa_user_sgpr_queue_ptr 0
		.amdhsa_user_sgpr_kernarg_segment_ptr 1
		.amdhsa_user_sgpr_dispatch_id 0
		.amdhsa_user_sgpr_private_segment_size 0
		.amdhsa_wavefront_size32 1
		.amdhsa_uses_dynamic_stack 0
		.amdhsa_enable_private_segment 0
		.amdhsa_system_sgpr_workgroup_id_x 1
		.amdhsa_system_sgpr_workgroup_id_y 0
		.amdhsa_system_sgpr_workgroup_id_z 0
		.amdhsa_system_sgpr_workgroup_info 0
		.amdhsa_system_vgpr_workitem_id 0
		.amdhsa_next_free_vgpr 7
		.amdhsa_next_free_sgpr 16
		.amdhsa_reserve_vcc 1
		.amdhsa_float_round_mode_32 0
		.amdhsa_float_round_mode_16_64 0
		.amdhsa_float_denorm_mode_32 3
		.amdhsa_float_denorm_mode_16_64 3
		.amdhsa_dx10_clamp 1
		.amdhsa_ieee_mode 1
		.amdhsa_fp16_overflow 0
		.amdhsa_workgroup_processor_mode 1
		.amdhsa_memory_ordered 1
		.amdhsa_forward_progress 0
		.amdhsa_shared_vgpr_count 0
		.amdhsa_exception_fp_ieee_invalid_op 0
		.amdhsa_exception_fp_denorm_src 0
		.amdhsa_exception_fp_ieee_div_zero 0
		.amdhsa_exception_fp_ieee_overflow 0
		.amdhsa_exception_fp_ieee_underflow 0
		.amdhsa_exception_fp_ieee_inexact 0
		.amdhsa_exception_int_div_zero 0
	.end_amdhsa_kernel
	.section	.text._Z26warp_inclusive_scan_kernelIN10test_utils16custom_test_typeIiEELj64ELj4EENSt9enable_ifIXsr10test_utilsE35device_test_enabled_for_warp_size_vIXT1_EEEvE4typeEPT_S7_,"axG",@progbits,_Z26warp_inclusive_scan_kernelIN10test_utils16custom_test_typeIiEELj64ELj4EENSt9enable_ifIXsr10test_utilsE35device_test_enabled_for_warp_size_vIXT1_EEEvE4typeEPT_S7_,comdat
.Lfunc_end333:
	.size	_Z26warp_inclusive_scan_kernelIN10test_utils16custom_test_typeIiEELj64ELj4EENSt9enable_ifIXsr10test_utilsE35device_test_enabled_for_warp_size_vIXT1_EEEvE4typeEPT_S7_, .Lfunc_end333-_Z26warp_inclusive_scan_kernelIN10test_utils16custom_test_typeIiEELj64ELj4EENSt9enable_ifIXsr10test_utilsE35device_test_enabled_for_warp_size_vIXT1_EEEvE4typeEPT_S7_
                                        ; -- End function
	.section	.AMDGPU.csdata,"",@progbits
; Kernel info:
; codeLenInByte = 232
; NumSgprs: 18
; NumVgprs: 7
; ScratchSize: 0
; MemoryBound: 0
; FloatMode: 240
; IeeeMode: 1
; LDSByteSize: 0 bytes/workgroup (compile time only)
; SGPRBlocks: 2
; VGPRBlocks: 0
; NumSGPRsForWavesPerEU: 18
; NumVGPRsForWavesPerEU: 7
; Occupancy: 16
; WaveLimiterHint : 0
; COMPUTE_PGM_RSRC2:SCRATCH_EN: 0
; COMPUTE_PGM_RSRC2:USER_SGPR: 15
; COMPUTE_PGM_RSRC2:TRAP_HANDLER: 0
; COMPUTE_PGM_RSRC2:TGID_X_EN: 1
; COMPUTE_PGM_RSRC2:TGID_Y_EN: 0
; COMPUTE_PGM_RSRC2:TGID_Z_EN: 0
; COMPUTE_PGM_RSRC2:TIDIG_COMP_CNT: 0
	.section	.text._Z26warp_inclusive_scan_kernelIN10test_utils16custom_test_typeIiEELj32ELj2EENSt9enable_ifIXsr10test_utilsE35device_test_enabled_for_warp_size_vIXT1_EEEvE4typeEPT_S7_,"axG",@progbits,_Z26warp_inclusive_scan_kernelIN10test_utils16custom_test_typeIiEELj32ELj2EENSt9enable_ifIXsr10test_utilsE35device_test_enabled_for_warp_size_vIXT1_EEEvE4typeEPT_S7_,comdat
	.protected	_Z26warp_inclusive_scan_kernelIN10test_utils16custom_test_typeIiEELj32ELj2EENSt9enable_ifIXsr10test_utilsE35device_test_enabled_for_warp_size_vIXT1_EEEvE4typeEPT_S7_ ; -- Begin function _Z26warp_inclusive_scan_kernelIN10test_utils16custom_test_typeIiEELj32ELj2EENSt9enable_ifIXsr10test_utilsE35device_test_enabled_for_warp_size_vIXT1_EEEvE4typeEPT_S7_
	.globl	_Z26warp_inclusive_scan_kernelIN10test_utils16custom_test_typeIiEELj32ELj2EENSt9enable_ifIXsr10test_utilsE35device_test_enabled_for_warp_size_vIXT1_EEEvE4typeEPT_S7_
	.p2align	8
	.type	_Z26warp_inclusive_scan_kernelIN10test_utils16custom_test_typeIiEELj32ELj2EENSt9enable_ifIXsr10test_utilsE35device_test_enabled_for_warp_size_vIXT1_EEEvE4typeEPT_S7_,@function
_Z26warp_inclusive_scan_kernelIN10test_utils16custom_test_typeIiEELj32ELj2EENSt9enable_ifIXsr10test_utilsE35device_test_enabled_for_warp_size_vIXT1_EEEvE4typeEPT_S7_: ; @_Z26warp_inclusive_scan_kernelIN10test_utils16custom_test_typeIiEELj32ELj2EENSt9enable_ifIXsr10test_utilsE35device_test_enabled_for_warp_size_vIXT1_EEEvE4typeEPT_S7_
; %bb.0:
	s_clause 0x1
	s_load_b32 s4, s[0:1], 0x1c
	s_load_b128 s[0:3], s[0:1], 0x0
	v_mbcnt_lo_u32_b32 v4, -1, 0
	s_delay_alu instid0(VALU_DEP_1) | instskip(SKIP_2) | instid1(SALU_CYCLE_1)
	v_bfe_i32 v4, v4, 0, 1
	s_waitcnt lgkmcnt(0)
	s_and_b32 s4, s4, 0xffff
	v_mad_u64_u32 v[1:2], null, s15, s4, v[0:1]
	v_mov_b32_e32 v2, 0
	s_delay_alu instid0(VALU_DEP_1) | instskip(NEXT) | instid1(VALU_DEP_1)
	v_lshlrev_b64 v[0:1], 3, v[1:2]
	v_add_co_u32 v2, vcc_lo, s0, v0
	s_delay_alu instid0(VALU_DEP_2)
	v_add_co_ci_u32_e32 v3, vcc_lo, s1, v1, vcc_lo
	v_add_co_u32 v0, vcc_lo, s2, v0
	v_add_co_ci_u32_e32 v1, vcc_lo, s3, v1, vcc_lo
	global_load_b64 v[2:3], v[2:3], off
	s_waitcnt vmcnt(0)
	v_mov_b32_dpp v5, v2 row_shr:1 row_mask:0xf bank_mask:0xf
	v_mov_b32_dpp v6, v3 row_shr:1 row_mask:0xf bank_mask:0xf
	s_delay_alu instid0(VALU_DEP_2) | instskip(NEXT) | instid1(VALU_DEP_2)
	v_and_b32_e32 v5, v4, v5
	v_and_b32_e32 v4, v4, v6
	s_delay_alu instid0(VALU_DEP_2) | instskip(NEXT) | instid1(VALU_DEP_2)
	v_add_nc_u32_e32 v2, v5, v2
	v_add_nc_u32_e32 v3, v4, v3
	global_store_b64 v[0:1], v[2:3], off
	s_nop 0
	s_sendmsg sendmsg(MSG_DEALLOC_VGPRS)
	s_endpgm
	.section	.rodata,"a",@progbits
	.p2align	6, 0x0
	.amdhsa_kernel _Z26warp_inclusive_scan_kernelIN10test_utils16custom_test_typeIiEELj32ELj2EENSt9enable_ifIXsr10test_utilsE35device_test_enabled_for_warp_size_vIXT1_EEEvE4typeEPT_S7_
		.amdhsa_group_segment_fixed_size 0
		.amdhsa_private_segment_fixed_size 0
		.amdhsa_kernarg_size 272
		.amdhsa_user_sgpr_count 15
		.amdhsa_user_sgpr_dispatch_ptr 0
		.amdhsa_user_sgpr_queue_ptr 0
		.amdhsa_user_sgpr_kernarg_segment_ptr 1
		.amdhsa_user_sgpr_dispatch_id 0
		.amdhsa_user_sgpr_private_segment_size 0
		.amdhsa_wavefront_size32 1
		.amdhsa_uses_dynamic_stack 0
		.amdhsa_enable_private_segment 0
		.amdhsa_system_sgpr_workgroup_id_x 1
		.amdhsa_system_sgpr_workgroup_id_y 0
		.amdhsa_system_sgpr_workgroup_id_z 0
		.amdhsa_system_sgpr_workgroup_info 0
		.amdhsa_system_vgpr_workitem_id 0
		.amdhsa_next_free_vgpr 7
		.amdhsa_next_free_sgpr 16
		.amdhsa_reserve_vcc 1
		.amdhsa_float_round_mode_32 0
		.amdhsa_float_round_mode_16_64 0
		.amdhsa_float_denorm_mode_32 3
		.amdhsa_float_denorm_mode_16_64 3
		.amdhsa_dx10_clamp 1
		.amdhsa_ieee_mode 1
		.amdhsa_fp16_overflow 0
		.amdhsa_workgroup_processor_mode 1
		.amdhsa_memory_ordered 1
		.amdhsa_forward_progress 0
		.amdhsa_shared_vgpr_count 0
		.amdhsa_exception_fp_ieee_invalid_op 0
		.amdhsa_exception_fp_denorm_src 0
		.amdhsa_exception_fp_ieee_div_zero 0
		.amdhsa_exception_fp_ieee_overflow 0
		.amdhsa_exception_fp_ieee_underflow 0
		.amdhsa_exception_fp_ieee_inexact 0
		.amdhsa_exception_int_div_zero 0
	.end_amdhsa_kernel
	.section	.text._Z26warp_inclusive_scan_kernelIN10test_utils16custom_test_typeIiEELj32ELj2EENSt9enable_ifIXsr10test_utilsE35device_test_enabled_for_warp_size_vIXT1_EEEvE4typeEPT_S7_,"axG",@progbits,_Z26warp_inclusive_scan_kernelIN10test_utils16custom_test_typeIiEELj32ELj2EENSt9enable_ifIXsr10test_utilsE35device_test_enabled_for_warp_size_vIXT1_EEEvE4typeEPT_S7_,comdat
.Lfunc_end334:
	.size	_Z26warp_inclusive_scan_kernelIN10test_utils16custom_test_typeIiEELj32ELj2EENSt9enable_ifIXsr10test_utilsE35device_test_enabled_for_warp_size_vIXT1_EEEvE4typeEPT_S7_, .Lfunc_end334-_Z26warp_inclusive_scan_kernelIN10test_utils16custom_test_typeIiEELj32ELj2EENSt9enable_ifIXsr10test_utilsE35device_test_enabled_for_warp_size_vIXT1_EEEvE4typeEPT_S7_
                                        ; -- End function
	.section	.AMDGPU.csdata,"",@progbits
; Kernel info:
; codeLenInByte = 176
; NumSgprs: 18
; NumVgprs: 7
; ScratchSize: 0
; MemoryBound: 0
; FloatMode: 240
; IeeeMode: 1
; LDSByteSize: 0 bytes/workgroup (compile time only)
; SGPRBlocks: 2
; VGPRBlocks: 0
; NumSGPRsForWavesPerEU: 18
; NumVGPRsForWavesPerEU: 7
; Occupancy: 16
; WaveLimiterHint : 0
; COMPUTE_PGM_RSRC2:SCRATCH_EN: 0
; COMPUTE_PGM_RSRC2:USER_SGPR: 15
; COMPUTE_PGM_RSRC2:TRAP_HANDLER: 0
; COMPUTE_PGM_RSRC2:TGID_X_EN: 1
; COMPUTE_PGM_RSRC2:TGID_Y_EN: 0
; COMPUTE_PGM_RSRC2:TGID_Z_EN: 0
; COMPUTE_PGM_RSRC2:TIDIG_COMP_CNT: 0
	.section	.text._Z26warp_inclusive_scan_kernelIN10test_utils16custom_test_typeIiEELj64ELj2EENSt9enable_ifIXsr10test_utilsE35device_test_enabled_for_warp_size_vIXT1_EEEvE4typeEPT_S7_,"axG",@progbits,_Z26warp_inclusive_scan_kernelIN10test_utils16custom_test_typeIiEELj64ELj2EENSt9enable_ifIXsr10test_utilsE35device_test_enabled_for_warp_size_vIXT1_EEEvE4typeEPT_S7_,comdat
	.protected	_Z26warp_inclusive_scan_kernelIN10test_utils16custom_test_typeIiEELj64ELj2EENSt9enable_ifIXsr10test_utilsE35device_test_enabled_for_warp_size_vIXT1_EEEvE4typeEPT_S7_ ; -- Begin function _Z26warp_inclusive_scan_kernelIN10test_utils16custom_test_typeIiEELj64ELj2EENSt9enable_ifIXsr10test_utilsE35device_test_enabled_for_warp_size_vIXT1_EEEvE4typeEPT_S7_
	.globl	_Z26warp_inclusive_scan_kernelIN10test_utils16custom_test_typeIiEELj64ELj2EENSt9enable_ifIXsr10test_utilsE35device_test_enabled_for_warp_size_vIXT1_EEEvE4typeEPT_S7_
	.p2align	8
	.type	_Z26warp_inclusive_scan_kernelIN10test_utils16custom_test_typeIiEELj64ELj2EENSt9enable_ifIXsr10test_utilsE35device_test_enabled_for_warp_size_vIXT1_EEEvE4typeEPT_S7_,@function
_Z26warp_inclusive_scan_kernelIN10test_utils16custom_test_typeIiEELj64ELj2EENSt9enable_ifIXsr10test_utilsE35device_test_enabled_for_warp_size_vIXT1_EEEvE4typeEPT_S7_: ; @_Z26warp_inclusive_scan_kernelIN10test_utils16custom_test_typeIiEELj64ELj2EENSt9enable_ifIXsr10test_utilsE35device_test_enabled_for_warp_size_vIXT1_EEEvE4typeEPT_S7_
; %bb.0:
	s_clause 0x1
	s_load_b32 s4, s[0:1], 0x1c
	s_load_b128 s[0:3], s[0:1], 0x0
	v_mbcnt_lo_u32_b32 v4, -1, 0
	s_delay_alu instid0(VALU_DEP_1) | instskip(SKIP_2) | instid1(SALU_CYCLE_1)
	v_bfe_i32 v4, v4, 0, 1
	s_waitcnt lgkmcnt(0)
	s_and_b32 s4, s4, 0xffff
	v_mad_u64_u32 v[1:2], null, s15, s4, v[0:1]
	v_mov_b32_e32 v2, 0
	s_delay_alu instid0(VALU_DEP_1) | instskip(NEXT) | instid1(VALU_DEP_1)
	v_lshlrev_b64 v[0:1], 3, v[1:2]
	v_add_co_u32 v2, vcc_lo, s0, v0
	s_delay_alu instid0(VALU_DEP_2)
	v_add_co_ci_u32_e32 v3, vcc_lo, s1, v1, vcc_lo
	v_add_co_u32 v0, vcc_lo, s2, v0
	v_add_co_ci_u32_e32 v1, vcc_lo, s3, v1, vcc_lo
	global_load_b64 v[2:3], v[2:3], off
	s_waitcnt vmcnt(0)
	v_mov_b32_dpp v5, v2 row_shr:1 row_mask:0xf bank_mask:0xf
	v_mov_b32_dpp v6, v3 row_shr:1 row_mask:0xf bank_mask:0xf
	s_delay_alu instid0(VALU_DEP_2) | instskip(NEXT) | instid1(VALU_DEP_2)
	v_and_b32_e32 v5, v4, v5
	v_and_b32_e32 v4, v4, v6
	s_delay_alu instid0(VALU_DEP_2) | instskip(NEXT) | instid1(VALU_DEP_2)
	v_add_nc_u32_e32 v2, v5, v2
	v_add_nc_u32_e32 v3, v4, v3
	global_store_b64 v[0:1], v[2:3], off
	s_nop 0
	s_sendmsg sendmsg(MSG_DEALLOC_VGPRS)
	s_endpgm
	.section	.rodata,"a",@progbits
	.p2align	6, 0x0
	.amdhsa_kernel _Z26warp_inclusive_scan_kernelIN10test_utils16custom_test_typeIiEELj64ELj2EENSt9enable_ifIXsr10test_utilsE35device_test_enabled_for_warp_size_vIXT1_EEEvE4typeEPT_S7_
		.amdhsa_group_segment_fixed_size 0
		.amdhsa_private_segment_fixed_size 0
		.amdhsa_kernarg_size 272
		.amdhsa_user_sgpr_count 15
		.amdhsa_user_sgpr_dispatch_ptr 0
		.amdhsa_user_sgpr_queue_ptr 0
		.amdhsa_user_sgpr_kernarg_segment_ptr 1
		.amdhsa_user_sgpr_dispatch_id 0
		.amdhsa_user_sgpr_private_segment_size 0
		.amdhsa_wavefront_size32 1
		.amdhsa_uses_dynamic_stack 0
		.amdhsa_enable_private_segment 0
		.amdhsa_system_sgpr_workgroup_id_x 1
		.amdhsa_system_sgpr_workgroup_id_y 0
		.amdhsa_system_sgpr_workgroup_id_z 0
		.amdhsa_system_sgpr_workgroup_info 0
		.amdhsa_system_vgpr_workitem_id 0
		.amdhsa_next_free_vgpr 7
		.amdhsa_next_free_sgpr 16
		.amdhsa_reserve_vcc 1
		.amdhsa_float_round_mode_32 0
		.amdhsa_float_round_mode_16_64 0
		.amdhsa_float_denorm_mode_32 3
		.amdhsa_float_denorm_mode_16_64 3
		.amdhsa_dx10_clamp 1
		.amdhsa_ieee_mode 1
		.amdhsa_fp16_overflow 0
		.amdhsa_workgroup_processor_mode 1
		.amdhsa_memory_ordered 1
		.amdhsa_forward_progress 0
		.amdhsa_shared_vgpr_count 0
		.amdhsa_exception_fp_ieee_invalid_op 0
		.amdhsa_exception_fp_denorm_src 0
		.amdhsa_exception_fp_ieee_div_zero 0
		.amdhsa_exception_fp_ieee_overflow 0
		.amdhsa_exception_fp_ieee_underflow 0
		.amdhsa_exception_fp_ieee_inexact 0
		.amdhsa_exception_int_div_zero 0
	.end_amdhsa_kernel
	.section	.text._Z26warp_inclusive_scan_kernelIN10test_utils16custom_test_typeIiEELj64ELj2EENSt9enable_ifIXsr10test_utilsE35device_test_enabled_for_warp_size_vIXT1_EEEvE4typeEPT_S7_,"axG",@progbits,_Z26warp_inclusive_scan_kernelIN10test_utils16custom_test_typeIiEELj64ELj2EENSt9enable_ifIXsr10test_utilsE35device_test_enabled_for_warp_size_vIXT1_EEEvE4typeEPT_S7_,comdat
.Lfunc_end335:
	.size	_Z26warp_inclusive_scan_kernelIN10test_utils16custom_test_typeIiEELj64ELj2EENSt9enable_ifIXsr10test_utilsE35device_test_enabled_for_warp_size_vIXT1_EEEvE4typeEPT_S7_, .Lfunc_end335-_Z26warp_inclusive_scan_kernelIN10test_utils16custom_test_typeIiEELj64ELj2EENSt9enable_ifIXsr10test_utilsE35device_test_enabled_for_warp_size_vIXT1_EEEvE4typeEPT_S7_
                                        ; -- End function
	.section	.AMDGPU.csdata,"",@progbits
; Kernel info:
; codeLenInByte = 176
; NumSgprs: 18
; NumVgprs: 7
; ScratchSize: 0
; MemoryBound: 0
; FloatMode: 240
; IeeeMode: 1
; LDSByteSize: 0 bytes/workgroup (compile time only)
; SGPRBlocks: 2
; VGPRBlocks: 0
; NumSGPRsForWavesPerEU: 18
; NumVGPRsForWavesPerEU: 7
; Occupancy: 16
; WaveLimiterHint : 0
; COMPUTE_PGM_RSRC2:SCRATCH_EN: 0
; COMPUTE_PGM_RSRC2:USER_SGPR: 15
; COMPUTE_PGM_RSRC2:TRAP_HANDLER: 0
; COMPUTE_PGM_RSRC2:TGID_X_EN: 1
; COMPUTE_PGM_RSRC2:TGID_Y_EN: 0
; COMPUTE_PGM_RSRC2:TGID_Z_EN: 0
; COMPUTE_PGM_RSRC2:TIDIG_COMP_CNT: 0
	.text
	.p2alignl 7, 3214868480
	.fill 96, 4, 3214868480
	.type	__hip_cuid_ae7ebdeb10422689,@object ; @__hip_cuid_ae7ebdeb10422689
	.section	.bss,"aw",@nobits
	.globl	__hip_cuid_ae7ebdeb10422689
__hip_cuid_ae7ebdeb10422689:
	.byte	0                               ; 0x0
	.size	__hip_cuid_ae7ebdeb10422689, 1

	.ident	"AMD clang version 19.0.0git (https://github.com/RadeonOpenCompute/llvm-project roc-6.4.0 25133 c7fe45cf4b819c5991fe208aaa96edf142730f1d)"
	.section	".note.GNU-stack","",@progbits
	.addrsig
	.addrsig_sym __hip_cuid_ae7ebdeb10422689
	.amdgpu_metadata
---
amdhsa.kernels:
  - .args:
      - .address_space:  global
        .offset:         0
        .size:           8
        .value_kind:     global_buffer
      - .address_space:  global
        .offset:         8
        .size:           8
        .value_kind:     global_buffer
    .group_segment_fixed_size: 0
    .kernarg_segment_align: 8
    .kernarg_segment_size: 16
    .language:       OpenCL C
    .language_version:
      - 2
      - 0
    .max_flat_workgroup_size: 1
    .name:           _Z26warp_inclusive_scan_kernelIfLj1ELj61EENSt9enable_ifIXntsr10test_utilsE35device_test_enabled_for_warp_size_vIXT1_EEEvE4typeEPT_S4_
    .private_segment_fixed_size: 0
    .sgpr_count:     0
    .sgpr_spill_count: 0
    .symbol:         _Z26warp_inclusive_scan_kernelIfLj1ELj61EENSt9enable_ifIXntsr10test_utilsE35device_test_enabled_for_warp_size_vIXT1_EEEvE4typeEPT_S4_.kd
    .uniform_work_group_size: 1
    .uses_dynamic_stack: false
    .vgpr_count:     0
    .vgpr_spill_count: 0
    .wavefront_size: 32
    .workgroup_processor_mode: 1
  - .args:
      - .address_space:  global
        .offset:         0
        .size:           8
        .value_kind:     global_buffer
      - .address_space:  global
        .offset:         8
        .size:           8
        .value_kind:     global_buffer
    .group_segment_fixed_size: 0
    .kernarg_segment_align: 8
    .kernarg_segment_size: 16
    .language:       OpenCL C
    .language_version:
      - 2
      - 0
    .max_flat_workgroup_size: 61
    .name:           _Z26warp_inclusive_scan_kernelIfLj61ELj61EENSt9enable_ifIXntsr10test_utilsE35device_test_enabled_for_warp_size_vIXT1_EEEvE4typeEPT_S4_
    .private_segment_fixed_size: 0
    .sgpr_count:     0
    .sgpr_spill_count: 0
    .symbol:         _Z26warp_inclusive_scan_kernelIfLj61ELj61EENSt9enable_ifIXntsr10test_utilsE35device_test_enabled_for_warp_size_vIXT1_EEEvE4typeEPT_S4_.kd
    .uniform_work_group_size: 1
    .uses_dynamic_stack: false
    .vgpr_count:     0
    .vgpr_spill_count: 0
    .wavefront_size: 32
    .workgroup_processor_mode: 1
  - .args:
      - .address_space:  global
        .offset:         0
        .size:           8
        .value_kind:     global_buffer
      - .address_space:  global
        .offset:         8
        .size:           8
        .value_kind:     global_buffer
    .group_segment_fixed_size: 0
    .kernarg_segment_align: 8
    .kernarg_segment_size: 16
    .language:       OpenCL C
    .language_version:
      - 2
      - 0
    .max_flat_workgroup_size: 1
    .name:           _Z26warp_inclusive_scan_kernelIfLj1ELj37EENSt9enable_ifIXntsr10test_utilsE35device_test_enabled_for_warp_size_vIXT1_EEEvE4typeEPT_S4_
    .private_segment_fixed_size: 0
    .sgpr_count:     0
    .sgpr_spill_count: 0
    .symbol:         _Z26warp_inclusive_scan_kernelIfLj1ELj37EENSt9enable_ifIXntsr10test_utilsE35device_test_enabled_for_warp_size_vIXT1_EEEvE4typeEPT_S4_.kd
    .uniform_work_group_size: 1
    .uses_dynamic_stack: false
    .vgpr_count:     0
    .vgpr_spill_count: 0
    .wavefront_size: 32
    .workgroup_processor_mode: 1
  - .args:
      - .address_space:  global
        .offset:         0
        .size:           8
        .value_kind:     global_buffer
      - .address_space:  global
        .offset:         8
        .size:           8
        .value_kind:     global_buffer
    .group_segment_fixed_size: 0
    .kernarg_segment_align: 8
    .kernarg_segment_size: 16
    .language:       OpenCL C
    .language_version:
      - 2
      - 0
    .max_flat_workgroup_size: 37
    .name:           _Z26warp_inclusive_scan_kernelIfLj37ELj37EENSt9enable_ifIXntsr10test_utilsE35device_test_enabled_for_warp_size_vIXT1_EEEvE4typeEPT_S4_
    .private_segment_fixed_size: 0
    .sgpr_count:     0
    .sgpr_spill_count: 0
    .symbol:         _Z26warp_inclusive_scan_kernelIfLj37ELj37EENSt9enable_ifIXntsr10test_utilsE35device_test_enabled_for_warp_size_vIXT1_EEEvE4typeEPT_S4_.kd
    .uniform_work_group_size: 1
    .uses_dynamic_stack: false
    .vgpr_count:     0
    .vgpr_spill_count: 0
    .wavefront_size: 32
    .workgroup_processor_mode: 1
  - .args:
      - .address_space:  global
        .offset:         0
        .size:           8
        .value_kind:     global_buffer
      - .address_space:  global
        .offset:         8
        .size:           8
        .value_kind:     global_buffer
      - .offset:         16
        .size:           4
        .value_kind:     hidden_block_count_x
      - .offset:         20
        .size:           4
        .value_kind:     hidden_block_count_y
      - .offset:         24
        .size:           4
        .value_kind:     hidden_block_count_z
      - .offset:         28
        .size:           2
        .value_kind:     hidden_group_size_x
      - .offset:         30
        .size:           2
        .value_kind:     hidden_group_size_y
      - .offset:         32
        .size:           2
        .value_kind:     hidden_group_size_z
      - .offset:         34
        .size:           2
        .value_kind:     hidden_remainder_x
      - .offset:         36
        .size:           2
        .value_kind:     hidden_remainder_y
      - .offset:         38
        .size:           2
        .value_kind:     hidden_remainder_z
      - .offset:         56
        .size:           8
        .value_kind:     hidden_global_offset_x
      - .offset:         64
        .size:           8
        .value_kind:     hidden_global_offset_y
      - .offset:         72
        .size:           8
        .value_kind:     hidden_global_offset_z
      - .offset:         80
        .size:           2
        .value_kind:     hidden_grid_dims
    .group_segment_fixed_size: 120
    .kernarg_segment_align: 8
    .kernarg_segment_size: 272
    .language:       OpenCL C
    .language_version:
      - 2
      - 0
    .max_flat_workgroup_size: 30
    .name:           _Z26warp_inclusive_scan_kernelIfLj30ELj15EENSt9enable_ifIXsr10test_utilsE35device_test_enabled_for_warp_size_vIXT1_EEEvE4typeEPT_S4_
    .private_segment_fixed_size: 0
    .sgpr_count:     18
    .sgpr_spill_count: 0
    .symbol:         _Z26warp_inclusive_scan_kernelIfLj30ELj15EENSt9enable_ifIXsr10test_utilsE35device_test_enabled_for_warp_size_vIXT1_EEEvE4typeEPT_S4_.kd
    .uniform_work_group_size: 1
    .uses_dynamic_stack: false
    .vgpr_count:     6
    .vgpr_spill_count: 0
    .wavefront_size: 32
    .workgroup_processor_mode: 1
  - .args:
      - .address_space:  global
        .offset:         0
        .size:           8
        .value_kind:     global_buffer
      - .address_space:  global
        .offset:         8
        .size:           8
        .value_kind:     global_buffer
      - .offset:         16
        .size:           4
        .value_kind:     hidden_block_count_x
      - .offset:         20
        .size:           4
        .value_kind:     hidden_block_count_y
      - .offset:         24
        .size:           4
        .value_kind:     hidden_block_count_z
      - .offset:         28
        .size:           2
        .value_kind:     hidden_group_size_x
      - .offset:         30
        .size:           2
        .value_kind:     hidden_group_size_y
      - .offset:         32
        .size:           2
        .value_kind:     hidden_group_size_z
      - .offset:         34
        .size:           2
        .value_kind:     hidden_remainder_x
      - .offset:         36
        .size:           2
        .value_kind:     hidden_remainder_y
      - .offset:         38
        .size:           2
        .value_kind:     hidden_remainder_z
      - .offset:         56
        .size:           8
        .value_kind:     hidden_global_offset_x
      - .offset:         64
        .size:           8
        .value_kind:     hidden_global_offset_y
      - .offset:         72
        .size:           8
        .value_kind:     hidden_global_offset_z
      - .offset:         80
        .size:           2
        .value_kind:     hidden_grid_dims
    .group_segment_fixed_size: 240
    .kernarg_segment_align: 8
    .kernarg_segment_size: 272
    .language:       OpenCL C
    .language_version:
      - 2
      - 0
    .max_flat_workgroup_size: 60
    .name:           _Z26warp_inclusive_scan_kernelIfLj60ELj15EENSt9enable_ifIXsr10test_utilsE35device_test_enabled_for_warp_size_vIXT1_EEEvE4typeEPT_S4_
    .private_segment_fixed_size: 0
    .sgpr_count:     18
    .sgpr_spill_count: 0
    .symbol:         _Z26warp_inclusive_scan_kernelIfLj60ELj15EENSt9enable_ifIXsr10test_utilsE35device_test_enabled_for_warp_size_vIXT1_EEEvE4typeEPT_S4_.kd
    .uniform_work_group_size: 1
    .uses_dynamic_stack: false
    .vgpr_count:     6
    .vgpr_spill_count: 0
    .wavefront_size: 32
    .workgroup_processor_mode: 1
  - .args:
      - .address_space:  global
        .offset:         0
        .size:           8
        .value_kind:     global_buffer
      - .address_space:  global
        .offset:         8
        .size:           8
        .value_kind:     global_buffer
      - .offset:         16
        .size:           4
        .value_kind:     hidden_block_count_x
      - .offset:         20
        .size:           4
        .value_kind:     hidden_block_count_y
      - .offset:         24
        .size:           4
        .value_kind:     hidden_block_count_z
      - .offset:         28
        .size:           2
        .value_kind:     hidden_group_size_x
      - .offset:         30
        .size:           2
        .value_kind:     hidden_group_size_y
      - .offset:         32
        .size:           2
        .value_kind:     hidden_group_size_z
      - .offset:         34
        .size:           2
        .value_kind:     hidden_remainder_x
      - .offset:         36
        .size:           2
        .value_kind:     hidden_remainder_y
      - .offset:         38
        .size:           2
        .value_kind:     hidden_remainder_z
      - .offset:         56
        .size:           8
        .value_kind:     hidden_global_offset_x
      - .offset:         64
        .size:           8
        .value_kind:     hidden_global_offset_y
      - .offset:         72
        .size:           8
        .value_kind:     hidden_global_offset_z
      - .offset:         80
        .size:           2
        .value_kind:     hidden_grid_dims
    .group_segment_fixed_size: 112
    .kernarg_segment_align: 8
    .kernarg_segment_size: 272
    .language:       OpenCL C
    .language_version:
      - 2
      - 0
    .max_flat_workgroup_size: 28
    .name:           _Z26warp_inclusive_scan_kernelIfLj28ELj7EENSt9enable_ifIXsr10test_utilsE35device_test_enabled_for_warp_size_vIXT1_EEEvE4typeEPT_S4_
    .private_segment_fixed_size: 0
    .sgpr_count:     18
    .sgpr_spill_count: 0
    .symbol:         _Z26warp_inclusive_scan_kernelIfLj28ELj7EENSt9enable_ifIXsr10test_utilsE35device_test_enabled_for_warp_size_vIXT1_EEEvE4typeEPT_S4_.kd
    .uniform_work_group_size: 1
    .uses_dynamic_stack: false
    .vgpr_count:     6
    .vgpr_spill_count: 0
    .wavefront_size: 32
    .workgroup_processor_mode: 1
  - .args:
      - .address_space:  global
        .offset:         0
        .size:           8
        .value_kind:     global_buffer
      - .address_space:  global
        .offset:         8
        .size:           8
        .value_kind:     global_buffer
      - .offset:         16
        .size:           4
        .value_kind:     hidden_block_count_x
      - .offset:         20
        .size:           4
        .value_kind:     hidden_block_count_y
      - .offset:         24
        .size:           4
        .value_kind:     hidden_block_count_z
      - .offset:         28
        .size:           2
        .value_kind:     hidden_group_size_x
      - .offset:         30
        .size:           2
        .value_kind:     hidden_group_size_y
      - .offset:         32
        .size:           2
        .value_kind:     hidden_group_size_z
      - .offset:         34
        .size:           2
        .value_kind:     hidden_remainder_x
      - .offset:         36
        .size:           2
        .value_kind:     hidden_remainder_y
      - .offset:         38
        .size:           2
        .value_kind:     hidden_remainder_z
      - .offset:         56
        .size:           8
        .value_kind:     hidden_global_offset_x
      - .offset:         64
        .size:           8
        .value_kind:     hidden_global_offset_y
      - .offset:         72
        .size:           8
        .value_kind:     hidden_global_offset_z
      - .offset:         80
        .size:           2
        .value_kind:     hidden_grid_dims
    .group_segment_fixed_size: 252
    .kernarg_segment_align: 8
    .kernarg_segment_size: 272
    .language:       OpenCL C
    .language_version:
      - 2
      - 0
    .max_flat_workgroup_size: 63
    .name:           _Z26warp_inclusive_scan_kernelIfLj63ELj7EENSt9enable_ifIXsr10test_utilsE35device_test_enabled_for_warp_size_vIXT1_EEEvE4typeEPT_S4_
    .private_segment_fixed_size: 0
    .sgpr_count:     18
    .sgpr_spill_count: 0
    .symbol:         _Z26warp_inclusive_scan_kernelIfLj63ELj7EENSt9enable_ifIXsr10test_utilsE35device_test_enabled_for_warp_size_vIXT1_EEEvE4typeEPT_S4_.kd
    .uniform_work_group_size: 1
    .uses_dynamic_stack: false
    .vgpr_count:     6
    .vgpr_spill_count: 0
    .wavefront_size: 32
    .workgroup_processor_mode: 1
  - .args:
      - .address_space:  global
        .offset:         0
        .size:           8
        .value_kind:     global_buffer
      - .address_space:  global
        .offset:         8
        .size:           8
        .value_kind:     global_buffer
      - .offset:         16
        .size:           4
        .value_kind:     hidden_block_count_x
      - .offset:         20
        .size:           4
        .value_kind:     hidden_block_count_y
      - .offset:         24
        .size:           4
        .value_kind:     hidden_block_count_z
      - .offset:         28
        .size:           2
        .value_kind:     hidden_group_size_x
      - .offset:         30
        .size:           2
        .value_kind:     hidden_group_size_y
      - .offset:         32
        .size:           2
        .value_kind:     hidden_group_size_z
      - .offset:         34
        .size:           2
        .value_kind:     hidden_remainder_x
      - .offset:         36
        .size:           2
        .value_kind:     hidden_remainder_y
      - .offset:         38
        .size:           2
        .value_kind:     hidden_remainder_z
      - .offset:         56
        .size:           8
        .value_kind:     hidden_global_offset_x
      - .offset:         64
        .size:           8
        .value_kind:     hidden_global_offset_y
      - .offset:         72
        .size:           8
        .value_kind:     hidden_global_offset_z
      - .offset:         80
        .size:           2
        .value_kind:     hidden_grid_dims
    .group_segment_fixed_size: 120
    .kernarg_segment_align: 8
    .kernarg_segment_size: 272
    .language:       OpenCL C
    .language_version:
      - 2
      - 0
    .max_flat_workgroup_size: 30
    .name:           _Z26warp_inclusive_scan_kernelIfLj30ELj3EENSt9enable_ifIXsr10test_utilsE35device_test_enabled_for_warp_size_vIXT1_EEEvE4typeEPT_S4_
    .private_segment_fixed_size: 0
    .sgpr_count:     18
    .sgpr_spill_count: 0
    .symbol:         _Z26warp_inclusive_scan_kernelIfLj30ELj3EENSt9enable_ifIXsr10test_utilsE35device_test_enabled_for_warp_size_vIXT1_EEEvE4typeEPT_S4_.kd
    .uniform_work_group_size: 1
    .uses_dynamic_stack: false
    .vgpr_count:     6
    .vgpr_spill_count: 0
    .wavefront_size: 32
    .workgroup_processor_mode: 1
  - .args:
      - .address_space:  global
        .offset:         0
        .size:           8
        .value_kind:     global_buffer
      - .address_space:  global
        .offset:         8
        .size:           8
        .value_kind:     global_buffer
      - .offset:         16
        .size:           4
        .value_kind:     hidden_block_count_x
      - .offset:         20
        .size:           4
        .value_kind:     hidden_block_count_y
      - .offset:         24
        .size:           4
        .value_kind:     hidden_block_count_z
      - .offset:         28
        .size:           2
        .value_kind:     hidden_group_size_x
      - .offset:         30
        .size:           2
        .value_kind:     hidden_group_size_y
      - .offset:         32
        .size:           2
        .value_kind:     hidden_group_size_z
      - .offset:         34
        .size:           2
        .value_kind:     hidden_remainder_x
      - .offset:         36
        .size:           2
        .value_kind:     hidden_remainder_y
      - .offset:         38
        .size:           2
        .value_kind:     hidden_remainder_z
      - .offset:         56
        .size:           8
        .value_kind:     hidden_global_offset_x
      - .offset:         64
        .size:           8
        .value_kind:     hidden_global_offset_y
      - .offset:         72
        .size:           8
        .value_kind:     hidden_global_offset_z
      - .offset:         80
        .size:           2
        .value_kind:     hidden_grid_dims
    .group_segment_fixed_size: 252
    .kernarg_segment_align: 8
    .kernarg_segment_size: 272
    .language:       OpenCL C
    .language_version:
      - 2
      - 0
    .max_flat_workgroup_size: 63
    .name:           _Z26warp_inclusive_scan_kernelIfLj63ELj3EENSt9enable_ifIXsr10test_utilsE35device_test_enabled_for_warp_size_vIXT1_EEEvE4typeEPT_S4_
    .private_segment_fixed_size: 0
    .sgpr_count:     18
    .sgpr_spill_count: 0
    .symbol:         _Z26warp_inclusive_scan_kernelIfLj63ELj3EENSt9enable_ifIXsr10test_utilsE35device_test_enabled_for_warp_size_vIXT1_EEEvE4typeEPT_S4_.kd
    .uniform_work_group_size: 1
    .uses_dynamic_stack: false
    .vgpr_count:     6
    .vgpr_spill_count: 0
    .wavefront_size: 32
    .workgroup_processor_mode: 1
  - .args:
      - .address_space:  global
        .offset:         0
        .size:           8
        .value_kind:     global_buffer
      - .address_space:  global
        .offset:         8
        .size:           8
        .value_kind:     global_buffer
    .group_segment_fixed_size: 0
    .kernarg_segment_align: 8
    .kernarg_segment_size: 16
    .language:       OpenCL C
    .language_version:
      - 2
      - 0
    .max_flat_workgroup_size: 1
    .name:           _Z26warp_inclusive_scan_kernelIiLj1ELj61EENSt9enable_ifIXntsr10test_utilsE35device_test_enabled_for_warp_size_vIXT1_EEEvE4typeEPT_S4_
    .private_segment_fixed_size: 0
    .sgpr_count:     0
    .sgpr_spill_count: 0
    .symbol:         _Z26warp_inclusive_scan_kernelIiLj1ELj61EENSt9enable_ifIXntsr10test_utilsE35device_test_enabled_for_warp_size_vIXT1_EEEvE4typeEPT_S4_.kd
    .uniform_work_group_size: 1
    .uses_dynamic_stack: false
    .vgpr_count:     0
    .vgpr_spill_count: 0
    .wavefront_size: 32
    .workgroup_processor_mode: 1
  - .args:
      - .address_space:  global
        .offset:         0
        .size:           8
        .value_kind:     global_buffer
      - .address_space:  global
        .offset:         8
        .size:           8
        .value_kind:     global_buffer
    .group_segment_fixed_size: 0
    .kernarg_segment_align: 8
    .kernarg_segment_size: 16
    .language:       OpenCL C
    .language_version:
      - 2
      - 0
    .max_flat_workgroup_size: 61
    .name:           _Z26warp_inclusive_scan_kernelIiLj61ELj61EENSt9enable_ifIXntsr10test_utilsE35device_test_enabled_for_warp_size_vIXT1_EEEvE4typeEPT_S4_
    .private_segment_fixed_size: 0
    .sgpr_count:     0
    .sgpr_spill_count: 0
    .symbol:         _Z26warp_inclusive_scan_kernelIiLj61ELj61EENSt9enable_ifIXntsr10test_utilsE35device_test_enabled_for_warp_size_vIXT1_EEEvE4typeEPT_S4_.kd
    .uniform_work_group_size: 1
    .uses_dynamic_stack: false
    .vgpr_count:     0
    .vgpr_spill_count: 0
    .wavefront_size: 32
    .workgroup_processor_mode: 1
  - .args:
      - .address_space:  global
        .offset:         0
        .size:           8
        .value_kind:     global_buffer
      - .address_space:  global
        .offset:         8
        .size:           8
        .value_kind:     global_buffer
    .group_segment_fixed_size: 0
    .kernarg_segment_align: 8
    .kernarg_segment_size: 16
    .language:       OpenCL C
    .language_version:
      - 2
      - 0
    .max_flat_workgroup_size: 1
    .name:           _Z26warp_inclusive_scan_kernelIiLj1ELj37EENSt9enable_ifIXntsr10test_utilsE35device_test_enabled_for_warp_size_vIXT1_EEEvE4typeEPT_S4_
    .private_segment_fixed_size: 0
    .sgpr_count:     0
    .sgpr_spill_count: 0
    .symbol:         _Z26warp_inclusive_scan_kernelIiLj1ELj37EENSt9enable_ifIXntsr10test_utilsE35device_test_enabled_for_warp_size_vIXT1_EEEvE4typeEPT_S4_.kd
    .uniform_work_group_size: 1
    .uses_dynamic_stack: false
    .vgpr_count:     0
    .vgpr_spill_count: 0
    .wavefront_size: 32
    .workgroup_processor_mode: 1
  - .args:
      - .address_space:  global
        .offset:         0
        .size:           8
        .value_kind:     global_buffer
      - .address_space:  global
        .offset:         8
        .size:           8
        .value_kind:     global_buffer
    .group_segment_fixed_size: 0
    .kernarg_segment_align: 8
    .kernarg_segment_size: 16
    .language:       OpenCL C
    .language_version:
      - 2
      - 0
    .max_flat_workgroup_size: 37
    .name:           _Z26warp_inclusive_scan_kernelIiLj37ELj37EENSt9enable_ifIXntsr10test_utilsE35device_test_enabled_for_warp_size_vIXT1_EEEvE4typeEPT_S4_
    .private_segment_fixed_size: 0
    .sgpr_count:     0
    .sgpr_spill_count: 0
    .symbol:         _Z26warp_inclusive_scan_kernelIiLj37ELj37EENSt9enable_ifIXntsr10test_utilsE35device_test_enabled_for_warp_size_vIXT1_EEEvE4typeEPT_S4_.kd
    .uniform_work_group_size: 1
    .uses_dynamic_stack: false
    .vgpr_count:     0
    .vgpr_spill_count: 0
    .wavefront_size: 32
    .workgroup_processor_mode: 1
  - .args:
      - .address_space:  global
        .offset:         0
        .size:           8
        .value_kind:     global_buffer
      - .address_space:  global
        .offset:         8
        .size:           8
        .value_kind:     global_buffer
      - .offset:         16
        .size:           4
        .value_kind:     hidden_block_count_x
      - .offset:         20
        .size:           4
        .value_kind:     hidden_block_count_y
      - .offset:         24
        .size:           4
        .value_kind:     hidden_block_count_z
      - .offset:         28
        .size:           2
        .value_kind:     hidden_group_size_x
      - .offset:         30
        .size:           2
        .value_kind:     hidden_group_size_y
      - .offset:         32
        .size:           2
        .value_kind:     hidden_group_size_z
      - .offset:         34
        .size:           2
        .value_kind:     hidden_remainder_x
      - .offset:         36
        .size:           2
        .value_kind:     hidden_remainder_y
      - .offset:         38
        .size:           2
        .value_kind:     hidden_remainder_z
      - .offset:         56
        .size:           8
        .value_kind:     hidden_global_offset_x
      - .offset:         64
        .size:           8
        .value_kind:     hidden_global_offset_y
      - .offset:         72
        .size:           8
        .value_kind:     hidden_global_offset_z
      - .offset:         80
        .size:           2
        .value_kind:     hidden_grid_dims
    .group_segment_fixed_size: 120
    .kernarg_segment_align: 8
    .kernarg_segment_size: 272
    .language:       OpenCL C
    .language_version:
      - 2
      - 0
    .max_flat_workgroup_size: 30
    .name:           _Z26warp_inclusive_scan_kernelIiLj30ELj15EENSt9enable_ifIXsr10test_utilsE35device_test_enabled_for_warp_size_vIXT1_EEEvE4typeEPT_S4_
    .private_segment_fixed_size: 0
    .sgpr_count:     18
    .sgpr_spill_count: 0
    .symbol:         _Z26warp_inclusive_scan_kernelIiLj30ELj15EENSt9enable_ifIXsr10test_utilsE35device_test_enabled_for_warp_size_vIXT1_EEEvE4typeEPT_S4_.kd
    .uniform_work_group_size: 1
    .uses_dynamic_stack: false
    .vgpr_count:     6
    .vgpr_spill_count: 0
    .wavefront_size: 32
    .workgroup_processor_mode: 1
  - .args:
      - .address_space:  global
        .offset:         0
        .size:           8
        .value_kind:     global_buffer
      - .address_space:  global
        .offset:         8
        .size:           8
        .value_kind:     global_buffer
      - .offset:         16
        .size:           4
        .value_kind:     hidden_block_count_x
      - .offset:         20
        .size:           4
        .value_kind:     hidden_block_count_y
      - .offset:         24
        .size:           4
        .value_kind:     hidden_block_count_z
      - .offset:         28
        .size:           2
        .value_kind:     hidden_group_size_x
      - .offset:         30
        .size:           2
        .value_kind:     hidden_group_size_y
      - .offset:         32
        .size:           2
        .value_kind:     hidden_group_size_z
      - .offset:         34
        .size:           2
        .value_kind:     hidden_remainder_x
      - .offset:         36
        .size:           2
        .value_kind:     hidden_remainder_y
      - .offset:         38
        .size:           2
        .value_kind:     hidden_remainder_z
      - .offset:         56
        .size:           8
        .value_kind:     hidden_global_offset_x
      - .offset:         64
        .size:           8
        .value_kind:     hidden_global_offset_y
      - .offset:         72
        .size:           8
        .value_kind:     hidden_global_offset_z
      - .offset:         80
        .size:           2
        .value_kind:     hidden_grid_dims
    .group_segment_fixed_size: 240
    .kernarg_segment_align: 8
    .kernarg_segment_size: 272
    .language:       OpenCL C
    .language_version:
      - 2
      - 0
    .max_flat_workgroup_size: 60
    .name:           _Z26warp_inclusive_scan_kernelIiLj60ELj15EENSt9enable_ifIXsr10test_utilsE35device_test_enabled_for_warp_size_vIXT1_EEEvE4typeEPT_S4_
    .private_segment_fixed_size: 0
    .sgpr_count:     18
    .sgpr_spill_count: 0
    .symbol:         _Z26warp_inclusive_scan_kernelIiLj60ELj15EENSt9enable_ifIXsr10test_utilsE35device_test_enabled_for_warp_size_vIXT1_EEEvE4typeEPT_S4_.kd
    .uniform_work_group_size: 1
    .uses_dynamic_stack: false
    .vgpr_count:     6
    .vgpr_spill_count: 0
    .wavefront_size: 32
    .workgroup_processor_mode: 1
  - .args:
      - .address_space:  global
        .offset:         0
        .size:           8
        .value_kind:     global_buffer
      - .address_space:  global
        .offset:         8
        .size:           8
        .value_kind:     global_buffer
      - .offset:         16
        .size:           4
        .value_kind:     hidden_block_count_x
      - .offset:         20
        .size:           4
        .value_kind:     hidden_block_count_y
      - .offset:         24
        .size:           4
        .value_kind:     hidden_block_count_z
      - .offset:         28
        .size:           2
        .value_kind:     hidden_group_size_x
      - .offset:         30
        .size:           2
        .value_kind:     hidden_group_size_y
      - .offset:         32
        .size:           2
        .value_kind:     hidden_group_size_z
      - .offset:         34
        .size:           2
        .value_kind:     hidden_remainder_x
      - .offset:         36
        .size:           2
        .value_kind:     hidden_remainder_y
      - .offset:         38
        .size:           2
        .value_kind:     hidden_remainder_z
      - .offset:         56
        .size:           8
        .value_kind:     hidden_global_offset_x
      - .offset:         64
        .size:           8
        .value_kind:     hidden_global_offset_y
      - .offset:         72
        .size:           8
        .value_kind:     hidden_global_offset_z
      - .offset:         80
        .size:           2
        .value_kind:     hidden_grid_dims
    .group_segment_fixed_size: 112
    .kernarg_segment_align: 8
    .kernarg_segment_size: 272
    .language:       OpenCL C
    .language_version:
      - 2
      - 0
    .max_flat_workgroup_size: 28
    .name:           _Z26warp_inclusive_scan_kernelIiLj28ELj7EENSt9enable_ifIXsr10test_utilsE35device_test_enabled_for_warp_size_vIXT1_EEEvE4typeEPT_S4_
    .private_segment_fixed_size: 0
    .sgpr_count:     18
    .sgpr_spill_count: 0
    .symbol:         _Z26warp_inclusive_scan_kernelIiLj28ELj7EENSt9enable_ifIXsr10test_utilsE35device_test_enabled_for_warp_size_vIXT1_EEEvE4typeEPT_S4_.kd
    .uniform_work_group_size: 1
    .uses_dynamic_stack: false
    .vgpr_count:     6
    .vgpr_spill_count: 0
    .wavefront_size: 32
    .workgroup_processor_mode: 1
  - .args:
      - .address_space:  global
        .offset:         0
        .size:           8
        .value_kind:     global_buffer
      - .address_space:  global
        .offset:         8
        .size:           8
        .value_kind:     global_buffer
      - .offset:         16
        .size:           4
        .value_kind:     hidden_block_count_x
      - .offset:         20
        .size:           4
        .value_kind:     hidden_block_count_y
      - .offset:         24
        .size:           4
        .value_kind:     hidden_block_count_z
      - .offset:         28
        .size:           2
        .value_kind:     hidden_group_size_x
      - .offset:         30
        .size:           2
        .value_kind:     hidden_group_size_y
      - .offset:         32
        .size:           2
        .value_kind:     hidden_group_size_z
      - .offset:         34
        .size:           2
        .value_kind:     hidden_remainder_x
      - .offset:         36
        .size:           2
        .value_kind:     hidden_remainder_y
      - .offset:         38
        .size:           2
        .value_kind:     hidden_remainder_z
      - .offset:         56
        .size:           8
        .value_kind:     hidden_global_offset_x
      - .offset:         64
        .size:           8
        .value_kind:     hidden_global_offset_y
      - .offset:         72
        .size:           8
        .value_kind:     hidden_global_offset_z
      - .offset:         80
        .size:           2
        .value_kind:     hidden_grid_dims
    .group_segment_fixed_size: 252
    .kernarg_segment_align: 8
    .kernarg_segment_size: 272
    .language:       OpenCL C
    .language_version:
      - 2
      - 0
    .max_flat_workgroup_size: 63
    .name:           _Z26warp_inclusive_scan_kernelIiLj63ELj7EENSt9enable_ifIXsr10test_utilsE35device_test_enabled_for_warp_size_vIXT1_EEEvE4typeEPT_S4_
    .private_segment_fixed_size: 0
    .sgpr_count:     18
    .sgpr_spill_count: 0
    .symbol:         _Z26warp_inclusive_scan_kernelIiLj63ELj7EENSt9enable_ifIXsr10test_utilsE35device_test_enabled_for_warp_size_vIXT1_EEEvE4typeEPT_S4_.kd
    .uniform_work_group_size: 1
    .uses_dynamic_stack: false
    .vgpr_count:     6
    .vgpr_spill_count: 0
    .wavefront_size: 32
    .workgroup_processor_mode: 1
  - .args:
      - .address_space:  global
        .offset:         0
        .size:           8
        .value_kind:     global_buffer
      - .address_space:  global
        .offset:         8
        .size:           8
        .value_kind:     global_buffer
      - .offset:         16
        .size:           4
        .value_kind:     hidden_block_count_x
      - .offset:         20
        .size:           4
        .value_kind:     hidden_block_count_y
      - .offset:         24
        .size:           4
        .value_kind:     hidden_block_count_z
      - .offset:         28
        .size:           2
        .value_kind:     hidden_group_size_x
      - .offset:         30
        .size:           2
        .value_kind:     hidden_group_size_y
      - .offset:         32
        .size:           2
        .value_kind:     hidden_group_size_z
      - .offset:         34
        .size:           2
        .value_kind:     hidden_remainder_x
      - .offset:         36
        .size:           2
        .value_kind:     hidden_remainder_y
      - .offset:         38
        .size:           2
        .value_kind:     hidden_remainder_z
      - .offset:         56
        .size:           8
        .value_kind:     hidden_global_offset_x
      - .offset:         64
        .size:           8
        .value_kind:     hidden_global_offset_y
      - .offset:         72
        .size:           8
        .value_kind:     hidden_global_offset_z
      - .offset:         80
        .size:           2
        .value_kind:     hidden_grid_dims
    .group_segment_fixed_size: 120
    .kernarg_segment_align: 8
    .kernarg_segment_size: 272
    .language:       OpenCL C
    .language_version:
      - 2
      - 0
    .max_flat_workgroup_size: 30
    .name:           _Z26warp_inclusive_scan_kernelIiLj30ELj3EENSt9enable_ifIXsr10test_utilsE35device_test_enabled_for_warp_size_vIXT1_EEEvE4typeEPT_S4_
    .private_segment_fixed_size: 0
    .sgpr_count:     18
    .sgpr_spill_count: 0
    .symbol:         _Z26warp_inclusive_scan_kernelIiLj30ELj3EENSt9enable_ifIXsr10test_utilsE35device_test_enabled_for_warp_size_vIXT1_EEEvE4typeEPT_S4_.kd
    .uniform_work_group_size: 1
    .uses_dynamic_stack: false
    .vgpr_count:     6
    .vgpr_spill_count: 0
    .wavefront_size: 32
    .workgroup_processor_mode: 1
  - .args:
      - .address_space:  global
        .offset:         0
        .size:           8
        .value_kind:     global_buffer
      - .address_space:  global
        .offset:         8
        .size:           8
        .value_kind:     global_buffer
      - .offset:         16
        .size:           4
        .value_kind:     hidden_block_count_x
      - .offset:         20
        .size:           4
        .value_kind:     hidden_block_count_y
      - .offset:         24
        .size:           4
        .value_kind:     hidden_block_count_z
      - .offset:         28
        .size:           2
        .value_kind:     hidden_group_size_x
      - .offset:         30
        .size:           2
        .value_kind:     hidden_group_size_y
      - .offset:         32
        .size:           2
        .value_kind:     hidden_group_size_z
      - .offset:         34
        .size:           2
        .value_kind:     hidden_remainder_x
      - .offset:         36
        .size:           2
        .value_kind:     hidden_remainder_y
      - .offset:         38
        .size:           2
        .value_kind:     hidden_remainder_z
      - .offset:         56
        .size:           8
        .value_kind:     hidden_global_offset_x
      - .offset:         64
        .size:           8
        .value_kind:     hidden_global_offset_y
      - .offset:         72
        .size:           8
        .value_kind:     hidden_global_offset_z
      - .offset:         80
        .size:           2
        .value_kind:     hidden_grid_dims
    .group_segment_fixed_size: 252
    .kernarg_segment_align: 8
    .kernarg_segment_size: 272
    .language:       OpenCL C
    .language_version:
      - 2
      - 0
    .max_flat_workgroup_size: 63
    .name:           _Z26warp_inclusive_scan_kernelIiLj63ELj3EENSt9enable_ifIXsr10test_utilsE35device_test_enabled_for_warp_size_vIXT1_EEEvE4typeEPT_S4_
    .private_segment_fixed_size: 0
    .sgpr_count:     18
    .sgpr_spill_count: 0
    .symbol:         _Z26warp_inclusive_scan_kernelIiLj63ELj3EENSt9enable_ifIXsr10test_utilsE35device_test_enabled_for_warp_size_vIXT1_EEEvE4typeEPT_S4_.kd
    .uniform_work_group_size: 1
    .uses_dynamic_stack: false
    .vgpr_count:     6
    .vgpr_spill_count: 0
    .wavefront_size: 32
    .workgroup_processor_mode: 1
  - .args:
      - .address_space:  global
        .offset:         0
        .size:           8
        .value_kind:     global_buffer
      - .address_space:  global
        .offset:         8
        .size:           8
        .value_kind:     global_buffer
    .group_segment_fixed_size: 0
    .kernarg_segment_align: 8
    .kernarg_segment_size: 16
    .language:       OpenCL C
    .language_version:
      - 2
      - 0
    .max_flat_workgroup_size: 256
    .name:           _Z26warp_inclusive_scan_kernelI12hip_bfloat16Lj256ELj64EENSt9enable_ifIXntsr10test_utilsE35device_test_enabled_for_warp_size_vIXT1_EEEvE4typeEPT_S5_
    .private_segment_fixed_size: 0
    .sgpr_count:     0
    .sgpr_spill_count: 0
    .symbol:         _Z26warp_inclusive_scan_kernelI12hip_bfloat16Lj256ELj64EENSt9enable_ifIXntsr10test_utilsE35device_test_enabled_for_warp_size_vIXT1_EEEvE4typeEPT_S5_.kd
    .uniform_work_group_size: 1
    .uses_dynamic_stack: false
    .vgpr_count:     0
    .vgpr_spill_count: 0
    .wavefront_size: 32
    .workgroup_processor_mode: 1
  - .args:
      - .address_space:  global
        .offset:         0
        .size:           8
        .value_kind:     global_buffer
      - .address_space:  global
        .offset:         8
        .size:           8
        .value_kind:     global_buffer
      - .offset:         16
        .size:           4
        .value_kind:     hidden_block_count_x
      - .offset:         20
        .size:           4
        .value_kind:     hidden_block_count_y
      - .offset:         24
        .size:           4
        .value_kind:     hidden_block_count_z
      - .offset:         28
        .size:           2
        .value_kind:     hidden_group_size_x
      - .offset:         30
        .size:           2
        .value_kind:     hidden_group_size_y
      - .offset:         32
        .size:           2
        .value_kind:     hidden_group_size_z
      - .offset:         34
        .size:           2
        .value_kind:     hidden_remainder_x
      - .offset:         36
        .size:           2
        .value_kind:     hidden_remainder_y
      - .offset:         38
        .size:           2
        .value_kind:     hidden_remainder_z
      - .offset:         56
        .size:           8
        .value_kind:     hidden_global_offset_x
      - .offset:         64
        .size:           8
        .value_kind:     hidden_global_offset_y
      - .offset:         72
        .size:           8
        .value_kind:     hidden_global_offset_z
      - .offset:         80
        .size:           2
        .value_kind:     hidden_grid_dims
    .group_segment_fixed_size: 0
    .kernarg_segment_align: 8
    .kernarg_segment_size: 272
    .language:       OpenCL C
    .language_version:
      - 2
      - 0
    .max_flat_workgroup_size: 128
    .name:           _Z26warp_inclusive_scan_kernelI12hip_bfloat16Lj128ELj32EENSt9enable_ifIXsr10test_utilsE35device_test_enabled_for_warp_size_vIXT1_EEEvE4typeEPT_S5_
    .private_segment_fixed_size: 0
    .sgpr_count:     18
    .sgpr_spill_count: 0
    .symbol:         _Z26warp_inclusive_scan_kernelI12hip_bfloat16Lj128ELj32EENSt9enable_ifIXsr10test_utilsE35device_test_enabled_for_warp_size_vIXT1_EEEvE4typeEPT_S5_.kd
    .uniform_work_group_size: 1
    .uses_dynamic_stack: false
    .vgpr_count:     9
    .vgpr_spill_count: 0
    .wavefront_size: 32
    .workgroup_processor_mode: 1
  - .args:
      - .address_space:  global
        .offset:         0
        .size:           8
        .value_kind:     global_buffer
      - .address_space:  global
        .offset:         8
        .size:           8
        .value_kind:     global_buffer
      - .offset:         16
        .size:           4
        .value_kind:     hidden_block_count_x
      - .offset:         20
        .size:           4
        .value_kind:     hidden_block_count_y
      - .offset:         24
        .size:           4
        .value_kind:     hidden_block_count_z
      - .offset:         28
        .size:           2
        .value_kind:     hidden_group_size_x
      - .offset:         30
        .size:           2
        .value_kind:     hidden_group_size_y
      - .offset:         32
        .size:           2
        .value_kind:     hidden_group_size_z
      - .offset:         34
        .size:           2
        .value_kind:     hidden_remainder_x
      - .offset:         36
        .size:           2
        .value_kind:     hidden_remainder_y
      - .offset:         38
        .size:           2
        .value_kind:     hidden_remainder_z
      - .offset:         56
        .size:           8
        .value_kind:     hidden_global_offset_x
      - .offset:         64
        .size:           8
        .value_kind:     hidden_global_offset_y
      - .offset:         72
        .size:           8
        .value_kind:     hidden_global_offset_z
      - .offset:         80
        .size:           2
        .value_kind:     hidden_grid_dims
    .group_segment_fixed_size: 0
    .kernarg_segment_align: 8
    .kernarg_segment_size: 272
    .language:       OpenCL C
    .language_version:
      - 2
      - 0
    .max_flat_workgroup_size: 64
    .name:           _Z26warp_inclusive_scan_kernelI12hip_bfloat16Lj64ELj16EENSt9enable_ifIXsr10test_utilsE35device_test_enabled_for_warp_size_vIXT1_EEEvE4typeEPT_S5_
    .private_segment_fixed_size: 0
    .sgpr_count:     18
    .sgpr_spill_count: 0
    .symbol:         _Z26warp_inclusive_scan_kernelI12hip_bfloat16Lj64ELj16EENSt9enable_ifIXsr10test_utilsE35device_test_enabled_for_warp_size_vIXT1_EEEvE4typeEPT_S5_.kd
    .uniform_work_group_size: 1
    .uses_dynamic_stack: false
    .vgpr_count:     8
    .vgpr_spill_count: 0
    .wavefront_size: 32
    .workgroup_processor_mode: 1
  - .args:
      - .address_space:  global
        .offset:         0
        .size:           8
        .value_kind:     global_buffer
      - .address_space:  global
        .offset:         8
        .size:           8
        .value_kind:     global_buffer
      - .offset:         16
        .size:           4
        .value_kind:     hidden_block_count_x
      - .offset:         20
        .size:           4
        .value_kind:     hidden_block_count_y
      - .offset:         24
        .size:           4
        .value_kind:     hidden_block_count_z
      - .offset:         28
        .size:           2
        .value_kind:     hidden_group_size_x
      - .offset:         30
        .size:           2
        .value_kind:     hidden_group_size_y
      - .offset:         32
        .size:           2
        .value_kind:     hidden_group_size_z
      - .offset:         34
        .size:           2
        .value_kind:     hidden_remainder_x
      - .offset:         36
        .size:           2
        .value_kind:     hidden_remainder_y
      - .offset:         38
        .size:           2
        .value_kind:     hidden_remainder_z
      - .offset:         56
        .size:           8
        .value_kind:     hidden_global_offset_x
      - .offset:         64
        .size:           8
        .value_kind:     hidden_global_offset_y
      - .offset:         72
        .size:           8
        .value_kind:     hidden_global_offset_z
      - .offset:         80
        .size:           2
        .value_kind:     hidden_grid_dims
    .group_segment_fixed_size: 0
    .kernarg_segment_align: 8
    .kernarg_segment_size: 272
    .language:       OpenCL C
    .language_version:
      - 2
      - 0
    .max_flat_workgroup_size: 32
    .name:           _Z26warp_inclusive_scan_kernelI12hip_bfloat16Lj32ELj8EENSt9enable_ifIXsr10test_utilsE35device_test_enabled_for_warp_size_vIXT1_EEEvE4typeEPT_S5_
    .private_segment_fixed_size: 0
    .sgpr_count:     18
    .sgpr_spill_count: 0
    .symbol:         _Z26warp_inclusive_scan_kernelI12hip_bfloat16Lj32ELj8EENSt9enable_ifIXsr10test_utilsE35device_test_enabled_for_warp_size_vIXT1_EEEvE4typeEPT_S5_.kd
    .uniform_work_group_size: 1
    .uses_dynamic_stack: false
    .vgpr_count:     8
    .vgpr_spill_count: 0
    .wavefront_size: 32
    .workgroup_processor_mode: 1
  - .args:
      - .address_space:  global
        .offset:         0
        .size:           8
        .value_kind:     global_buffer
      - .address_space:  global
        .offset:         8
        .size:           8
        .value_kind:     global_buffer
      - .offset:         16
        .size:           4
        .value_kind:     hidden_block_count_x
      - .offset:         20
        .size:           4
        .value_kind:     hidden_block_count_y
      - .offset:         24
        .size:           4
        .value_kind:     hidden_block_count_z
      - .offset:         28
        .size:           2
        .value_kind:     hidden_group_size_x
      - .offset:         30
        .size:           2
        .value_kind:     hidden_group_size_y
      - .offset:         32
        .size:           2
        .value_kind:     hidden_group_size_z
      - .offset:         34
        .size:           2
        .value_kind:     hidden_remainder_x
      - .offset:         36
        .size:           2
        .value_kind:     hidden_remainder_y
      - .offset:         38
        .size:           2
        .value_kind:     hidden_remainder_z
      - .offset:         56
        .size:           8
        .value_kind:     hidden_global_offset_x
      - .offset:         64
        .size:           8
        .value_kind:     hidden_global_offset_y
      - .offset:         72
        .size:           8
        .value_kind:     hidden_global_offset_z
      - .offset:         80
        .size:           2
        .value_kind:     hidden_grid_dims
    .group_segment_fixed_size: 0
    .kernarg_segment_align: 8
    .kernarg_segment_size: 272
    .language:       OpenCL C
    .language_version:
      - 2
      - 0
    .max_flat_workgroup_size: 64
    .name:           _Z26warp_inclusive_scan_kernelI12hip_bfloat16Lj64ELj8EENSt9enable_ifIXsr10test_utilsE35device_test_enabled_for_warp_size_vIXT1_EEEvE4typeEPT_S5_
    .private_segment_fixed_size: 0
    .sgpr_count:     18
    .sgpr_spill_count: 0
    .symbol:         _Z26warp_inclusive_scan_kernelI12hip_bfloat16Lj64ELj8EENSt9enable_ifIXsr10test_utilsE35device_test_enabled_for_warp_size_vIXT1_EEEvE4typeEPT_S5_.kd
    .uniform_work_group_size: 1
    .uses_dynamic_stack: false
    .vgpr_count:     8
    .vgpr_spill_count: 0
    .wavefront_size: 32
    .workgroup_processor_mode: 1
  - .args:
      - .address_space:  global
        .offset:         0
        .size:           8
        .value_kind:     global_buffer
      - .address_space:  global
        .offset:         8
        .size:           8
        .value_kind:     global_buffer
      - .offset:         16
        .size:           4
        .value_kind:     hidden_block_count_x
      - .offset:         20
        .size:           4
        .value_kind:     hidden_block_count_y
      - .offset:         24
        .size:           4
        .value_kind:     hidden_block_count_z
      - .offset:         28
        .size:           2
        .value_kind:     hidden_group_size_x
      - .offset:         30
        .size:           2
        .value_kind:     hidden_group_size_y
      - .offset:         32
        .size:           2
        .value_kind:     hidden_group_size_z
      - .offset:         34
        .size:           2
        .value_kind:     hidden_remainder_x
      - .offset:         36
        .size:           2
        .value_kind:     hidden_remainder_y
      - .offset:         38
        .size:           2
        .value_kind:     hidden_remainder_z
      - .offset:         56
        .size:           8
        .value_kind:     hidden_global_offset_x
      - .offset:         64
        .size:           8
        .value_kind:     hidden_global_offset_y
      - .offset:         72
        .size:           8
        .value_kind:     hidden_global_offset_z
      - .offset:         80
        .size:           2
        .value_kind:     hidden_grid_dims
    .group_segment_fixed_size: 0
    .kernarg_segment_align: 8
    .kernarg_segment_size: 272
    .language:       OpenCL C
    .language_version:
      - 2
      - 0
    .max_flat_workgroup_size: 32
    .name:           _Z26warp_inclusive_scan_kernelI12hip_bfloat16Lj32ELj4EENSt9enable_ifIXsr10test_utilsE35device_test_enabled_for_warp_size_vIXT1_EEEvE4typeEPT_S5_
    .private_segment_fixed_size: 0
    .sgpr_count:     18
    .sgpr_spill_count: 0
    .symbol:         _Z26warp_inclusive_scan_kernelI12hip_bfloat16Lj32ELj4EENSt9enable_ifIXsr10test_utilsE35device_test_enabled_for_warp_size_vIXT1_EEEvE4typeEPT_S5_.kd
    .uniform_work_group_size: 1
    .uses_dynamic_stack: false
    .vgpr_count:     7
    .vgpr_spill_count: 0
    .wavefront_size: 32
    .workgroup_processor_mode: 1
  - .args:
      - .address_space:  global
        .offset:         0
        .size:           8
        .value_kind:     global_buffer
      - .address_space:  global
        .offset:         8
        .size:           8
        .value_kind:     global_buffer
      - .offset:         16
        .size:           4
        .value_kind:     hidden_block_count_x
      - .offset:         20
        .size:           4
        .value_kind:     hidden_block_count_y
      - .offset:         24
        .size:           4
        .value_kind:     hidden_block_count_z
      - .offset:         28
        .size:           2
        .value_kind:     hidden_group_size_x
      - .offset:         30
        .size:           2
        .value_kind:     hidden_group_size_y
      - .offset:         32
        .size:           2
        .value_kind:     hidden_group_size_z
      - .offset:         34
        .size:           2
        .value_kind:     hidden_remainder_x
      - .offset:         36
        .size:           2
        .value_kind:     hidden_remainder_y
      - .offset:         38
        .size:           2
        .value_kind:     hidden_remainder_z
      - .offset:         56
        .size:           8
        .value_kind:     hidden_global_offset_x
      - .offset:         64
        .size:           8
        .value_kind:     hidden_global_offset_y
      - .offset:         72
        .size:           8
        .value_kind:     hidden_global_offset_z
      - .offset:         80
        .size:           2
        .value_kind:     hidden_grid_dims
    .group_segment_fixed_size: 0
    .kernarg_segment_align: 8
    .kernarg_segment_size: 272
    .language:       OpenCL C
    .language_version:
      - 2
      - 0
    .max_flat_workgroup_size: 64
    .name:           _Z26warp_inclusive_scan_kernelI12hip_bfloat16Lj64ELj4EENSt9enable_ifIXsr10test_utilsE35device_test_enabled_for_warp_size_vIXT1_EEEvE4typeEPT_S5_
    .private_segment_fixed_size: 0
    .sgpr_count:     18
    .sgpr_spill_count: 0
    .symbol:         _Z26warp_inclusive_scan_kernelI12hip_bfloat16Lj64ELj4EENSt9enable_ifIXsr10test_utilsE35device_test_enabled_for_warp_size_vIXT1_EEEvE4typeEPT_S5_.kd
    .uniform_work_group_size: 1
    .uses_dynamic_stack: false
    .vgpr_count:     7
    .vgpr_spill_count: 0
    .wavefront_size: 32
    .workgroup_processor_mode: 1
  - .args:
      - .address_space:  global
        .offset:         0
        .size:           8
        .value_kind:     global_buffer
      - .address_space:  global
        .offset:         8
        .size:           8
        .value_kind:     global_buffer
      - .offset:         16
        .size:           4
        .value_kind:     hidden_block_count_x
      - .offset:         20
        .size:           4
        .value_kind:     hidden_block_count_y
      - .offset:         24
        .size:           4
        .value_kind:     hidden_block_count_z
      - .offset:         28
        .size:           2
        .value_kind:     hidden_group_size_x
      - .offset:         30
        .size:           2
        .value_kind:     hidden_group_size_y
      - .offset:         32
        .size:           2
        .value_kind:     hidden_group_size_z
      - .offset:         34
        .size:           2
        .value_kind:     hidden_remainder_x
      - .offset:         36
        .size:           2
        .value_kind:     hidden_remainder_y
      - .offset:         38
        .size:           2
        .value_kind:     hidden_remainder_z
      - .offset:         56
        .size:           8
        .value_kind:     hidden_global_offset_x
      - .offset:         64
        .size:           8
        .value_kind:     hidden_global_offset_y
      - .offset:         72
        .size:           8
        .value_kind:     hidden_global_offset_z
      - .offset:         80
        .size:           2
        .value_kind:     hidden_grid_dims
    .group_segment_fixed_size: 0
    .kernarg_segment_align: 8
    .kernarg_segment_size: 272
    .language:       OpenCL C
    .language_version:
      - 2
      - 0
    .max_flat_workgroup_size: 32
    .name:           _Z26warp_inclusive_scan_kernelI12hip_bfloat16Lj32ELj2EENSt9enable_ifIXsr10test_utilsE35device_test_enabled_for_warp_size_vIXT1_EEEvE4typeEPT_S5_
    .private_segment_fixed_size: 0
    .sgpr_count:     18
    .sgpr_spill_count: 0
    .symbol:         _Z26warp_inclusive_scan_kernelI12hip_bfloat16Lj32ELj2EENSt9enable_ifIXsr10test_utilsE35device_test_enabled_for_warp_size_vIXT1_EEEvE4typeEPT_S5_.kd
    .uniform_work_group_size: 1
    .uses_dynamic_stack: false
    .vgpr_count:     6
    .vgpr_spill_count: 0
    .wavefront_size: 32
    .workgroup_processor_mode: 1
  - .args:
      - .address_space:  global
        .offset:         0
        .size:           8
        .value_kind:     global_buffer
      - .address_space:  global
        .offset:         8
        .size:           8
        .value_kind:     global_buffer
      - .offset:         16
        .size:           4
        .value_kind:     hidden_block_count_x
      - .offset:         20
        .size:           4
        .value_kind:     hidden_block_count_y
      - .offset:         24
        .size:           4
        .value_kind:     hidden_block_count_z
      - .offset:         28
        .size:           2
        .value_kind:     hidden_group_size_x
      - .offset:         30
        .size:           2
        .value_kind:     hidden_group_size_y
      - .offset:         32
        .size:           2
        .value_kind:     hidden_group_size_z
      - .offset:         34
        .size:           2
        .value_kind:     hidden_remainder_x
      - .offset:         36
        .size:           2
        .value_kind:     hidden_remainder_y
      - .offset:         38
        .size:           2
        .value_kind:     hidden_remainder_z
      - .offset:         56
        .size:           8
        .value_kind:     hidden_global_offset_x
      - .offset:         64
        .size:           8
        .value_kind:     hidden_global_offset_y
      - .offset:         72
        .size:           8
        .value_kind:     hidden_global_offset_z
      - .offset:         80
        .size:           2
        .value_kind:     hidden_grid_dims
    .group_segment_fixed_size: 0
    .kernarg_segment_align: 8
    .kernarg_segment_size: 272
    .language:       OpenCL C
    .language_version:
      - 2
      - 0
    .max_flat_workgroup_size: 64
    .name:           _Z26warp_inclusive_scan_kernelI12hip_bfloat16Lj64ELj2EENSt9enable_ifIXsr10test_utilsE35device_test_enabled_for_warp_size_vIXT1_EEEvE4typeEPT_S5_
    .private_segment_fixed_size: 0
    .sgpr_count:     18
    .sgpr_spill_count: 0
    .symbol:         _Z26warp_inclusive_scan_kernelI12hip_bfloat16Lj64ELj2EENSt9enable_ifIXsr10test_utilsE35device_test_enabled_for_warp_size_vIXT1_EEEvE4typeEPT_S5_.kd
    .uniform_work_group_size: 1
    .uses_dynamic_stack: false
    .vgpr_count:     6
    .vgpr_spill_count: 0
    .wavefront_size: 32
    .workgroup_processor_mode: 1
  - .args:
      - .address_space:  global
        .offset:         0
        .size:           8
        .value_kind:     global_buffer
      - .address_space:  global
        .offset:         8
        .size:           8
        .value_kind:     global_buffer
    .group_segment_fixed_size: 0
    .kernarg_segment_align: 8
    .kernarg_segment_size: 16
    .language:       OpenCL C
    .language_version:
      - 2
      - 0
    .max_flat_workgroup_size: 256
    .name:           _Z26warp_inclusive_scan_kernelI6__halfLj256ELj64EENSt9enable_ifIXntsr10test_utilsE35device_test_enabled_for_warp_size_vIXT1_EEEvE4typeEPT_S5_
    .private_segment_fixed_size: 0
    .sgpr_count:     0
    .sgpr_spill_count: 0
    .symbol:         _Z26warp_inclusive_scan_kernelI6__halfLj256ELj64EENSt9enable_ifIXntsr10test_utilsE35device_test_enabled_for_warp_size_vIXT1_EEEvE4typeEPT_S5_.kd
    .uniform_work_group_size: 1
    .uses_dynamic_stack: false
    .vgpr_count:     0
    .vgpr_spill_count: 0
    .wavefront_size: 32
    .workgroup_processor_mode: 1
  - .args:
      - .address_space:  global
        .offset:         0
        .size:           8
        .value_kind:     global_buffer
      - .address_space:  global
        .offset:         8
        .size:           8
        .value_kind:     global_buffer
      - .offset:         16
        .size:           4
        .value_kind:     hidden_block_count_x
      - .offset:         20
        .size:           4
        .value_kind:     hidden_block_count_y
      - .offset:         24
        .size:           4
        .value_kind:     hidden_block_count_z
      - .offset:         28
        .size:           2
        .value_kind:     hidden_group_size_x
      - .offset:         30
        .size:           2
        .value_kind:     hidden_group_size_y
      - .offset:         32
        .size:           2
        .value_kind:     hidden_group_size_z
      - .offset:         34
        .size:           2
        .value_kind:     hidden_remainder_x
      - .offset:         36
        .size:           2
        .value_kind:     hidden_remainder_y
      - .offset:         38
        .size:           2
        .value_kind:     hidden_remainder_z
      - .offset:         56
        .size:           8
        .value_kind:     hidden_global_offset_x
      - .offset:         64
        .size:           8
        .value_kind:     hidden_global_offset_y
      - .offset:         72
        .size:           8
        .value_kind:     hidden_global_offset_z
      - .offset:         80
        .size:           2
        .value_kind:     hidden_grid_dims
    .group_segment_fixed_size: 0
    .kernarg_segment_align: 8
    .kernarg_segment_size: 272
    .language:       OpenCL C
    .language_version:
      - 2
      - 0
    .max_flat_workgroup_size: 128
    .name:           _Z26warp_inclusive_scan_kernelI6__halfLj128ELj32EENSt9enable_ifIXsr10test_utilsE35device_test_enabled_for_warp_size_vIXT1_EEEvE4typeEPT_S5_
    .private_segment_fixed_size: 0
    .sgpr_count:     18
    .sgpr_spill_count: 0
    .symbol:         _Z26warp_inclusive_scan_kernelI6__halfLj128ELj32EENSt9enable_ifIXsr10test_utilsE35device_test_enabled_for_warp_size_vIXT1_EEEvE4typeEPT_S5_.kd
    .uniform_work_group_size: 1
    .uses_dynamic_stack: false
    .vgpr_count:     6
    .vgpr_spill_count: 0
    .wavefront_size: 32
    .workgroup_processor_mode: 1
  - .args:
      - .address_space:  global
        .offset:         0
        .size:           8
        .value_kind:     global_buffer
      - .address_space:  global
        .offset:         8
        .size:           8
        .value_kind:     global_buffer
      - .offset:         16
        .size:           4
        .value_kind:     hidden_block_count_x
      - .offset:         20
        .size:           4
        .value_kind:     hidden_block_count_y
      - .offset:         24
        .size:           4
        .value_kind:     hidden_block_count_z
      - .offset:         28
        .size:           2
        .value_kind:     hidden_group_size_x
      - .offset:         30
        .size:           2
        .value_kind:     hidden_group_size_y
      - .offset:         32
        .size:           2
        .value_kind:     hidden_group_size_z
      - .offset:         34
        .size:           2
        .value_kind:     hidden_remainder_x
      - .offset:         36
        .size:           2
        .value_kind:     hidden_remainder_y
      - .offset:         38
        .size:           2
        .value_kind:     hidden_remainder_z
      - .offset:         56
        .size:           8
        .value_kind:     hidden_global_offset_x
      - .offset:         64
        .size:           8
        .value_kind:     hidden_global_offset_y
      - .offset:         72
        .size:           8
        .value_kind:     hidden_global_offset_z
      - .offset:         80
        .size:           2
        .value_kind:     hidden_grid_dims
    .group_segment_fixed_size: 0
    .kernarg_segment_align: 8
    .kernarg_segment_size: 272
    .language:       OpenCL C
    .language_version:
      - 2
      - 0
    .max_flat_workgroup_size: 64
    .name:           _Z26warp_inclusive_scan_kernelI6__halfLj64ELj16EENSt9enable_ifIXsr10test_utilsE35device_test_enabled_for_warp_size_vIXT1_EEEvE4typeEPT_S5_
    .private_segment_fixed_size: 0
    .sgpr_count:     18
    .sgpr_spill_count: 0
    .symbol:         _Z26warp_inclusive_scan_kernelI6__halfLj64ELj16EENSt9enable_ifIXsr10test_utilsE35device_test_enabled_for_warp_size_vIXT1_EEEvE4typeEPT_S5_.kd
    .uniform_work_group_size: 1
    .uses_dynamic_stack: false
    .vgpr_count:     5
    .vgpr_spill_count: 0
    .wavefront_size: 32
    .workgroup_processor_mode: 1
  - .args:
      - .address_space:  global
        .offset:         0
        .size:           8
        .value_kind:     global_buffer
      - .address_space:  global
        .offset:         8
        .size:           8
        .value_kind:     global_buffer
      - .offset:         16
        .size:           4
        .value_kind:     hidden_block_count_x
      - .offset:         20
        .size:           4
        .value_kind:     hidden_block_count_y
      - .offset:         24
        .size:           4
        .value_kind:     hidden_block_count_z
      - .offset:         28
        .size:           2
        .value_kind:     hidden_group_size_x
      - .offset:         30
        .size:           2
        .value_kind:     hidden_group_size_y
      - .offset:         32
        .size:           2
        .value_kind:     hidden_group_size_z
      - .offset:         34
        .size:           2
        .value_kind:     hidden_remainder_x
      - .offset:         36
        .size:           2
        .value_kind:     hidden_remainder_y
      - .offset:         38
        .size:           2
        .value_kind:     hidden_remainder_z
      - .offset:         56
        .size:           8
        .value_kind:     hidden_global_offset_x
      - .offset:         64
        .size:           8
        .value_kind:     hidden_global_offset_y
      - .offset:         72
        .size:           8
        .value_kind:     hidden_global_offset_z
      - .offset:         80
        .size:           2
        .value_kind:     hidden_grid_dims
    .group_segment_fixed_size: 0
    .kernarg_segment_align: 8
    .kernarg_segment_size: 272
    .language:       OpenCL C
    .language_version:
      - 2
      - 0
    .max_flat_workgroup_size: 32
    .name:           _Z26warp_inclusive_scan_kernelI6__halfLj32ELj8EENSt9enable_ifIXsr10test_utilsE35device_test_enabled_for_warp_size_vIXT1_EEEvE4typeEPT_S5_
    .private_segment_fixed_size: 0
    .sgpr_count:     18
    .sgpr_spill_count: 0
    .symbol:         _Z26warp_inclusive_scan_kernelI6__halfLj32ELj8EENSt9enable_ifIXsr10test_utilsE35device_test_enabled_for_warp_size_vIXT1_EEEvE4typeEPT_S5_.kd
    .uniform_work_group_size: 1
    .uses_dynamic_stack: false
    .vgpr_count:     5
    .vgpr_spill_count: 0
    .wavefront_size: 32
    .workgroup_processor_mode: 1
  - .args:
      - .address_space:  global
        .offset:         0
        .size:           8
        .value_kind:     global_buffer
      - .address_space:  global
        .offset:         8
        .size:           8
        .value_kind:     global_buffer
      - .offset:         16
        .size:           4
        .value_kind:     hidden_block_count_x
      - .offset:         20
        .size:           4
        .value_kind:     hidden_block_count_y
      - .offset:         24
        .size:           4
        .value_kind:     hidden_block_count_z
      - .offset:         28
        .size:           2
        .value_kind:     hidden_group_size_x
      - .offset:         30
        .size:           2
        .value_kind:     hidden_group_size_y
      - .offset:         32
        .size:           2
        .value_kind:     hidden_group_size_z
      - .offset:         34
        .size:           2
        .value_kind:     hidden_remainder_x
      - .offset:         36
        .size:           2
        .value_kind:     hidden_remainder_y
      - .offset:         38
        .size:           2
        .value_kind:     hidden_remainder_z
      - .offset:         56
        .size:           8
        .value_kind:     hidden_global_offset_x
      - .offset:         64
        .size:           8
        .value_kind:     hidden_global_offset_y
      - .offset:         72
        .size:           8
        .value_kind:     hidden_global_offset_z
      - .offset:         80
        .size:           2
        .value_kind:     hidden_grid_dims
    .group_segment_fixed_size: 0
    .kernarg_segment_align: 8
    .kernarg_segment_size: 272
    .language:       OpenCL C
    .language_version:
      - 2
      - 0
    .max_flat_workgroup_size: 64
    .name:           _Z26warp_inclusive_scan_kernelI6__halfLj64ELj8EENSt9enable_ifIXsr10test_utilsE35device_test_enabled_for_warp_size_vIXT1_EEEvE4typeEPT_S5_
    .private_segment_fixed_size: 0
    .sgpr_count:     18
    .sgpr_spill_count: 0
    .symbol:         _Z26warp_inclusive_scan_kernelI6__halfLj64ELj8EENSt9enable_ifIXsr10test_utilsE35device_test_enabled_for_warp_size_vIXT1_EEEvE4typeEPT_S5_.kd
    .uniform_work_group_size: 1
    .uses_dynamic_stack: false
    .vgpr_count:     5
    .vgpr_spill_count: 0
    .wavefront_size: 32
    .workgroup_processor_mode: 1
  - .args:
      - .address_space:  global
        .offset:         0
        .size:           8
        .value_kind:     global_buffer
      - .address_space:  global
        .offset:         8
        .size:           8
        .value_kind:     global_buffer
      - .offset:         16
        .size:           4
        .value_kind:     hidden_block_count_x
      - .offset:         20
        .size:           4
        .value_kind:     hidden_block_count_y
      - .offset:         24
        .size:           4
        .value_kind:     hidden_block_count_z
      - .offset:         28
        .size:           2
        .value_kind:     hidden_group_size_x
      - .offset:         30
        .size:           2
        .value_kind:     hidden_group_size_y
      - .offset:         32
        .size:           2
        .value_kind:     hidden_group_size_z
      - .offset:         34
        .size:           2
        .value_kind:     hidden_remainder_x
      - .offset:         36
        .size:           2
        .value_kind:     hidden_remainder_y
      - .offset:         38
        .size:           2
        .value_kind:     hidden_remainder_z
      - .offset:         56
        .size:           8
        .value_kind:     hidden_global_offset_x
      - .offset:         64
        .size:           8
        .value_kind:     hidden_global_offset_y
      - .offset:         72
        .size:           8
        .value_kind:     hidden_global_offset_z
      - .offset:         80
        .size:           2
        .value_kind:     hidden_grid_dims
    .group_segment_fixed_size: 0
    .kernarg_segment_align: 8
    .kernarg_segment_size: 272
    .language:       OpenCL C
    .language_version:
      - 2
      - 0
    .max_flat_workgroup_size: 32
    .name:           _Z26warp_inclusive_scan_kernelI6__halfLj32ELj4EENSt9enable_ifIXsr10test_utilsE35device_test_enabled_for_warp_size_vIXT1_EEEvE4typeEPT_S5_
    .private_segment_fixed_size: 0
    .sgpr_count:     18
    .sgpr_spill_count: 0
    .symbol:         _Z26warp_inclusive_scan_kernelI6__halfLj32ELj4EENSt9enable_ifIXsr10test_utilsE35device_test_enabled_for_warp_size_vIXT1_EEEvE4typeEPT_S5_.kd
    .uniform_work_group_size: 1
    .uses_dynamic_stack: false
    .vgpr_count:     5
    .vgpr_spill_count: 0
    .wavefront_size: 32
    .workgroup_processor_mode: 1
  - .args:
      - .address_space:  global
        .offset:         0
        .size:           8
        .value_kind:     global_buffer
      - .address_space:  global
        .offset:         8
        .size:           8
        .value_kind:     global_buffer
      - .offset:         16
        .size:           4
        .value_kind:     hidden_block_count_x
      - .offset:         20
        .size:           4
        .value_kind:     hidden_block_count_y
      - .offset:         24
        .size:           4
        .value_kind:     hidden_block_count_z
      - .offset:         28
        .size:           2
        .value_kind:     hidden_group_size_x
      - .offset:         30
        .size:           2
        .value_kind:     hidden_group_size_y
      - .offset:         32
        .size:           2
        .value_kind:     hidden_group_size_z
      - .offset:         34
        .size:           2
        .value_kind:     hidden_remainder_x
      - .offset:         36
        .size:           2
        .value_kind:     hidden_remainder_y
      - .offset:         38
        .size:           2
        .value_kind:     hidden_remainder_z
      - .offset:         56
        .size:           8
        .value_kind:     hidden_global_offset_x
      - .offset:         64
        .size:           8
        .value_kind:     hidden_global_offset_y
      - .offset:         72
        .size:           8
        .value_kind:     hidden_global_offset_z
      - .offset:         80
        .size:           2
        .value_kind:     hidden_grid_dims
    .group_segment_fixed_size: 0
    .kernarg_segment_align: 8
    .kernarg_segment_size: 272
    .language:       OpenCL C
    .language_version:
      - 2
      - 0
    .max_flat_workgroup_size: 64
    .name:           _Z26warp_inclusive_scan_kernelI6__halfLj64ELj4EENSt9enable_ifIXsr10test_utilsE35device_test_enabled_for_warp_size_vIXT1_EEEvE4typeEPT_S5_
    .private_segment_fixed_size: 0
    .sgpr_count:     18
    .sgpr_spill_count: 0
    .symbol:         _Z26warp_inclusive_scan_kernelI6__halfLj64ELj4EENSt9enable_ifIXsr10test_utilsE35device_test_enabled_for_warp_size_vIXT1_EEEvE4typeEPT_S5_.kd
    .uniform_work_group_size: 1
    .uses_dynamic_stack: false
    .vgpr_count:     5
    .vgpr_spill_count: 0
    .wavefront_size: 32
    .workgroup_processor_mode: 1
  - .args:
      - .address_space:  global
        .offset:         0
        .size:           8
        .value_kind:     global_buffer
      - .address_space:  global
        .offset:         8
        .size:           8
        .value_kind:     global_buffer
      - .offset:         16
        .size:           4
        .value_kind:     hidden_block_count_x
      - .offset:         20
        .size:           4
        .value_kind:     hidden_block_count_y
      - .offset:         24
        .size:           4
        .value_kind:     hidden_block_count_z
      - .offset:         28
        .size:           2
        .value_kind:     hidden_group_size_x
      - .offset:         30
        .size:           2
        .value_kind:     hidden_group_size_y
      - .offset:         32
        .size:           2
        .value_kind:     hidden_group_size_z
      - .offset:         34
        .size:           2
        .value_kind:     hidden_remainder_x
      - .offset:         36
        .size:           2
        .value_kind:     hidden_remainder_y
      - .offset:         38
        .size:           2
        .value_kind:     hidden_remainder_z
      - .offset:         56
        .size:           8
        .value_kind:     hidden_global_offset_x
      - .offset:         64
        .size:           8
        .value_kind:     hidden_global_offset_y
      - .offset:         72
        .size:           8
        .value_kind:     hidden_global_offset_z
      - .offset:         80
        .size:           2
        .value_kind:     hidden_grid_dims
    .group_segment_fixed_size: 0
    .kernarg_segment_align: 8
    .kernarg_segment_size: 272
    .language:       OpenCL C
    .language_version:
      - 2
      - 0
    .max_flat_workgroup_size: 32
    .name:           _Z26warp_inclusive_scan_kernelI6__halfLj32ELj2EENSt9enable_ifIXsr10test_utilsE35device_test_enabled_for_warp_size_vIXT1_EEEvE4typeEPT_S5_
    .private_segment_fixed_size: 0
    .sgpr_count:     18
    .sgpr_spill_count: 0
    .symbol:         _Z26warp_inclusive_scan_kernelI6__halfLj32ELj2EENSt9enable_ifIXsr10test_utilsE35device_test_enabled_for_warp_size_vIXT1_EEEvE4typeEPT_S5_.kd
    .uniform_work_group_size: 1
    .uses_dynamic_stack: false
    .vgpr_count:     5
    .vgpr_spill_count: 0
    .wavefront_size: 32
    .workgroup_processor_mode: 1
  - .args:
      - .address_space:  global
        .offset:         0
        .size:           8
        .value_kind:     global_buffer
      - .address_space:  global
        .offset:         8
        .size:           8
        .value_kind:     global_buffer
      - .offset:         16
        .size:           4
        .value_kind:     hidden_block_count_x
      - .offset:         20
        .size:           4
        .value_kind:     hidden_block_count_y
      - .offset:         24
        .size:           4
        .value_kind:     hidden_block_count_z
      - .offset:         28
        .size:           2
        .value_kind:     hidden_group_size_x
      - .offset:         30
        .size:           2
        .value_kind:     hidden_group_size_y
      - .offset:         32
        .size:           2
        .value_kind:     hidden_group_size_z
      - .offset:         34
        .size:           2
        .value_kind:     hidden_remainder_x
      - .offset:         36
        .size:           2
        .value_kind:     hidden_remainder_y
      - .offset:         38
        .size:           2
        .value_kind:     hidden_remainder_z
      - .offset:         56
        .size:           8
        .value_kind:     hidden_global_offset_x
      - .offset:         64
        .size:           8
        .value_kind:     hidden_global_offset_y
      - .offset:         72
        .size:           8
        .value_kind:     hidden_global_offset_z
      - .offset:         80
        .size:           2
        .value_kind:     hidden_grid_dims
    .group_segment_fixed_size: 0
    .kernarg_segment_align: 8
    .kernarg_segment_size: 272
    .language:       OpenCL C
    .language_version:
      - 2
      - 0
    .max_flat_workgroup_size: 64
    .name:           _Z26warp_inclusive_scan_kernelI6__halfLj64ELj2EENSt9enable_ifIXsr10test_utilsE35device_test_enabled_for_warp_size_vIXT1_EEEvE4typeEPT_S5_
    .private_segment_fixed_size: 0
    .sgpr_count:     18
    .sgpr_spill_count: 0
    .symbol:         _Z26warp_inclusive_scan_kernelI6__halfLj64ELj2EENSt9enable_ifIXsr10test_utilsE35device_test_enabled_for_warp_size_vIXT1_EEEvE4typeEPT_S5_.kd
    .uniform_work_group_size: 1
    .uses_dynamic_stack: false
    .vgpr_count:     5
    .vgpr_spill_count: 0
    .wavefront_size: 32
    .workgroup_processor_mode: 1
  - .args:
      - .address_space:  global
        .offset:         0
        .size:           8
        .value_kind:     global_buffer
      - .address_space:  global
        .offset:         8
        .size:           8
        .value_kind:     global_buffer
    .group_segment_fixed_size: 0
    .kernarg_segment_align: 8
    .kernarg_segment_size: 16
    .language:       OpenCL C
    .language_version:
      - 2
      - 0
    .max_flat_workgroup_size: 256
    .name:           _Z26warp_inclusive_scan_kernelIfLj256ELj64EENSt9enable_ifIXntsr10test_utilsE35device_test_enabled_for_warp_size_vIXT1_EEEvE4typeEPT_S4_
    .private_segment_fixed_size: 0
    .sgpr_count:     0
    .sgpr_spill_count: 0
    .symbol:         _Z26warp_inclusive_scan_kernelIfLj256ELj64EENSt9enable_ifIXntsr10test_utilsE35device_test_enabled_for_warp_size_vIXT1_EEEvE4typeEPT_S4_.kd
    .uniform_work_group_size: 1
    .uses_dynamic_stack: false
    .vgpr_count:     0
    .vgpr_spill_count: 0
    .wavefront_size: 32
    .workgroup_processor_mode: 1
  - .args:
      - .address_space:  global
        .offset:         0
        .size:           8
        .value_kind:     global_buffer
      - .address_space:  global
        .offset:         8
        .size:           8
        .value_kind:     global_buffer
      - .offset:         16
        .size:           4
        .value_kind:     hidden_block_count_x
      - .offset:         20
        .size:           4
        .value_kind:     hidden_block_count_y
      - .offset:         24
        .size:           4
        .value_kind:     hidden_block_count_z
      - .offset:         28
        .size:           2
        .value_kind:     hidden_group_size_x
      - .offset:         30
        .size:           2
        .value_kind:     hidden_group_size_y
      - .offset:         32
        .size:           2
        .value_kind:     hidden_group_size_z
      - .offset:         34
        .size:           2
        .value_kind:     hidden_remainder_x
      - .offset:         36
        .size:           2
        .value_kind:     hidden_remainder_y
      - .offset:         38
        .size:           2
        .value_kind:     hidden_remainder_z
      - .offset:         56
        .size:           8
        .value_kind:     hidden_global_offset_x
      - .offset:         64
        .size:           8
        .value_kind:     hidden_global_offset_y
      - .offset:         72
        .size:           8
        .value_kind:     hidden_global_offset_z
      - .offset:         80
        .size:           2
        .value_kind:     hidden_grid_dims
    .group_segment_fixed_size: 0
    .kernarg_segment_align: 8
    .kernarg_segment_size: 272
    .language:       OpenCL C
    .language_version:
      - 2
      - 0
    .max_flat_workgroup_size: 128
    .name:           _Z26warp_inclusive_scan_kernelIfLj128ELj32EENSt9enable_ifIXsr10test_utilsE35device_test_enabled_for_warp_size_vIXT1_EEEvE4typeEPT_S4_
    .private_segment_fixed_size: 0
    .sgpr_count:     18
    .sgpr_spill_count: 0
    .symbol:         _Z26warp_inclusive_scan_kernelIfLj128ELj32EENSt9enable_ifIXsr10test_utilsE35device_test_enabled_for_warp_size_vIXT1_EEEvE4typeEPT_S4_.kd
    .uniform_work_group_size: 1
    .uses_dynamic_stack: false
    .vgpr_count:     6
    .vgpr_spill_count: 0
    .wavefront_size: 32
    .workgroup_processor_mode: 1
  - .args:
      - .address_space:  global
        .offset:         0
        .size:           8
        .value_kind:     global_buffer
      - .address_space:  global
        .offset:         8
        .size:           8
        .value_kind:     global_buffer
      - .offset:         16
        .size:           4
        .value_kind:     hidden_block_count_x
      - .offset:         20
        .size:           4
        .value_kind:     hidden_block_count_y
      - .offset:         24
        .size:           4
        .value_kind:     hidden_block_count_z
      - .offset:         28
        .size:           2
        .value_kind:     hidden_group_size_x
      - .offset:         30
        .size:           2
        .value_kind:     hidden_group_size_y
      - .offset:         32
        .size:           2
        .value_kind:     hidden_group_size_z
      - .offset:         34
        .size:           2
        .value_kind:     hidden_remainder_x
      - .offset:         36
        .size:           2
        .value_kind:     hidden_remainder_y
      - .offset:         38
        .size:           2
        .value_kind:     hidden_remainder_z
      - .offset:         56
        .size:           8
        .value_kind:     hidden_global_offset_x
      - .offset:         64
        .size:           8
        .value_kind:     hidden_global_offset_y
      - .offset:         72
        .size:           8
        .value_kind:     hidden_global_offset_z
      - .offset:         80
        .size:           2
        .value_kind:     hidden_grid_dims
    .group_segment_fixed_size: 0
    .kernarg_segment_align: 8
    .kernarg_segment_size: 272
    .language:       OpenCL C
    .language_version:
      - 2
      - 0
    .max_flat_workgroup_size: 64
    .name:           _Z26warp_inclusive_scan_kernelIfLj64ELj16EENSt9enable_ifIXsr10test_utilsE35device_test_enabled_for_warp_size_vIXT1_EEEvE4typeEPT_S4_
    .private_segment_fixed_size: 0
    .sgpr_count:     18
    .sgpr_spill_count: 0
    .symbol:         _Z26warp_inclusive_scan_kernelIfLj64ELj16EENSt9enable_ifIXsr10test_utilsE35device_test_enabled_for_warp_size_vIXT1_EEEvE4typeEPT_S4_.kd
    .uniform_work_group_size: 1
    .uses_dynamic_stack: false
    .vgpr_count:     5
    .vgpr_spill_count: 0
    .wavefront_size: 32
    .workgroup_processor_mode: 1
  - .args:
      - .address_space:  global
        .offset:         0
        .size:           8
        .value_kind:     global_buffer
      - .address_space:  global
        .offset:         8
        .size:           8
        .value_kind:     global_buffer
      - .offset:         16
        .size:           4
        .value_kind:     hidden_block_count_x
      - .offset:         20
        .size:           4
        .value_kind:     hidden_block_count_y
      - .offset:         24
        .size:           4
        .value_kind:     hidden_block_count_z
      - .offset:         28
        .size:           2
        .value_kind:     hidden_group_size_x
      - .offset:         30
        .size:           2
        .value_kind:     hidden_group_size_y
      - .offset:         32
        .size:           2
        .value_kind:     hidden_group_size_z
      - .offset:         34
        .size:           2
        .value_kind:     hidden_remainder_x
      - .offset:         36
        .size:           2
        .value_kind:     hidden_remainder_y
      - .offset:         38
        .size:           2
        .value_kind:     hidden_remainder_z
      - .offset:         56
        .size:           8
        .value_kind:     hidden_global_offset_x
      - .offset:         64
        .size:           8
        .value_kind:     hidden_global_offset_y
      - .offset:         72
        .size:           8
        .value_kind:     hidden_global_offset_z
      - .offset:         80
        .size:           2
        .value_kind:     hidden_grid_dims
    .group_segment_fixed_size: 0
    .kernarg_segment_align: 8
    .kernarg_segment_size: 272
    .language:       OpenCL C
    .language_version:
      - 2
      - 0
    .max_flat_workgroup_size: 32
    .name:           _Z26warp_inclusive_scan_kernelIfLj32ELj8EENSt9enable_ifIXsr10test_utilsE35device_test_enabled_for_warp_size_vIXT1_EEEvE4typeEPT_S4_
    .private_segment_fixed_size: 0
    .sgpr_count:     18
    .sgpr_spill_count: 0
    .symbol:         _Z26warp_inclusive_scan_kernelIfLj32ELj8EENSt9enable_ifIXsr10test_utilsE35device_test_enabled_for_warp_size_vIXT1_EEEvE4typeEPT_S4_.kd
    .uniform_work_group_size: 1
    .uses_dynamic_stack: false
    .vgpr_count:     5
    .vgpr_spill_count: 0
    .wavefront_size: 32
    .workgroup_processor_mode: 1
  - .args:
      - .address_space:  global
        .offset:         0
        .size:           8
        .value_kind:     global_buffer
      - .address_space:  global
        .offset:         8
        .size:           8
        .value_kind:     global_buffer
      - .offset:         16
        .size:           4
        .value_kind:     hidden_block_count_x
      - .offset:         20
        .size:           4
        .value_kind:     hidden_block_count_y
      - .offset:         24
        .size:           4
        .value_kind:     hidden_block_count_z
      - .offset:         28
        .size:           2
        .value_kind:     hidden_group_size_x
      - .offset:         30
        .size:           2
        .value_kind:     hidden_group_size_y
      - .offset:         32
        .size:           2
        .value_kind:     hidden_group_size_z
      - .offset:         34
        .size:           2
        .value_kind:     hidden_remainder_x
      - .offset:         36
        .size:           2
        .value_kind:     hidden_remainder_y
      - .offset:         38
        .size:           2
        .value_kind:     hidden_remainder_z
      - .offset:         56
        .size:           8
        .value_kind:     hidden_global_offset_x
      - .offset:         64
        .size:           8
        .value_kind:     hidden_global_offset_y
      - .offset:         72
        .size:           8
        .value_kind:     hidden_global_offset_z
      - .offset:         80
        .size:           2
        .value_kind:     hidden_grid_dims
    .group_segment_fixed_size: 0
    .kernarg_segment_align: 8
    .kernarg_segment_size: 272
    .language:       OpenCL C
    .language_version:
      - 2
      - 0
    .max_flat_workgroup_size: 64
    .name:           _Z26warp_inclusive_scan_kernelIfLj64ELj8EENSt9enable_ifIXsr10test_utilsE35device_test_enabled_for_warp_size_vIXT1_EEEvE4typeEPT_S4_
    .private_segment_fixed_size: 0
    .sgpr_count:     18
    .sgpr_spill_count: 0
    .symbol:         _Z26warp_inclusive_scan_kernelIfLj64ELj8EENSt9enable_ifIXsr10test_utilsE35device_test_enabled_for_warp_size_vIXT1_EEEvE4typeEPT_S4_.kd
    .uniform_work_group_size: 1
    .uses_dynamic_stack: false
    .vgpr_count:     5
    .vgpr_spill_count: 0
    .wavefront_size: 32
    .workgroup_processor_mode: 1
  - .args:
      - .address_space:  global
        .offset:         0
        .size:           8
        .value_kind:     global_buffer
      - .address_space:  global
        .offset:         8
        .size:           8
        .value_kind:     global_buffer
      - .offset:         16
        .size:           4
        .value_kind:     hidden_block_count_x
      - .offset:         20
        .size:           4
        .value_kind:     hidden_block_count_y
      - .offset:         24
        .size:           4
        .value_kind:     hidden_block_count_z
      - .offset:         28
        .size:           2
        .value_kind:     hidden_group_size_x
      - .offset:         30
        .size:           2
        .value_kind:     hidden_group_size_y
      - .offset:         32
        .size:           2
        .value_kind:     hidden_group_size_z
      - .offset:         34
        .size:           2
        .value_kind:     hidden_remainder_x
      - .offset:         36
        .size:           2
        .value_kind:     hidden_remainder_y
      - .offset:         38
        .size:           2
        .value_kind:     hidden_remainder_z
      - .offset:         56
        .size:           8
        .value_kind:     hidden_global_offset_x
      - .offset:         64
        .size:           8
        .value_kind:     hidden_global_offset_y
      - .offset:         72
        .size:           8
        .value_kind:     hidden_global_offset_z
      - .offset:         80
        .size:           2
        .value_kind:     hidden_grid_dims
    .group_segment_fixed_size: 0
    .kernarg_segment_align: 8
    .kernarg_segment_size: 272
    .language:       OpenCL C
    .language_version:
      - 2
      - 0
    .max_flat_workgroup_size: 32
    .name:           _Z26warp_inclusive_scan_kernelIfLj32ELj4EENSt9enable_ifIXsr10test_utilsE35device_test_enabled_for_warp_size_vIXT1_EEEvE4typeEPT_S4_
    .private_segment_fixed_size: 0
    .sgpr_count:     18
    .sgpr_spill_count: 0
    .symbol:         _Z26warp_inclusive_scan_kernelIfLj32ELj4EENSt9enable_ifIXsr10test_utilsE35device_test_enabled_for_warp_size_vIXT1_EEEvE4typeEPT_S4_.kd
    .uniform_work_group_size: 1
    .uses_dynamic_stack: false
    .vgpr_count:     5
    .vgpr_spill_count: 0
    .wavefront_size: 32
    .workgroup_processor_mode: 1
  - .args:
      - .address_space:  global
        .offset:         0
        .size:           8
        .value_kind:     global_buffer
      - .address_space:  global
        .offset:         8
        .size:           8
        .value_kind:     global_buffer
      - .offset:         16
        .size:           4
        .value_kind:     hidden_block_count_x
      - .offset:         20
        .size:           4
        .value_kind:     hidden_block_count_y
      - .offset:         24
        .size:           4
        .value_kind:     hidden_block_count_z
      - .offset:         28
        .size:           2
        .value_kind:     hidden_group_size_x
      - .offset:         30
        .size:           2
        .value_kind:     hidden_group_size_y
      - .offset:         32
        .size:           2
        .value_kind:     hidden_group_size_z
      - .offset:         34
        .size:           2
        .value_kind:     hidden_remainder_x
      - .offset:         36
        .size:           2
        .value_kind:     hidden_remainder_y
      - .offset:         38
        .size:           2
        .value_kind:     hidden_remainder_z
      - .offset:         56
        .size:           8
        .value_kind:     hidden_global_offset_x
      - .offset:         64
        .size:           8
        .value_kind:     hidden_global_offset_y
      - .offset:         72
        .size:           8
        .value_kind:     hidden_global_offset_z
      - .offset:         80
        .size:           2
        .value_kind:     hidden_grid_dims
    .group_segment_fixed_size: 0
    .kernarg_segment_align: 8
    .kernarg_segment_size: 272
    .language:       OpenCL C
    .language_version:
      - 2
      - 0
    .max_flat_workgroup_size: 64
    .name:           _Z26warp_inclusive_scan_kernelIfLj64ELj4EENSt9enable_ifIXsr10test_utilsE35device_test_enabled_for_warp_size_vIXT1_EEEvE4typeEPT_S4_
    .private_segment_fixed_size: 0
    .sgpr_count:     18
    .sgpr_spill_count: 0
    .symbol:         _Z26warp_inclusive_scan_kernelIfLj64ELj4EENSt9enable_ifIXsr10test_utilsE35device_test_enabled_for_warp_size_vIXT1_EEEvE4typeEPT_S4_.kd
    .uniform_work_group_size: 1
    .uses_dynamic_stack: false
    .vgpr_count:     5
    .vgpr_spill_count: 0
    .wavefront_size: 32
    .workgroup_processor_mode: 1
  - .args:
      - .address_space:  global
        .offset:         0
        .size:           8
        .value_kind:     global_buffer
      - .address_space:  global
        .offset:         8
        .size:           8
        .value_kind:     global_buffer
      - .offset:         16
        .size:           4
        .value_kind:     hidden_block_count_x
      - .offset:         20
        .size:           4
        .value_kind:     hidden_block_count_y
      - .offset:         24
        .size:           4
        .value_kind:     hidden_block_count_z
      - .offset:         28
        .size:           2
        .value_kind:     hidden_group_size_x
      - .offset:         30
        .size:           2
        .value_kind:     hidden_group_size_y
      - .offset:         32
        .size:           2
        .value_kind:     hidden_group_size_z
      - .offset:         34
        .size:           2
        .value_kind:     hidden_remainder_x
      - .offset:         36
        .size:           2
        .value_kind:     hidden_remainder_y
      - .offset:         38
        .size:           2
        .value_kind:     hidden_remainder_z
      - .offset:         56
        .size:           8
        .value_kind:     hidden_global_offset_x
      - .offset:         64
        .size:           8
        .value_kind:     hidden_global_offset_y
      - .offset:         72
        .size:           8
        .value_kind:     hidden_global_offset_z
      - .offset:         80
        .size:           2
        .value_kind:     hidden_grid_dims
    .group_segment_fixed_size: 0
    .kernarg_segment_align: 8
    .kernarg_segment_size: 272
    .language:       OpenCL C
    .language_version:
      - 2
      - 0
    .max_flat_workgroup_size: 32
    .name:           _Z26warp_inclusive_scan_kernelIfLj32ELj2EENSt9enable_ifIXsr10test_utilsE35device_test_enabled_for_warp_size_vIXT1_EEEvE4typeEPT_S4_
    .private_segment_fixed_size: 0
    .sgpr_count:     18
    .sgpr_spill_count: 0
    .symbol:         _Z26warp_inclusive_scan_kernelIfLj32ELj2EENSt9enable_ifIXsr10test_utilsE35device_test_enabled_for_warp_size_vIXT1_EEEvE4typeEPT_S4_.kd
    .uniform_work_group_size: 1
    .uses_dynamic_stack: false
    .vgpr_count:     5
    .vgpr_spill_count: 0
    .wavefront_size: 32
    .workgroup_processor_mode: 1
  - .args:
      - .address_space:  global
        .offset:         0
        .size:           8
        .value_kind:     global_buffer
      - .address_space:  global
        .offset:         8
        .size:           8
        .value_kind:     global_buffer
      - .offset:         16
        .size:           4
        .value_kind:     hidden_block_count_x
      - .offset:         20
        .size:           4
        .value_kind:     hidden_block_count_y
      - .offset:         24
        .size:           4
        .value_kind:     hidden_block_count_z
      - .offset:         28
        .size:           2
        .value_kind:     hidden_group_size_x
      - .offset:         30
        .size:           2
        .value_kind:     hidden_group_size_y
      - .offset:         32
        .size:           2
        .value_kind:     hidden_group_size_z
      - .offset:         34
        .size:           2
        .value_kind:     hidden_remainder_x
      - .offset:         36
        .size:           2
        .value_kind:     hidden_remainder_y
      - .offset:         38
        .size:           2
        .value_kind:     hidden_remainder_z
      - .offset:         56
        .size:           8
        .value_kind:     hidden_global_offset_x
      - .offset:         64
        .size:           8
        .value_kind:     hidden_global_offset_y
      - .offset:         72
        .size:           8
        .value_kind:     hidden_global_offset_z
      - .offset:         80
        .size:           2
        .value_kind:     hidden_grid_dims
    .group_segment_fixed_size: 0
    .kernarg_segment_align: 8
    .kernarg_segment_size: 272
    .language:       OpenCL C
    .language_version:
      - 2
      - 0
    .max_flat_workgroup_size: 64
    .name:           _Z26warp_inclusive_scan_kernelIfLj64ELj2EENSt9enable_ifIXsr10test_utilsE35device_test_enabled_for_warp_size_vIXT1_EEEvE4typeEPT_S4_
    .private_segment_fixed_size: 0
    .sgpr_count:     18
    .sgpr_spill_count: 0
    .symbol:         _Z26warp_inclusive_scan_kernelIfLj64ELj2EENSt9enable_ifIXsr10test_utilsE35device_test_enabled_for_warp_size_vIXT1_EEEvE4typeEPT_S4_.kd
    .uniform_work_group_size: 1
    .uses_dynamic_stack: false
    .vgpr_count:     5
    .vgpr_spill_count: 0
    .wavefront_size: 32
    .workgroup_processor_mode: 1
  - .args:
      - .address_space:  global
        .offset:         0
        .size:           8
        .value_kind:     global_buffer
      - .address_space:  global
        .offset:         8
        .size:           8
        .value_kind:     global_buffer
    .group_segment_fixed_size: 0
    .kernarg_segment_align: 8
    .kernarg_segment_size: 16
    .language:       OpenCL C
    .language_version:
      - 2
      - 0
    .max_flat_workgroup_size: 256
    .name:           _Z26warp_inclusive_scan_kernelIiLj256ELj64EENSt9enable_ifIXntsr10test_utilsE35device_test_enabled_for_warp_size_vIXT1_EEEvE4typeEPT_S4_
    .private_segment_fixed_size: 0
    .sgpr_count:     0
    .sgpr_spill_count: 0
    .symbol:         _Z26warp_inclusive_scan_kernelIiLj256ELj64EENSt9enable_ifIXntsr10test_utilsE35device_test_enabled_for_warp_size_vIXT1_EEEvE4typeEPT_S4_.kd
    .uniform_work_group_size: 1
    .uses_dynamic_stack: false
    .vgpr_count:     0
    .vgpr_spill_count: 0
    .wavefront_size: 32
    .workgroup_processor_mode: 1
  - .args:
      - .address_space:  global
        .offset:         0
        .size:           8
        .value_kind:     global_buffer
      - .address_space:  global
        .offset:         8
        .size:           8
        .value_kind:     global_buffer
      - .offset:         16
        .size:           4
        .value_kind:     hidden_block_count_x
      - .offset:         20
        .size:           4
        .value_kind:     hidden_block_count_y
      - .offset:         24
        .size:           4
        .value_kind:     hidden_block_count_z
      - .offset:         28
        .size:           2
        .value_kind:     hidden_group_size_x
      - .offset:         30
        .size:           2
        .value_kind:     hidden_group_size_y
      - .offset:         32
        .size:           2
        .value_kind:     hidden_group_size_z
      - .offset:         34
        .size:           2
        .value_kind:     hidden_remainder_x
      - .offset:         36
        .size:           2
        .value_kind:     hidden_remainder_y
      - .offset:         38
        .size:           2
        .value_kind:     hidden_remainder_z
      - .offset:         56
        .size:           8
        .value_kind:     hidden_global_offset_x
      - .offset:         64
        .size:           8
        .value_kind:     hidden_global_offset_y
      - .offset:         72
        .size:           8
        .value_kind:     hidden_global_offset_z
      - .offset:         80
        .size:           2
        .value_kind:     hidden_grid_dims
    .group_segment_fixed_size: 0
    .kernarg_segment_align: 8
    .kernarg_segment_size: 272
    .language:       OpenCL C
    .language_version:
      - 2
      - 0
    .max_flat_workgroup_size: 128
    .name:           _Z26warp_inclusive_scan_kernelIiLj128ELj32EENSt9enable_ifIXsr10test_utilsE35device_test_enabled_for_warp_size_vIXT1_EEEvE4typeEPT_S4_
    .private_segment_fixed_size: 0
    .sgpr_count:     18
    .sgpr_spill_count: 0
    .symbol:         _Z26warp_inclusive_scan_kernelIiLj128ELj32EENSt9enable_ifIXsr10test_utilsE35device_test_enabled_for_warp_size_vIXT1_EEEvE4typeEPT_S4_.kd
    .uniform_work_group_size: 1
    .uses_dynamic_stack: false
    .vgpr_count:     6
    .vgpr_spill_count: 0
    .wavefront_size: 32
    .workgroup_processor_mode: 1
  - .args:
      - .address_space:  global
        .offset:         0
        .size:           8
        .value_kind:     global_buffer
      - .address_space:  global
        .offset:         8
        .size:           8
        .value_kind:     global_buffer
      - .offset:         16
        .size:           4
        .value_kind:     hidden_block_count_x
      - .offset:         20
        .size:           4
        .value_kind:     hidden_block_count_y
      - .offset:         24
        .size:           4
        .value_kind:     hidden_block_count_z
      - .offset:         28
        .size:           2
        .value_kind:     hidden_group_size_x
      - .offset:         30
        .size:           2
        .value_kind:     hidden_group_size_y
      - .offset:         32
        .size:           2
        .value_kind:     hidden_group_size_z
      - .offset:         34
        .size:           2
        .value_kind:     hidden_remainder_x
      - .offset:         36
        .size:           2
        .value_kind:     hidden_remainder_y
      - .offset:         38
        .size:           2
        .value_kind:     hidden_remainder_z
      - .offset:         56
        .size:           8
        .value_kind:     hidden_global_offset_x
      - .offset:         64
        .size:           8
        .value_kind:     hidden_global_offset_y
      - .offset:         72
        .size:           8
        .value_kind:     hidden_global_offset_z
      - .offset:         80
        .size:           2
        .value_kind:     hidden_grid_dims
    .group_segment_fixed_size: 0
    .kernarg_segment_align: 8
    .kernarg_segment_size: 272
    .language:       OpenCL C
    .language_version:
      - 2
      - 0
    .max_flat_workgroup_size: 64
    .name:           _Z26warp_inclusive_scan_kernelIiLj64ELj16EENSt9enable_ifIXsr10test_utilsE35device_test_enabled_for_warp_size_vIXT1_EEEvE4typeEPT_S4_
    .private_segment_fixed_size: 0
    .sgpr_count:     18
    .sgpr_spill_count: 0
    .symbol:         _Z26warp_inclusive_scan_kernelIiLj64ELj16EENSt9enable_ifIXsr10test_utilsE35device_test_enabled_for_warp_size_vIXT1_EEEvE4typeEPT_S4_.kd
    .uniform_work_group_size: 1
    .uses_dynamic_stack: false
    .vgpr_count:     5
    .vgpr_spill_count: 0
    .wavefront_size: 32
    .workgroup_processor_mode: 1
  - .args:
      - .address_space:  global
        .offset:         0
        .size:           8
        .value_kind:     global_buffer
      - .address_space:  global
        .offset:         8
        .size:           8
        .value_kind:     global_buffer
      - .offset:         16
        .size:           4
        .value_kind:     hidden_block_count_x
      - .offset:         20
        .size:           4
        .value_kind:     hidden_block_count_y
      - .offset:         24
        .size:           4
        .value_kind:     hidden_block_count_z
      - .offset:         28
        .size:           2
        .value_kind:     hidden_group_size_x
      - .offset:         30
        .size:           2
        .value_kind:     hidden_group_size_y
      - .offset:         32
        .size:           2
        .value_kind:     hidden_group_size_z
      - .offset:         34
        .size:           2
        .value_kind:     hidden_remainder_x
      - .offset:         36
        .size:           2
        .value_kind:     hidden_remainder_y
      - .offset:         38
        .size:           2
        .value_kind:     hidden_remainder_z
      - .offset:         56
        .size:           8
        .value_kind:     hidden_global_offset_x
      - .offset:         64
        .size:           8
        .value_kind:     hidden_global_offset_y
      - .offset:         72
        .size:           8
        .value_kind:     hidden_global_offset_z
      - .offset:         80
        .size:           2
        .value_kind:     hidden_grid_dims
    .group_segment_fixed_size: 0
    .kernarg_segment_align: 8
    .kernarg_segment_size: 272
    .language:       OpenCL C
    .language_version:
      - 2
      - 0
    .max_flat_workgroup_size: 32
    .name:           _Z26warp_inclusive_scan_kernelIiLj32ELj8EENSt9enable_ifIXsr10test_utilsE35device_test_enabled_for_warp_size_vIXT1_EEEvE4typeEPT_S4_
    .private_segment_fixed_size: 0
    .sgpr_count:     18
    .sgpr_spill_count: 0
    .symbol:         _Z26warp_inclusive_scan_kernelIiLj32ELj8EENSt9enable_ifIXsr10test_utilsE35device_test_enabled_for_warp_size_vIXT1_EEEvE4typeEPT_S4_.kd
    .uniform_work_group_size: 1
    .uses_dynamic_stack: false
    .vgpr_count:     5
    .vgpr_spill_count: 0
    .wavefront_size: 32
    .workgroup_processor_mode: 1
  - .args:
      - .address_space:  global
        .offset:         0
        .size:           8
        .value_kind:     global_buffer
      - .address_space:  global
        .offset:         8
        .size:           8
        .value_kind:     global_buffer
      - .offset:         16
        .size:           4
        .value_kind:     hidden_block_count_x
      - .offset:         20
        .size:           4
        .value_kind:     hidden_block_count_y
      - .offset:         24
        .size:           4
        .value_kind:     hidden_block_count_z
      - .offset:         28
        .size:           2
        .value_kind:     hidden_group_size_x
      - .offset:         30
        .size:           2
        .value_kind:     hidden_group_size_y
      - .offset:         32
        .size:           2
        .value_kind:     hidden_group_size_z
      - .offset:         34
        .size:           2
        .value_kind:     hidden_remainder_x
      - .offset:         36
        .size:           2
        .value_kind:     hidden_remainder_y
      - .offset:         38
        .size:           2
        .value_kind:     hidden_remainder_z
      - .offset:         56
        .size:           8
        .value_kind:     hidden_global_offset_x
      - .offset:         64
        .size:           8
        .value_kind:     hidden_global_offset_y
      - .offset:         72
        .size:           8
        .value_kind:     hidden_global_offset_z
      - .offset:         80
        .size:           2
        .value_kind:     hidden_grid_dims
    .group_segment_fixed_size: 0
    .kernarg_segment_align: 8
    .kernarg_segment_size: 272
    .language:       OpenCL C
    .language_version:
      - 2
      - 0
    .max_flat_workgroup_size: 64
    .name:           _Z26warp_inclusive_scan_kernelIiLj64ELj8EENSt9enable_ifIXsr10test_utilsE35device_test_enabled_for_warp_size_vIXT1_EEEvE4typeEPT_S4_
    .private_segment_fixed_size: 0
    .sgpr_count:     18
    .sgpr_spill_count: 0
    .symbol:         _Z26warp_inclusive_scan_kernelIiLj64ELj8EENSt9enable_ifIXsr10test_utilsE35device_test_enabled_for_warp_size_vIXT1_EEEvE4typeEPT_S4_.kd
    .uniform_work_group_size: 1
    .uses_dynamic_stack: false
    .vgpr_count:     5
    .vgpr_spill_count: 0
    .wavefront_size: 32
    .workgroup_processor_mode: 1
  - .args:
      - .address_space:  global
        .offset:         0
        .size:           8
        .value_kind:     global_buffer
      - .address_space:  global
        .offset:         8
        .size:           8
        .value_kind:     global_buffer
      - .offset:         16
        .size:           4
        .value_kind:     hidden_block_count_x
      - .offset:         20
        .size:           4
        .value_kind:     hidden_block_count_y
      - .offset:         24
        .size:           4
        .value_kind:     hidden_block_count_z
      - .offset:         28
        .size:           2
        .value_kind:     hidden_group_size_x
      - .offset:         30
        .size:           2
        .value_kind:     hidden_group_size_y
      - .offset:         32
        .size:           2
        .value_kind:     hidden_group_size_z
      - .offset:         34
        .size:           2
        .value_kind:     hidden_remainder_x
      - .offset:         36
        .size:           2
        .value_kind:     hidden_remainder_y
      - .offset:         38
        .size:           2
        .value_kind:     hidden_remainder_z
      - .offset:         56
        .size:           8
        .value_kind:     hidden_global_offset_x
      - .offset:         64
        .size:           8
        .value_kind:     hidden_global_offset_y
      - .offset:         72
        .size:           8
        .value_kind:     hidden_global_offset_z
      - .offset:         80
        .size:           2
        .value_kind:     hidden_grid_dims
    .group_segment_fixed_size: 0
    .kernarg_segment_align: 8
    .kernarg_segment_size: 272
    .language:       OpenCL C
    .language_version:
      - 2
      - 0
    .max_flat_workgroup_size: 32
    .name:           _Z26warp_inclusive_scan_kernelIiLj32ELj4EENSt9enable_ifIXsr10test_utilsE35device_test_enabled_for_warp_size_vIXT1_EEEvE4typeEPT_S4_
    .private_segment_fixed_size: 0
    .sgpr_count:     18
    .sgpr_spill_count: 0
    .symbol:         _Z26warp_inclusive_scan_kernelIiLj32ELj4EENSt9enable_ifIXsr10test_utilsE35device_test_enabled_for_warp_size_vIXT1_EEEvE4typeEPT_S4_.kd
    .uniform_work_group_size: 1
    .uses_dynamic_stack: false
    .vgpr_count:     5
    .vgpr_spill_count: 0
    .wavefront_size: 32
    .workgroup_processor_mode: 1
  - .args:
      - .address_space:  global
        .offset:         0
        .size:           8
        .value_kind:     global_buffer
      - .address_space:  global
        .offset:         8
        .size:           8
        .value_kind:     global_buffer
      - .offset:         16
        .size:           4
        .value_kind:     hidden_block_count_x
      - .offset:         20
        .size:           4
        .value_kind:     hidden_block_count_y
      - .offset:         24
        .size:           4
        .value_kind:     hidden_block_count_z
      - .offset:         28
        .size:           2
        .value_kind:     hidden_group_size_x
      - .offset:         30
        .size:           2
        .value_kind:     hidden_group_size_y
      - .offset:         32
        .size:           2
        .value_kind:     hidden_group_size_z
      - .offset:         34
        .size:           2
        .value_kind:     hidden_remainder_x
      - .offset:         36
        .size:           2
        .value_kind:     hidden_remainder_y
      - .offset:         38
        .size:           2
        .value_kind:     hidden_remainder_z
      - .offset:         56
        .size:           8
        .value_kind:     hidden_global_offset_x
      - .offset:         64
        .size:           8
        .value_kind:     hidden_global_offset_y
      - .offset:         72
        .size:           8
        .value_kind:     hidden_global_offset_z
      - .offset:         80
        .size:           2
        .value_kind:     hidden_grid_dims
    .group_segment_fixed_size: 0
    .kernarg_segment_align: 8
    .kernarg_segment_size: 272
    .language:       OpenCL C
    .language_version:
      - 2
      - 0
    .max_flat_workgroup_size: 64
    .name:           _Z26warp_inclusive_scan_kernelIiLj64ELj4EENSt9enable_ifIXsr10test_utilsE35device_test_enabled_for_warp_size_vIXT1_EEEvE4typeEPT_S4_
    .private_segment_fixed_size: 0
    .sgpr_count:     18
    .sgpr_spill_count: 0
    .symbol:         _Z26warp_inclusive_scan_kernelIiLj64ELj4EENSt9enable_ifIXsr10test_utilsE35device_test_enabled_for_warp_size_vIXT1_EEEvE4typeEPT_S4_.kd
    .uniform_work_group_size: 1
    .uses_dynamic_stack: false
    .vgpr_count:     5
    .vgpr_spill_count: 0
    .wavefront_size: 32
    .workgroup_processor_mode: 1
  - .args:
      - .address_space:  global
        .offset:         0
        .size:           8
        .value_kind:     global_buffer
      - .address_space:  global
        .offset:         8
        .size:           8
        .value_kind:     global_buffer
      - .offset:         16
        .size:           4
        .value_kind:     hidden_block_count_x
      - .offset:         20
        .size:           4
        .value_kind:     hidden_block_count_y
      - .offset:         24
        .size:           4
        .value_kind:     hidden_block_count_z
      - .offset:         28
        .size:           2
        .value_kind:     hidden_group_size_x
      - .offset:         30
        .size:           2
        .value_kind:     hidden_group_size_y
      - .offset:         32
        .size:           2
        .value_kind:     hidden_group_size_z
      - .offset:         34
        .size:           2
        .value_kind:     hidden_remainder_x
      - .offset:         36
        .size:           2
        .value_kind:     hidden_remainder_y
      - .offset:         38
        .size:           2
        .value_kind:     hidden_remainder_z
      - .offset:         56
        .size:           8
        .value_kind:     hidden_global_offset_x
      - .offset:         64
        .size:           8
        .value_kind:     hidden_global_offset_y
      - .offset:         72
        .size:           8
        .value_kind:     hidden_global_offset_z
      - .offset:         80
        .size:           2
        .value_kind:     hidden_grid_dims
    .group_segment_fixed_size: 0
    .kernarg_segment_align: 8
    .kernarg_segment_size: 272
    .language:       OpenCL C
    .language_version:
      - 2
      - 0
    .max_flat_workgroup_size: 32
    .name:           _Z26warp_inclusive_scan_kernelIiLj32ELj2EENSt9enable_ifIXsr10test_utilsE35device_test_enabled_for_warp_size_vIXT1_EEEvE4typeEPT_S4_
    .private_segment_fixed_size: 0
    .sgpr_count:     18
    .sgpr_spill_count: 0
    .symbol:         _Z26warp_inclusive_scan_kernelIiLj32ELj2EENSt9enable_ifIXsr10test_utilsE35device_test_enabled_for_warp_size_vIXT1_EEEvE4typeEPT_S4_.kd
    .uniform_work_group_size: 1
    .uses_dynamic_stack: false
    .vgpr_count:     5
    .vgpr_spill_count: 0
    .wavefront_size: 32
    .workgroup_processor_mode: 1
  - .args:
      - .address_space:  global
        .offset:         0
        .size:           8
        .value_kind:     global_buffer
      - .address_space:  global
        .offset:         8
        .size:           8
        .value_kind:     global_buffer
      - .offset:         16
        .size:           4
        .value_kind:     hidden_block_count_x
      - .offset:         20
        .size:           4
        .value_kind:     hidden_block_count_y
      - .offset:         24
        .size:           4
        .value_kind:     hidden_block_count_z
      - .offset:         28
        .size:           2
        .value_kind:     hidden_group_size_x
      - .offset:         30
        .size:           2
        .value_kind:     hidden_group_size_y
      - .offset:         32
        .size:           2
        .value_kind:     hidden_group_size_z
      - .offset:         34
        .size:           2
        .value_kind:     hidden_remainder_x
      - .offset:         36
        .size:           2
        .value_kind:     hidden_remainder_y
      - .offset:         38
        .size:           2
        .value_kind:     hidden_remainder_z
      - .offset:         56
        .size:           8
        .value_kind:     hidden_global_offset_x
      - .offset:         64
        .size:           8
        .value_kind:     hidden_global_offset_y
      - .offset:         72
        .size:           8
        .value_kind:     hidden_global_offset_z
      - .offset:         80
        .size:           2
        .value_kind:     hidden_grid_dims
    .group_segment_fixed_size: 0
    .kernarg_segment_align: 8
    .kernarg_segment_size: 272
    .language:       OpenCL C
    .language_version:
      - 2
      - 0
    .max_flat_workgroup_size: 64
    .name:           _Z26warp_inclusive_scan_kernelIiLj64ELj2EENSt9enable_ifIXsr10test_utilsE35device_test_enabled_for_warp_size_vIXT1_EEEvE4typeEPT_S4_
    .private_segment_fixed_size: 0
    .sgpr_count:     18
    .sgpr_spill_count: 0
    .symbol:         _Z26warp_inclusive_scan_kernelIiLj64ELj2EENSt9enable_ifIXsr10test_utilsE35device_test_enabled_for_warp_size_vIXT1_EEEvE4typeEPT_S4_.kd
    .uniform_work_group_size: 1
    .uses_dynamic_stack: false
    .vgpr_count:     5
    .vgpr_spill_count: 0
    .wavefront_size: 32
    .workgroup_processor_mode: 1
  - .args:
      - .address_space:  global
        .offset:         0
        .size:           8
        .value_kind:     global_buffer
      - .address_space:  global
        .offset:         8
        .size:           8
        .value_kind:     global_buffer
      - .address_space:  global
        .offset:         16
        .size:           8
        .value_kind:     global_buffer
    .group_segment_fixed_size: 0
    .kernarg_segment_align: 8
    .kernarg_segment_size: 24
    .language:       OpenCL C
    .language_version:
      - 2
      - 0
    .max_flat_workgroup_size: 1
    .name:           _Z33warp_inclusive_scan_reduce_kernelIfLj1ELj61EENSt9enable_ifIXntsr10test_utilsE35device_test_enabled_for_warp_size_vIXT1_EEEvE4typeEPT_S4_S4_
    .private_segment_fixed_size: 0
    .sgpr_count:     0
    .sgpr_spill_count: 0
    .symbol:         _Z33warp_inclusive_scan_reduce_kernelIfLj1ELj61EENSt9enable_ifIXntsr10test_utilsE35device_test_enabled_for_warp_size_vIXT1_EEEvE4typeEPT_S4_S4_.kd
    .uniform_work_group_size: 1
    .uses_dynamic_stack: false
    .vgpr_count:     0
    .vgpr_spill_count: 0
    .wavefront_size: 32
    .workgroup_processor_mode: 1
  - .args:
      - .address_space:  global
        .offset:         0
        .size:           8
        .value_kind:     global_buffer
      - .address_space:  global
        .offset:         8
        .size:           8
        .value_kind:     global_buffer
      - .address_space:  global
        .offset:         16
        .size:           8
        .value_kind:     global_buffer
    .group_segment_fixed_size: 0
    .kernarg_segment_align: 8
    .kernarg_segment_size: 24
    .language:       OpenCL C
    .language_version:
      - 2
      - 0
    .max_flat_workgroup_size: 61
    .name:           _Z33warp_inclusive_scan_reduce_kernelIfLj61ELj61EENSt9enable_ifIXntsr10test_utilsE35device_test_enabled_for_warp_size_vIXT1_EEEvE4typeEPT_S4_S4_
    .private_segment_fixed_size: 0
    .sgpr_count:     0
    .sgpr_spill_count: 0
    .symbol:         _Z33warp_inclusive_scan_reduce_kernelIfLj61ELj61EENSt9enable_ifIXntsr10test_utilsE35device_test_enabled_for_warp_size_vIXT1_EEEvE4typeEPT_S4_S4_.kd
    .uniform_work_group_size: 1
    .uses_dynamic_stack: false
    .vgpr_count:     0
    .vgpr_spill_count: 0
    .wavefront_size: 32
    .workgroup_processor_mode: 1
  - .args:
      - .address_space:  global
        .offset:         0
        .size:           8
        .value_kind:     global_buffer
      - .address_space:  global
        .offset:         8
        .size:           8
        .value_kind:     global_buffer
      - .address_space:  global
        .offset:         16
        .size:           8
        .value_kind:     global_buffer
    .group_segment_fixed_size: 0
    .kernarg_segment_align: 8
    .kernarg_segment_size: 24
    .language:       OpenCL C
    .language_version:
      - 2
      - 0
    .max_flat_workgroup_size: 1
    .name:           _Z33warp_inclusive_scan_reduce_kernelIfLj1ELj37EENSt9enable_ifIXntsr10test_utilsE35device_test_enabled_for_warp_size_vIXT1_EEEvE4typeEPT_S4_S4_
    .private_segment_fixed_size: 0
    .sgpr_count:     0
    .sgpr_spill_count: 0
    .symbol:         _Z33warp_inclusive_scan_reduce_kernelIfLj1ELj37EENSt9enable_ifIXntsr10test_utilsE35device_test_enabled_for_warp_size_vIXT1_EEEvE4typeEPT_S4_S4_.kd
    .uniform_work_group_size: 1
    .uses_dynamic_stack: false
    .vgpr_count:     0
    .vgpr_spill_count: 0
    .wavefront_size: 32
    .workgroup_processor_mode: 1
  - .args:
      - .address_space:  global
        .offset:         0
        .size:           8
        .value_kind:     global_buffer
      - .address_space:  global
        .offset:         8
        .size:           8
        .value_kind:     global_buffer
      - .address_space:  global
        .offset:         16
        .size:           8
        .value_kind:     global_buffer
    .group_segment_fixed_size: 0
    .kernarg_segment_align: 8
    .kernarg_segment_size: 24
    .language:       OpenCL C
    .language_version:
      - 2
      - 0
    .max_flat_workgroup_size: 37
    .name:           _Z33warp_inclusive_scan_reduce_kernelIfLj37ELj37EENSt9enable_ifIXntsr10test_utilsE35device_test_enabled_for_warp_size_vIXT1_EEEvE4typeEPT_S4_S4_
    .private_segment_fixed_size: 0
    .sgpr_count:     0
    .sgpr_spill_count: 0
    .symbol:         _Z33warp_inclusive_scan_reduce_kernelIfLj37ELj37EENSt9enable_ifIXntsr10test_utilsE35device_test_enabled_for_warp_size_vIXT1_EEEvE4typeEPT_S4_S4_.kd
    .uniform_work_group_size: 1
    .uses_dynamic_stack: false
    .vgpr_count:     0
    .vgpr_spill_count: 0
    .wavefront_size: 32
    .workgroup_processor_mode: 1
  - .args:
      - .address_space:  global
        .offset:         0
        .size:           8
        .value_kind:     global_buffer
      - .address_space:  global
        .offset:         8
        .size:           8
        .value_kind:     global_buffer
      - .address_space:  global
        .offset:         16
        .size:           8
        .value_kind:     global_buffer
    .group_segment_fixed_size: 120
    .kernarg_segment_align: 8
    .kernarg_segment_size: 24
    .language:       OpenCL C
    .language_version:
      - 2
      - 0
    .max_flat_workgroup_size: 30
    .name:           _Z33warp_inclusive_scan_reduce_kernelIfLj30ELj15EENSt9enable_ifIXsr10test_utilsE35device_test_enabled_for_warp_size_vIXT1_EEEvE4typeEPT_S4_S4_
    .private_segment_fixed_size: 0
    .sgpr_count:     18
    .sgpr_spill_count: 0
    .symbol:         _Z33warp_inclusive_scan_reduce_kernelIfLj30ELj15EENSt9enable_ifIXsr10test_utilsE35device_test_enabled_for_warp_size_vIXT1_EEEvE4typeEPT_S4_S4_.kd
    .uniform_work_group_size: 1
    .uses_dynamic_stack: false
    .vgpr_count:     10
    .vgpr_spill_count: 0
    .wavefront_size: 32
    .workgroup_processor_mode: 1
  - .args:
      - .address_space:  global
        .offset:         0
        .size:           8
        .value_kind:     global_buffer
      - .address_space:  global
        .offset:         8
        .size:           8
        .value_kind:     global_buffer
      - .address_space:  global
        .offset:         16
        .size:           8
        .value_kind:     global_buffer
    .group_segment_fixed_size: 240
    .kernarg_segment_align: 8
    .kernarg_segment_size: 24
    .language:       OpenCL C
    .language_version:
      - 2
      - 0
    .max_flat_workgroup_size: 60
    .name:           _Z33warp_inclusive_scan_reduce_kernelIfLj60ELj15EENSt9enable_ifIXsr10test_utilsE35device_test_enabled_for_warp_size_vIXT1_EEEvE4typeEPT_S4_S4_
    .private_segment_fixed_size: 0
    .sgpr_count:     18
    .sgpr_spill_count: 0
    .symbol:         _Z33warp_inclusive_scan_reduce_kernelIfLj60ELj15EENSt9enable_ifIXsr10test_utilsE35device_test_enabled_for_warp_size_vIXT1_EEEvE4typeEPT_S4_S4_.kd
    .uniform_work_group_size: 1
    .uses_dynamic_stack: false
    .vgpr_count:     10
    .vgpr_spill_count: 0
    .wavefront_size: 32
    .workgroup_processor_mode: 1
  - .args:
      - .address_space:  global
        .offset:         0
        .size:           8
        .value_kind:     global_buffer
      - .address_space:  global
        .offset:         8
        .size:           8
        .value_kind:     global_buffer
      - .address_space:  global
        .offset:         16
        .size:           8
        .value_kind:     global_buffer
    .group_segment_fixed_size: 112
    .kernarg_segment_align: 8
    .kernarg_segment_size: 24
    .language:       OpenCL C
    .language_version:
      - 2
      - 0
    .max_flat_workgroup_size: 28
    .name:           _Z33warp_inclusive_scan_reduce_kernelIfLj28ELj7EENSt9enable_ifIXsr10test_utilsE35device_test_enabled_for_warp_size_vIXT1_EEEvE4typeEPT_S4_S4_
    .private_segment_fixed_size: 0
    .sgpr_count:     18
    .sgpr_spill_count: 0
    .symbol:         _Z33warp_inclusive_scan_reduce_kernelIfLj28ELj7EENSt9enable_ifIXsr10test_utilsE35device_test_enabled_for_warp_size_vIXT1_EEEvE4typeEPT_S4_S4_.kd
    .uniform_work_group_size: 1
    .uses_dynamic_stack: false
    .vgpr_count:     10
    .vgpr_spill_count: 0
    .wavefront_size: 32
    .workgroup_processor_mode: 1
  - .args:
      - .address_space:  global
        .offset:         0
        .size:           8
        .value_kind:     global_buffer
      - .address_space:  global
        .offset:         8
        .size:           8
        .value_kind:     global_buffer
      - .address_space:  global
        .offset:         16
        .size:           8
        .value_kind:     global_buffer
    .group_segment_fixed_size: 252
    .kernarg_segment_align: 8
    .kernarg_segment_size: 24
    .language:       OpenCL C
    .language_version:
      - 2
      - 0
    .max_flat_workgroup_size: 63
    .name:           _Z33warp_inclusive_scan_reduce_kernelIfLj63ELj7EENSt9enable_ifIXsr10test_utilsE35device_test_enabled_for_warp_size_vIXT1_EEEvE4typeEPT_S4_S4_
    .private_segment_fixed_size: 0
    .sgpr_count:     18
    .sgpr_spill_count: 0
    .symbol:         _Z33warp_inclusive_scan_reduce_kernelIfLj63ELj7EENSt9enable_ifIXsr10test_utilsE35device_test_enabled_for_warp_size_vIXT1_EEEvE4typeEPT_S4_S4_.kd
    .uniform_work_group_size: 1
    .uses_dynamic_stack: false
    .vgpr_count:     10
    .vgpr_spill_count: 0
    .wavefront_size: 32
    .workgroup_processor_mode: 1
  - .args:
      - .address_space:  global
        .offset:         0
        .size:           8
        .value_kind:     global_buffer
      - .address_space:  global
        .offset:         8
        .size:           8
        .value_kind:     global_buffer
      - .address_space:  global
        .offset:         16
        .size:           8
        .value_kind:     global_buffer
    .group_segment_fixed_size: 120
    .kernarg_segment_align: 8
    .kernarg_segment_size: 24
    .language:       OpenCL C
    .language_version:
      - 2
      - 0
    .max_flat_workgroup_size: 30
    .name:           _Z33warp_inclusive_scan_reduce_kernelIfLj30ELj3EENSt9enable_ifIXsr10test_utilsE35device_test_enabled_for_warp_size_vIXT1_EEEvE4typeEPT_S4_S4_
    .private_segment_fixed_size: 0
    .sgpr_count:     18
    .sgpr_spill_count: 0
    .symbol:         _Z33warp_inclusive_scan_reduce_kernelIfLj30ELj3EENSt9enable_ifIXsr10test_utilsE35device_test_enabled_for_warp_size_vIXT1_EEEvE4typeEPT_S4_S4_.kd
    .uniform_work_group_size: 1
    .uses_dynamic_stack: false
    .vgpr_count:     10
    .vgpr_spill_count: 0
    .wavefront_size: 32
    .workgroup_processor_mode: 1
  - .args:
      - .address_space:  global
        .offset:         0
        .size:           8
        .value_kind:     global_buffer
      - .address_space:  global
        .offset:         8
        .size:           8
        .value_kind:     global_buffer
      - .address_space:  global
        .offset:         16
        .size:           8
        .value_kind:     global_buffer
    .group_segment_fixed_size: 252
    .kernarg_segment_align: 8
    .kernarg_segment_size: 24
    .language:       OpenCL C
    .language_version:
      - 2
      - 0
    .max_flat_workgroup_size: 63
    .name:           _Z33warp_inclusive_scan_reduce_kernelIfLj63ELj3EENSt9enable_ifIXsr10test_utilsE35device_test_enabled_for_warp_size_vIXT1_EEEvE4typeEPT_S4_S4_
    .private_segment_fixed_size: 0
    .sgpr_count:     18
    .sgpr_spill_count: 0
    .symbol:         _Z33warp_inclusive_scan_reduce_kernelIfLj63ELj3EENSt9enable_ifIXsr10test_utilsE35device_test_enabled_for_warp_size_vIXT1_EEEvE4typeEPT_S4_S4_.kd
    .uniform_work_group_size: 1
    .uses_dynamic_stack: false
    .vgpr_count:     10
    .vgpr_spill_count: 0
    .wavefront_size: 32
    .workgroup_processor_mode: 1
  - .args:
      - .address_space:  global
        .offset:         0
        .size:           8
        .value_kind:     global_buffer
      - .address_space:  global
        .offset:         8
        .size:           8
        .value_kind:     global_buffer
      - .address_space:  global
        .offset:         16
        .size:           8
        .value_kind:     global_buffer
    .group_segment_fixed_size: 0
    .kernarg_segment_align: 8
    .kernarg_segment_size: 24
    .language:       OpenCL C
    .language_version:
      - 2
      - 0
    .max_flat_workgroup_size: 1
    .name:           _Z33warp_inclusive_scan_reduce_kernelIiLj1ELj61EENSt9enable_ifIXntsr10test_utilsE35device_test_enabled_for_warp_size_vIXT1_EEEvE4typeEPT_S4_S4_
    .private_segment_fixed_size: 0
    .sgpr_count:     0
    .sgpr_spill_count: 0
    .symbol:         _Z33warp_inclusive_scan_reduce_kernelIiLj1ELj61EENSt9enable_ifIXntsr10test_utilsE35device_test_enabled_for_warp_size_vIXT1_EEEvE4typeEPT_S4_S4_.kd
    .uniform_work_group_size: 1
    .uses_dynamic_stack: false
    .vgpr_count:     0
    .vgpr_spill_count: 0
    .wavefront_size: 32
    .workgroup_processor_mode: 1
  - .args:
      - .address_space:  global
        .offset:         0
        .size:           8
        .value_kind:     global_buffer
      - .address_space:  global
        .offset:         8
        .size:           8
        .value_kind:     global_buffer
      - .address_space:  global
        .offset:         16
        .size:           8
        .value_kind:     global_buffer
    .group_segment_fixed_size: 0
    .kernarg_segment_align: 8
    .kernarg_segment_size: 24
    .language:       OpenCL C
    .language_version:
      - 2
      - 0
    .max_flat_workgroup_size: 61
    .name:           _Z33warp_inclusive_scan_reduce_kernelIiLj61ELj61EENSt9enable_ifIXntsr10test_utilsE35device_test_enabled_for_warp_size_vIXT1_EEEvE4typeEPT_S4_S4_
    .private_segment_fixed_size: 0
    .sgpr_count:     0
    .sgpr_spill_count: 0
    .symbol:         _Z33warp_inclusive_scan_reduce_kernelIiLj61ELj61EENSt9enable_ifIXntsr10test_utilsE35device_test_enabled_for_warp_size_vIXT1_EEEvE4typeEPT_S4_S4_.kd
    .uniform_work_group_size: 1
    .uses_dynamic_stack: false
    .vgpr_count:     0
    .vgpr_spill_count: 0
    .wavefront_size: 32
    .workgroup_processor_mode: 1
  - .args:
      - .address_space:  global
        .offset:         0
        .size:           8
        .value_kind:     global_buffer
      - .address_space:  global
        .offset:         8
        .size:           8
        .value_kind:     global_buffer
      - .address_space:  global
        .offset:         16
        .size:           8
        .value_kind:     global_buffer
    .group_segment_fixed_size: 0
    .kernarg_segment_align: 8
    .kernarg_segment_size: 24
    .language:       OpenCL C
    .language_version:
      - 2
      - 0
    .max_flat_workgroup_size: 1
    .name:           _Z33warp_inclusive_scan_reduce_kernelIiLj1ELj37EENSt9enable_ifIXntsr10test_utilsE35device_test_enabled_for_warp_size_vIXT1_EEEvE4typeEPT_S4_S4_
    .private_segment_fixed_size: 0
    .sgpr_count:     0
    .sgpr_spill_count: 0
    .symbol:         _Z33warp_inclusive_scan_reduce_kernelIiLj1ELj37EENSt9enable_ifIXntsr10test_utilsE35device_test_enabled_for_warp_size_vIXT1_EEEvE4typeEPT_S4_S4_.kd
    .uniform_work_group_size: 1
    .uses_dynamic_stack: false
    .vgpr_count:     0
    .vgpr_spill_count: 0
    .wavefront_size: 32
    .workgroup_processor_mode: 1
  - .args:
      - .address_space:  global
        .offset:         0
        .size:           8
        .value_kind:     global_buffer
      - .address_space:  global
        .offset:         8
        .size:           8
        .value_kind:     global_buffer
      - .address_space:  global
        .offset:         16
        .size:           8
        .value_kind:     global_buffer
    .group_segment_fixed_size: 0
    .kernarg_segment_align: 8
    .kernarg_segment_size: 24
    .language:       OpenCL C
    .language_version:
      - 2
      - 0
    .max_flat_workgroup_size: 37
    .name:           _Z33warp_inclusive_scan_reduce_kernelIiLj37ELj37EENSt9enable_ifIXntsr10test_utilsE35device_test_enabled_for_warp_size_vIXT1_EEEvE4typeEPT_S4_S4_
    .private_segment_fixed_size: 0
    .sgpr_count:     0
    .sgpr_spill_count: 0
    .symbol:         _Z33warp_inclusive_scan_reduce_kernelIiLj37ELj37EENSt9enable_ifIXntsr10test_utilsE35device_test_enabled_for_warp_size_vIXT1_EEEvE4typeEPT_S4_S4_.kd
    .uniform_work_group_size: 1
    .uses_dynamic_stack: false
    .vgpr_count:     0
    .vgpr_spill_count: 0
    .wavefront_size: 32
    .workgroup_processor_mode: 1
  - .args:
      - .address_space:  global
        .offset:         0
        .size:           8
        .value_kind:     global_buffer
      - .address_space:  global
        .offset:         8
        .size:           8
        .value_kind:     global_buffer
      - .address_space:  global
        .offset:         16
        .size:           8
        .value_kind:     global_buffer
    .group_segment_fixed_size: 120
    .kernarg_segment_align: 8
    .kernarg_segment_size: 24
    .language:       OpenCL C
    .language_version:
      - 2
      - 0
    .max_flat_workgroup_size: 30
    .name:           _Z33warp_inclusive_scan_reduce_kernelIiLj30ELj15EENSt9enable_ifIXsr10test_utilsE35device_test_enabled_for_warp_size_vIXT1_EEEvE4typeEPT_S4_S4_
    .private_segment_fixed_size: 0
    .sgpr_count:     18
    .sgpr_spill_count: 0
    .symbol:         _Z33warp_inclusive_scan_reduce_kernelIiLj30ELj15EENSt9enable_ifIXsr10test_utilsE35device_test_enabled_for_warp_size_vIXT1_EEEvE4typeEPT_S4_S4_.kd
    .uniform_work_group_size: 1
    .uses_dynamic_stack: false
    .vgpr_count:     10
    .vgpr_spill_count: 0
    .wavefront_size: 32
    .workgroup_processor_mode: 1
  - .args:
      - .address_space:  global
        .offset:         0
        .size:           8
        .value_kind:     global_buffer
      - .address_space:  global
        .offset:         8
        .size:           8
        .value_kind:     global_buffer
      - .address_space:  global
        .offset:         16
        .size:           8
        .value_kind:     global_buffer
    .group_segment_fixed_size: 240
    .kernarg_segment_align: 8
    .kernarg_segment_size: 24
    .language:       OpenCL C
    .language_version:
      - 2
      - 0
    .max_flat_workgroup_size: 60
    .name:           _Z33warp_inclusive_scan_reduce_kernelIiLj60ELj15EENSt9enable_ifIXsr10test_utilsE35device_test_enabled_for_warp_size_vIXT1_EEEvE4typeEPT_S4_S4_
    .private_segment_fixed_size: 0
    .sgpr_count:     18
    .sgpr_spill_count: 0
    .symbol:         _Z33warp_inclusive_scan_reduce_kernelIiLj60ELj15EENSt9enable_ifIXsr10test_utilsE35device_test_enabled_for_warp_size_vIXT1_EEEvE4typeEPT_S4_S4_.kd
    .uniform_work_group_size: 1
    .uses_dynamic_stack: false
    .vgpr_count:     10
    .vgpr_spill_count: 0
    .wavefront_size: 32
    .workgroup_processor_mode: 1
  - .args:
      - .address_space:  global
        .offset:         0
        .size:           8
        .value_kind:     global_buffer
      - .address_space:  global
        .offset:         8
        .size:           8
        .value_kind:     global_buffer
      - .address_space:  global
        .offset:         16
        .size:           8
        .value_kind:     global_buffer
    .group_segment_fixed_size: 112
    .kernarg_segment_align: 8
    .kernarg_segment_size: 24
    .language:       OpenCL C
    .language_version:
      - 2
      - 0
    .max_flat_workgroup_size: 28
    .name:           _Z33warp_inclusive_scan_reduce_kernelIiLj28ELj7EENSt9enable_ifIXsr10test_utilsE35device_test_enabled_for_warp_size_vIXT1_EEEvE4typeEPT_S4_S4_
    .private_segment_fixed_size: 0
    .sgpr_count:     18
    .sgpr_spill_count: 0
    .symbol:         _Z33warp_inclusive_scan_reduce_kernelIiLj28ELj7EENSt9enable_ifIXsr10test_utilsE35device_test_enabled_for_warp_size_vIXT1_EEEvE4typeEPT_S4_S4_.kd
    .uniform_work_group_size: 1
    .uses_dynamic_stack: false
    .vgpr_count:     10
    .vgpr_spill_count: 0
    .wavefront_size: 32
    .workgroup_processor_mode: 1
  - .args:
      - .address_space:  global
        .offset:         0
        .size:           8
        .value_kind:     global_buffer
      - .address_space:  global
        .offset:         8
        .size:           8
        .value_kind:     global_buffer
      - .address_space:  global
        .offset:         16
        .size:           8
        .value_kind:     global_buffer
    .group_segment_fixed_size: 252
    .kernarg_segment_align: 8
    .kernarg_segment_size: 24
    .language:       OpenCL C
    .language_version:
      - 2
      - 0
    .max_flat_workgroup_size: 63
    .name:           _Z33warp_inclusive_scan_reduce_kernelIiLj63ELj7EENSt9enable_ifIXsr10test_utilsE35device_test_enabled_for_warp_size_vIXT1_EEEvE4typeEPT_S4_S4_
    .private_segment_fixed_size: 0
    .sgpr_count:     18
    .sgpr_spill_count: 0
    .symbol:         _Z33warp_inclusive_scan_reduce_kernelIiLj63ELj7EENSt9enable_ifIXsr10test_utilsE35device_test_enabled_for_warp_size_vIXT1_EEEvE4typeEPT_S4_S4_.kd
    .uniform_work_group_size: 1
    .uses_dynamic_stack: false
    .vgpr_count:     10
    .vgpr_spill_count: 0
    .wavefront_size: 32
    .workgroup_processor_mode: 1
  - .args:
      - .address_space:  global
        .offset:         0
        .size:           8
        .value_kind:     global_buffer
      - .address_space:  global
        .offset:         8
        .size:           8
        .value_kind:     global_buffer
      - .address_space:  global
        .offset:         16
        .size:           8
        .value_kind:     global_buffer
    .group_segment_fixed_size: 120
    .kernarg_segment_align: 8
    .kernarg_segment_size: 24
    .language:       OpenCL C
    .language_version:
      - 2
      - 0
    .max_flat_workgroup_size: 30
    .name:           _Z33warp_inclusive_scan_reduce_kernelIiLj30ELj3EENSt9enable_ifIXsr10test_utilsE35device_test_enabled_for_warp_size_vIXT1_EEEvE4typeEPT_S4_S4_
    .private_segment_fixed_size: 0
    .sgpr_count:     18
    .sgpr_spill_count: 0
    .symbol:         _Z33warp_inclusive_scan_reduce_kernelIiLj30ELj3EENSt9enable_ifIXsr10test_utilsE35device_test_enabled_for_warp_size_vIXT1_EEEvE4typeEPT_S4_S4_.kd
    .uniform_work_group_size: 1
    .uses_dynamic_stack: false
    .vgpr_count:     10
    .vgpr_spill_count: 0
    .wavefront_size: 32
    .workgroup_processor_mode: 1
  - .args:
      - .address_space:  global
        .offset:         0
        .size:           8
        .value_kind:     global_buffer
      - .address_space:  global
        .offset:         8
        .size:           8
        .value_kind:     global_buffer
      - .address_space:  global
        .offset:         16
        .size:           8
        .value_kind:     global_buffer
    .group_segment_fixed_size: 252
    .kernarg_segment_align: 8
    .kernarg_segment_size: 24
    .language:       OpenCL C
    .language_version:
      - 2
      - 0
    .max_flat_workgroup_size: 63
    .name:           _Z33warp_inclusive_scan_reduce_kernelIiLj63ELj3EENSt9enable_ifIXsr10test_utilsE35device_test_enabled_for_warp_size_vIXT1_EEEvE4typeEPT_S4_S4_
    .private_segment_fixed_size: 0
    .sgpr_count:     18
    .sgpr_spill_count: 0
    .symbol:         _Z33warp_inclusive_scan_reduce_kernelIiLj63ELj3EENSt9enable_ifIXsr10test_utilsE35device_test_enabled_for_warp_size_vIXT1_EEEvE4typeEPT_S4_S4_.kd
    .uniform_work_group_size: 1
    .uses_dynamic_stack: false
    .vgpr_count:     10
    .vgpr_spill_count: 0
    .wavefront_size: 32
    .workgroup_processor_mode: 1
  - .args:
      - .address_space:  global
        .offset:         0
        .size:           8
        .value_kind:     global_buffer
      - .address_space:  global
        .offset:         8
        .size:           8
        .value_kind:     global_buffer
      - .address_space:  global
        .offset:         16
        .size:           8
        .value_kind:     global_buffer
    .group_segment_fixed_size: 0
    .kernarg_segment_align: 8
    .kernarg_segment_size: 24
    .language:       OpenCL C
    .language_version:
      - 2
      - 0
    .max_flat_workgroup_size: 256
    .name:           _Z33warp_inclusive_scan_reduce_kernelI12hip_bfloat16Lj256ELj64EENSt9enable_ifIXntsr10test_utilsE35device_test_enabled_for_warp_size_vIXT1_EEEvE4typeEPT_S5_S5_
    .private_segment_fixed_size: 0
    .sgpr_count:     0
    .sgpr_spill_count: 0
    .symbol:         _Z33warp_inclusive_scan_reduce_kernelI12hip_bfloat16Lj256ELj64EENSt9enable_ifIXntsr10test_utilsE35device_test_enabled_for_warp_size_vIXT1_EEEvE4typeEPT_S5_S5_.kd
    .uniform_work_group_size: 1
    .uses_dynamic_stack: false
    .vgpr_count:     0
    .vgpr_spill_count: 0
    .wavefront_size: 32
    .workgroup_processor_mode: 1
  - .args:
      - .address_space:  global
        .offset:         0
        .size:           8
        .value_kind:     global_buffer
      - .address_space:  global
        .offset:         8
        .size:           8
        .value_kind:     global_buffer
      - .address_space:  global
        .offset:         16
        .size:           8
        .value_kind:     global_buffer
    .group_segment_fixed_size: 0
    .kernarg_segment_align: 8
    .kernarg_segment_size: 24
    .language:       OpenCL C
    .language_version:
      - 2
      - 0
    .max_flat_workgroup_size: 128
    .name:           _Z33warp_inclusive_scan_reduce_kernelI12hip_bfloat16Lj128ELj32EENSt9enable_ifIXsr10test_utilsE35device_test_enabled_for_warp_size_vIXT1_EEEvE4typeEPT_S5_S5_
    .private_segment_fixed_size: 0
    .sgpr_count:     18
    .sgpr_spill_count: 0
    .symbol:         _Z33warp_inclusive_scan_reduce_kernelI12hip_bfloat16Lj128ELj32EENSt9enable_ifIXsr10test_utilsE35device_test_enabled_for_warp_size_vIXT1_EEEvE4typeEPT_S5_S5_.kd
    .uniform_work_group_size: 1
    .uses_dynamic_stack: false
    .vgpr_count:     13
    .vgpr_spill_count: 0
    .wavefront_size: 32
    .workgroup_processor_mode: 1
  - .args:
      - .address_space:  global
        .offset:         0
        .size:           8
        .value_kind:     global_buffer
      - .address_space:  global
        .offset:         8
        .size:           8
        .value_kind:     global_buffer
      - .address_space:  global
        .offset:         16
        .size:           8
        .value_kind:     global_buffer
    .group_segment_fixed_size: 0
    .kernarg_segment_align: 8
    .kernarg_segment_size: 24
    .language:       OpenCL C
    .language_version:
      - 2
      - 0
    .max_flat_workgroup_size: 64
    .name:           _Z33warp_inclusive_scan_reduce_kernelI12hip_bfloat16Lj64ELj16EENSt9enable_ifIXsr10test_utilsE35device_test_enabled_for_warp_size_vIXT1_EEEvE4typeEPT_S5_S5_
    .private_segment_fixed_size: 0
    .sgpr_count:     18
    .sgpr_spill_count: 0
    .symbol:         _Z33warp_inclusive_scan_reduce_kernelI12hip_bfloat16Lj64ELj16EENSt9enable_ifIXsr10test_utilsE35device_test_enabled_for_warp_size_vIXT1_EEEvE4typeEPT_S5_S5_.kd
    .uniform_work_group_size: 1
    .uses_dynamic_stack: false
    .vgpr_count:     13
    .vgpr_spill_count: 0
    .wavefront_size: 32
    .workgroup_processor_mode: 1
  - .args:
      - .address_space:  global
        .offset:         0
        .size:           8
        .value_kind:     global_buffer
      - .address_space:  global
        .offset:         8
        .size:           8
        .value_kind:     global_buffer
      - .address_space:  global
        .offset:         16
        .size:           8
        .value_kind:     global_buffer
    .group_segment_fixed_size: 0
    .kernarg_segment_align: 8
    .kernarg_segment_size: 24
    .language:       OpenCL C
    .language_version:
      - 2
      - 0
    .max_flat_workgroup_size: 32
    .name:           _Z33warp_inclusive_scan_reduce_kernelI12hip_bfloat16Lj32ELj8EENSt9enable_ifIXsr10test_utilsE35device_test_enabled_for_warp_size_vIXT1_EEEvE4typeEPT_S5_S5_
    .private_segment_fixed_size: 0
    .sgpr_count:     18
    .sgpr_spill_count: 0
    .symbol:         _Z33warp_inclusive_scan_reduce_kernelI12hip_bfloat16Lj32ELj8EENSt9enable_ifIXsr10test_utilsE35device_test_enabled_for_warp_size_vIXT1_EEEvE4typeEPT_S5_S5_.kd
    .uniform_work_group_size: 1
    .uses_dynamic_stack: false
    .vgpr_count:     13
    .vgpr_spill_count: 0
    .wavefront_size: 32
    .workgroup_processor_mode: 1
  - .args:
      - .address_space:  global
        .offset:         0
        .size:           8
        .value_kind:     global_buffer
      - .address_space:  global
        .offset:         8
        .size:           8
        .value_kind:     global_buffer
      - .address_space:  global
        .offset:         16
        .size:           8
        .value_kind:     global_buffer
    .group_segment_fixed_size: 0
    .kernarg_segment_align: 8
    .kernarg_segment_size: 24
    .language:       OpenCL C
    .language_version:
      - 2
      - 0
    .max_flat_workgroup_size: 64
    .name:           _Z33warp_inclusive_scan_reduce_kernelI12hip_bfloat16Lj64ELj8EENSt9enable_ifIXsr10test_utilsE35device_test_enabled_for_warp_size_vIXT1_EEEvE4typeEPT_S5_S5_
    .private_segment_fixed_size: 0
    .sgpr_count:     18
    .sgpr_spill_count: 0
    .symbol:         _Z33warp_inclusive_scan_reduce_kernelI12hip_bfloat16Lj64ELj8EENSt9enable_ifIXsr10test_utilsE35device_test_enabled_for_warp_size_vIXT1_EEEvE4typeEPT_S5_S5_.kd
    .uniform_work_group_size: 1
    .uses_dynamic_stack: false
    .vgpr_count:     13
    .vgpr_spill_count: 0
    .wavefront_size: 32
    .workgroup_processor_mode: 1
  - .args:
      - .address_space:  global
        .offset:         0
        .size:           8
        .value_kind:     global_buffer
      - .address_space:  global
        .offset:         8
        .size:           8
        .value_kind:     global_buffer
      - .address_space:  global
        .offset:         16
        .size:           8
        .value_kind:     global_buffer
    .group_segment_fixed_size: 0
    .kernarg_segment_align: 8
    .kernarg_segment_size: 24
    .language:       OpenCL C
    .language_version:
      - 2
      - 0
    .max_flat_workgroup_size: 32
    .name:           _Z33warp_inclusive_scan_reduce_kernelI12hip_bfloat16Lj32ELj4EENSt9enable_ifIXsr10test_utilsE35device_test_enabled_for_warp_size_vIXT1_EEEvE4typeEPT_S5_S5_
    .private_segment_fixed_size: 0
    .sgpr_count:     18
    .sgpr_spill_count: 0
    .symbol:         _Z33warp_inclusive_scan_reduce_kernelI12hip_bfloat16Lj32ELj4EENSt9enable_ifIXsr10test_utilsE35device_test_enabled_for_warp_size_vIXT1_EEEvE4typeEPT_S5_S5_.kd
    .uniform_work_group_size: 1
    .uses_dynamic_stack: false
    .vgpr_count:     12
    .vgpr_spill_count: 0
    .wavefront_size: 32
    .workgroup_processor_mode: 1
  - .args:
      - .address_space:  global
        .offset:         0
        .size:           8
        .value_kind:     global_buffer
      - .address_space:  global
        .offset:         8
        .size:           8
        .value_kind:     global_buffer
      - .address_space:  global
        .offset:         16
        .size:           8
        .value_kind:     global_buffer
    .group_segment_fixed_size: 0
    .kernarg_segment_align: 8
    .kernarg_segment_size: 24
    .language:       OpenCL C
    .language_version:
      - 2
      - 0
    .max_flat_workgroup_size: 64
    .name:           _Z33warp_inclusive_scan_reduce_kernelI12hip_bfloat16Lj64ELj4EENSt9enable_ifIXsr10test_utilsE35device_test_enabled_for_warp_size_vIXT1_EEEvE4typeEPT_S5_S5_
    .private_segment_fixed_size: 0
    .sgpr_count:     18
    .sgpr_spill_count: 0
    .symbol:         _Z33warp_inclusive_scan_reduce_kernelI12hip_bfloat16Lj64ELj4EENSt9enable_ifIXsr10test_utilsE35device_test_enabled_for_warp_size_vIXT1_EEEvE4typeEPT_S5_S5_.kd
    .uniform_work_group_size: 1
    .uses_dynamic_stack: false
    .vgpr_count:     12
    .vgpr_spill_count: 0
    .wavefront_size: 32
    .workgroup_processor_mode: 1
  - .args:
      - .address_space:  global
        .offset:         0
        .size:           8
        .value_kind:     global_buffer
      - .address_space:  global
        .offset:         8
        .size:           8
        .value_kind:     global_buffer
      - .address_space:  global
        .offset:         16
        .size:           8
        .value_kind:     global_buffer
    .group_segment_fixed_size: 0
    .kernarg_segment_align: 8
    .kernarg_segment_size: 24
    .language:       OpenCL C
    .language_version:
      - 2
      - 0
    .max_flat_workgroup_size: 32
    .name:           _Z33warp_inclusive_scan_reduce_kernelI12hip_bfloat16Lj32ELj2EENSt9enable_ifIXsr10test_utilsE35device_test_enabled_for_warp_size_vIXT1_EEEvE4typeEPT_S5_S5_
    .private_segment_fixed_size: 0
    .sgpr_count:     18
    .sgpr_spill_count: 0
    .symbol:         _Z33warp_inclusive_scan_reduce_kernelI12hip_bfloat16Lj32ELj2EENSt9enable_ifIXsr10test_utilsE35device_test_enabled_for_warp_size_vIXT1_EEEvE4typeEPT_S5_S5_.kd
    .uniform_work_group_size: 1
    .uses_dynamic_stack: false
    .vgpr_count:     11
    .vgpr_spill_count: 0
    .wavefront_size: 32
    .workgroup_processor_mode: 1
  - .args:
      - .address_space:  global
        .offset:         0
        .size:           8
        .value_kind:     global_buffer
      - .address_space:  global
        .offset:         8
        .size:           8
        .value_kind:     global_buffer
      - .address_space:  global
        .offset:         16
        .size:           8
        .value_kind:     global_buffer
    .group_segment_fixed_size: 0
    .kernarg_segment_align: 8
    .kernarg_segment_size: 24
    .language:       OpenCL C
    .language_version:
      - 2
      - 0
    .max_flat_workgroup_size: 64
    .name:           _Z33warp_inclusive_scan_reduce_kernelI12hip_bfloat16Lj64ELj2EENSt9enable_ifIXsr10test_utilsE35device_test_enabled_for_warp_size_vIXT1_EEEvE4typeEPT_S5_S5_
    .private_segment_fixed_size: 0
    .sgpr_count:     18
    .sgpr_spill_count: 0
    .symbol:         _Z33warp_inclusive_scan_reduce_kernelI12hip_bfloat16Lj64ELj2EENSt9enable_ifIXsr10test_utilsE35device_test_enabled_for_warp_size_vIXT1_EEEvE4typeEPT_S5_S5_.kd
    .uniform_work_group_size: 1
    .uses_dynamic_stack: false
    .vgpr_count:     11
    .vgpr_spill_count: 0
    .wavefront_size: 32
    .workgroup_processor_mode: 1
  - .args:
      - .address_space:  global
        .offset:         0
        .size:           8
        .value_kind:     global_buffer
      - .address_space:  global
        .offset:         8
        .size:           8
        .value_kind:     global_buffer
      - .address_space:  global
        .offset:         16
        .size:           8
        .value_kind:     global_buffer
    .group_segment_fixed_size: 0
    .kernarg_segment_align: 8
    .kernarg_segment_size: 24
    .language:       OpenCL C
    .language_version:
      - 2
      - 0
    .max_flat_workgroup_size: 256
    .name:           _Z33warp_inclusive_scan_reduce_kernelI6__halfLj256ELj64EENSt9enable_ifIXntsr10test_utilsE35device_test_enabled_for_warp_size_vIXT1_EEEvE4typeEPT_S5_S5_
    .private_segment_fixed_size: 0
    .sgpr_count:     0
    .sgpr_spill_count: 0
    .symbol:         _Z33warp_inclusive_scan_reduce_kernelI6__halfLj256ELj64EENSt9enable_ifIXntsr10test_utilsE35device_test_enabled_for_warp_size_vIXT1_EEEvE4typeEPT_S5_S5_.kd
    .uniform_work_group_size: 1
    .uses_dynamic_stack: false
    .vgpr_count:     0
    .vgpr_spill_count: 0
    .wavefront_size: 32
    .workgroup_processor_mode: 1
  - .args:
      - .address_space:  global
        .offset:         0
        .size:           8
        .value_kind:     global_buffer
      - .address_space:  global
        .offset:         8
        .size:           8
        .value_kind:     global_buffer
      - .address_space:  global
        .offset:         16
        .size:           8
        .value_kind:     global_buffer
    .group_segment_fixed_size: 0
    .kernarg_segment_align: 8
    .kernarg_segment_size: 24
    .language:       OpenCL C
    .language_version:
      - 2
      - 0
    .max_flat_workgroup_size: 128
    .name:           _Z33warp_inclusive_scan_reduce_kernelI6__halfLj128ELj32EENSt9enable_ifIXsr10test_utilsE35device_test_enabled_for_warp_size_vIXT1_EEEvE4typeEPT_S5_S5_
    .private_segment_fixed_size: 0
    .sgpr_count:     18
    .sgpr_spill_count: 0
    .symbol:         _Z33warp_inclusive_scan_reduce_kernelI6__halfLj128ELj32EENSt9enable_ifIXsr10test_utilsE35device_test_enabled_for_warp_size_vIXT1_EEEvE4typeEPT_S5_S5_.kd
    .uniform_work_group_size: 1
    .uses_dynamic_stack: false
    .vgpr_count:     11
    .vgpr_spill_count: 0
    .wavefront_size: 32
    .workgroup_processor_mode: 1
  - .args:
      - .address_space:  global
        .offset:         0
        .size:           8
        .value_kind:     global_buffer
      - .address_space:  global
        .offset:         8
        .size:           8
        .value_kind:     global_buffer
      - .address_space:  global
        .offset:         16
        .size:           8
        .value_kind:     global_buffer
    .group_segment_fixed_size: 0
    .kernarg_segment_align: 8
    .kernarg_segment_size: 24
    .language:       OpenCL C
    .language_version:
      - 2
      - 0
    .max_flat_workgroup_size: 64
    .name:           _Z33warp_inclusive_scan_reduce_kernelI6__halfLj64ELj16EENSt9enable_ifIXsr10test_utilsE35device_test_enabled_for_warp_size_vIXT1_EEEvE4typeEPT_S5_S5_
    .private_segment_fixed_size: 0
    .sgpr_count:     18
    .sgpr_spill_count: 0
    .symbol:         _Z33warp_inclusive_scan_reduce_kernelI6__halfLj64ELj16EENSt9enable_ifIXsr10test_utilsE35device_test_enabled_for_warp_size_vIXT1_EEEvE4typeEPT_S5_S5_.kd
    .uniform_work_group_size: 1
    .uses_dynamic_stack: false
    .vgpr_count:     10
    .vgpr_spill_count: 0
    .wavefront_size: 32
    .workgroup_processor_mode: 1
  - .args:
      - .address_space:  global
        .offset:         0
        .size:           8
        .value_kind:     global_buffer
      - .address_space:  global
        .offset:         8
        .size:           8
        .value_kind:     global_buffer
      - .address_space:  global
        .offset:         16
        .size:           8
        .value_kind:     global_buffer
    .group_segment_fixed_size: 0
    .kernarg_segment_align: 8
    .kernarg_segment_size: 24
    .language:       OpenCL C
    .language_version:
      - 2
      - 0
    .max_flat_workgroup_size: 32
    .name:           _Z33warp_inclusive_scan_reduce_kernelI6__halfLj32ELj8EENSt9enable_ifIXsr10test_utilsE35device_test_enabled_for_warp_size_vIXT1_EEEvE4typeEPT_S5_S5_
    .private_segment_fixed_size: 0
    .sgpr_count:     18
    .sgpr_spill_count: 0
    .symbol:         _Z33warp_inclusive_scan_reduce_kernelI6__halfLj32ELj8EENSt9enable_ifIXsr10test_utilsE35device_test_enabled_for_warp_size_vIXT1_EEEvE4typeEPT_S5_S5_.kd
    .uniform_work_group_size: 1
    .uses_dynamic_stack: false
    .vgpr_count:     9
    .vgpr_spill_count: 0
    .wavefront_size: 32
    .workgroup_processor_mode: 1
  - .args:
      - .address_space:  global
        .offset:         0
        .size:           8
        .value_kind:     global_buffer
      - .address_space:  global
        .offset:         8
        .size:           8
        .value_kind:     global_buffer
      - .address_space:  global
        .offset:         16
        .size:           8
        .value_kind:     global_buffer
    .group_segment_fixed_size: 0
    .kernarg_segment_align: 8
    .kernarg_segment_size: 24
    .language:       OpenCL C
    .language_version:
      - 2
      - 0
    .max_flat_workgroup_size: 64
    .name:           _Z33warp_inclusive_scan_reduce_kernelI6__halfLj64ELj8EENSt9enable_ifIXsr10test_utilsE35device_test_enabled_for_warp_size_vIXT1_EEEvE4typeEPT_S5_S5_
    .private_segment_fixed_size: 0
    .sgpr_count:     18
    .sgpr_spill_count: 0
    .symbol:         _Z33warp_inclusive_scan_reduce_kernelI6__halfLj64ELj8EENSt9enable_ifIXsr10test_utilsE35device_test_enabled_for_warp_size_vIXT1_EEEvE4typeEPT_S5_S5_.kd
    .uniform_work_group_size: 1
    .uses_dynamic_stack: false
    .vgpr_count:     9
    .vgpr_spill_count: 0
    .wavefront_size: 32
    .workgroup_processor_mode: 1
  - .args:
      - .address_space:  global
        .offset:         0
        .size:           8
        .value_kind:     global_buffer
      - .address_space:  global
        .offset:         8
        .size:           8
        .value_kind:     global_buffer
      - .address_space:  global
        .offset:         16
        .size:           8
        .value_kind:     global_buffer
    .group_segment_fixed_size: 0
    .kernarg_segment_align: 8
    .kernarg_segment_size: 24
    .language:       OpenCL C
    .language_version:
      - 2
      - 0
    .max_flat_workgroup_size: 32
    .name:           _Z33warp_inclusive_scan_reduce_kernelI6__halfLj32ELj4EENSt9enable_ifIXsr10test_utilsE35device_test_enabled_for_warp_size_vIXT1_EEEvE4typeEPT_S5_S5_
    .private_segment_fixed_size: 0
    .sgpr_count:     18
    .sgpr_spill_count: 0
    .symbol:         _Z33warp_inclusive_scan_reduce_kernelI6__halfLj32ELj4EENSt9enable_ifIXsr10test_utilsE35device_test_enabled_for_warp_size_vIXT1_EEEvE4typeEPT_S5_S5_.kd
    .uniform_work_group_size: 1
    .uses_dynamic_stack: false
    .vgpr_count:     9
    .vgpr_spill_count: 0
    .wavefront_size: 32
    .workgroup_processor_mode: 1
  - .args:
      - .address_space:  global
        .offset:         0
        .size:           8
        .value_kind:     global_buffer
      - .address_space:  global
        .offset:         8
        .size:           8
        .value_kind:     global_buffer
      - .address_space:  global
        .offset:         16
        .size:           8
        .value_kind:     global_buffer
    .group_segment_fixed_size: 0
    .kernarg_segment_align: 8
    .kernarg_segment_size: 24
    .language:       OpenCL C
    .language_version:
      - 2
      - 0
    .max_flat_workgroup_size: 64
    .name:           _Z33warp_inclusive_scan_reduce_kernelI6__halfLj64ELj4EENSt9enable_ifIXsr10test_utilsE35device_test_enabled_for_warp_size_vIXT1_EEEvE4typeEPT_S5_S5_
    .private_segment_fixed_size: 0
    .sgpr_count:     18
    .sgpr_spill_count: 0
    .symbol:         _Z33warp_inclusive_scan_reduce_kernelI6__halfLj64ELj4EENSt9enable_ifIXsr10test_utilsE35device_test_enabled_for_warp_size_vIXT1_EEEvE4typeEPT_S5_S5_.kd
    .uniform_work_group_size: 1
    .uses_dynamic_stack: false
    .vgpr_count:     9
    .vgpr_spill_count: 0
    .wavefront_size: 32
    .workgroup_processor_mode: 1
  - .args:
      - .address_space:  global
        .offset:         0
        .size:           8
        .value_kind:     global_buffer
      - .address_space:  global
        .offset:         8
        .size:           8
        .value_kind:     global_buffer
      - .address_space:  global
        .offset:         16
        .size:           8
        .value_kind:     global_buffer
    .group_segment_fixed_size: 0
    .kernarg_segment_align: 8
    .kernarg_segment_size: 24
    .language:       OpenCL C
    .language_version:
      - 2
      - 0
    .max_flat_workgroup_size: 32
    .name:           _Z33warp_inclusive_scan_reduce_kernelI6__halfLj32ELj2EENSt9enable_ifIXsr10test_utilsE35device_test_enabled_for_warp_size_vIXT1_EEEvE4typeEPT_S5_S5_
    .private_segment_fixed_size: 0
    .sgpr_count:     18
    .sgpr_spill_count: 0
    .symbol:         _Z33warp_inclusive_scan_reduce_kernelI6__halfLj32ELj2EENSt9enable_ifIXsr10test_utilsE35device_test_enabled_for_warp_size_vIXT1_EEEvE4typeEPT_S5_S5_.kd
    .uniform_work_group_size: 1
    .uses_dynamic_stack: false
    .vgpr_count:     9
    .vgpr_spill_count: 0
    .wavefront_size: 32
    .workgroup_processor_mode: 1
  - .args:
      - .address_space:  global
        .offset:         0
        .size:           8
        .value_kind:     global_buffer
      - .address_space:  global
        .offset:         8
        .size:           8
        .value_kind:     global_buffer
      - .address_space:  global
        .offset:         16
        .size:           8
        .value_kind:     global_buffer
    .group_segment_fixed_size: 0
    .kernarg_segment_align: 8
    .kernarg_segment_size: 24
    .language:       OpenCL C
    .language_version:
      - 2
      - 0
    .max_flat_workgroup_size: 64
    .name:           _Z33warp_inclusive_scan_reduce_kernelI6__halfLj64ELj2EENSt9enable_ifIXsr10test_utilsE35device_test_enabled_for_warp_size_vIXT1_EEEvE4typeEPT_S5_S5_
    .private_segment_fixed_size: 0
    .sgpr_count:     18
    .sgpr_spill_count: 0
    .symbol:         _Z33warp_inclusive_scan_reduce_kernelI6__halfLj64ELj2EENSt9enable_ifIXsr10test_utilsE35device_test_enabled_for_warp_size_vIXT1_EEEvE4typeEPT_S5_S5_.kd
    .uniform_work_group_size: 1
    .uses_dynamic_stack: false
    .vgpr_count:     9
    .vgpr_spill_count: 0
    .wavefront_size: 32
    .workgroup_processor_mode: 1
  - .args:
      - .address_space:  global
        .offset:         0
        .size:           8
        .value_kind:     global_buffer
      - .address_space:  global
        .offset:         8
        .size:           8
        .value_kind:     global_buffer
      - .address_space:  global
        .offset:         16
        .size:           8
        .value_kind:     global_buffer
    .group_segment_fixed_size: 0
    .kernarg_segment_align: 8
    .kernarg_segment_size: 24
    .language:       OpenCL C
    .language_version:
      - 2
      - 0
    .max_flat_workgroup_size: 256
    .name:           _Z33warp_inclusive_scan_reduce_kernelIfLj256ELj64EENSt9enable_ifIXntsr10test_utilsE35device_test_enabled_for_warp_size_vIXT1_EEEvE4typeEPT_S4_S4_
    .private_segment_fixed_size: 0
    .sgpr_count:     0
    .sgpr_spill_count: 0
    .symbol:         _Z33warp_inclusive_scan_reduce_kernelIfLj256ELj64EENSt9enable_ifIXntsr10test_utilsE35device_test_enabled_for_warp_size_vIXT1_EEEvE4typeEPT_S4_S4_.kd
    .uniform_work_group_size: 1
    .uses_dynamic_stack: false
    .vgpr_count:     0
    .vgpr_spill_count: 0
    .wavefront_size: 32
    .workgroup_processor_mode: 1
  - .args:
      - .address_space:  global
        .offset:         0
        .size:           8
        .value_kind:     global_buffer
      - .address_space:  global
        .offset:         8
        .size:           8
        .value_kind:     global_buffer
      - .address_space:  global
        .offset:         16
        .size:           8
        .value_kind:     global_buffer
    .group_segment_fixed_size: 0
    .kernarg_segment_align: 8
    .kernarg_segment_size: 24
    .language:       OpenCL C
    .language_version:
      - 2
      - 0
    .max_flat_workgroup_size: 128
    .name:           _Z33warp_inclusive_scan_reduce_kernelIfLj128ELj32EENSt9enable_ifIXsr10test_utilsE35device_test_enabled_for_warp_size_vIXT1_EEEvE4typeEPT_S4_S4_
    .private_segment_fixed_size: 0
    .sgpr_count:     18
    .sgpr_spill_count: 0
    .symbol:         _Z33warp_inclusive_scan_reduce_kernelIfLj128ELj32EENSt9enable_ifIXsr10test_utilsE35device_test_enabled_for_warp_size_vIXT1_EEEvE4typeEPT_S4_S4_.kd
    .uniform_work_group_size: 1
    .uses_dynamic_stack: false
    .vgpr_count:     9
    .vgpr_spill_count: 0
    .wavefront_size: 32
    .workgroup_processor_mode: 1
  - .args:
      - .address_space:  global
        .offset:         0
        .size:           8
        .value_kind:     global_buffer
      - .address_space:  global
        .offset:         8
        .size:           8
        .value_kind:     global_buffer
      - .address_space:  global
        .offset:         16
        .size:           8
        .value_kind:     global_buffer
    .group_segment_fixed_size: 0
    .kernarg_segment_align: 8
    .kernarg_segment_size: 24
    .language:       OpenCL C
    .language_version:
      - 2
      - 0
    .max_flat_workgroup_size: 64
    .name:           _Z33warp_inclusive_scan_reduce_kernelIfLj64ELj16EENSt9enable_ifIXsr10test_utilsE35device_test_enabled_for_warp_size_vIXT1_EEEvE4typeEPT_S4_S4_
    .private_segment_fixed_size: 0
    .sgpr_count:     18
    .sgpr_spill_count: 0
    .symbol:         _Z33warp_inclusive_scan_reduce_kernelIfLj64ELj16EENSt9enable_ifIXsr10test_utilsE35device_test_enabled_for_warp_size_vIXT1_EEEvE4typeEPT_S4_S4_.kd
    .uniform_work_group_size: 1
    .uses_dynamic_stack: false
    .vgpr_count:     8
    .vgpr_spill_count: 0
    .wavefront_size: 32
    .workgroup_processor_mode: 1
  - .args:
      - .address_space:  global
        .offset:         0
        .size:           8
        .value_kind:     global_buffer
      - .address_space:  global
        .offset:         8
        .size:           8
        .value_kind:     global_buffer
      - .address_space:  global
        .offset:         16
        .size:           8
        .value_kind:     global_buffer
    .group_segment_fixed_size: 0
    .kernarg_segment_align: 8
    .kernarg_segment_size: 24
    .language:       OpenCL C
    .language_version:
      - 2
      - 0
    .max_flat_workgroup_size: 32
    .name:           _Z33warp_inclusive_scan_reduce_kernelIfLj32ELj8EENSt9enable_ifIXsr10test_utilsE35device_test_enabled_for_warp_size_vIXT1_EEEvE4typeEPT_S4_S4_
    .private_segment_fixed_size: 0
    .sgpr_count:     18
    .sgpr_spill_count: 0
    .symbol:         _Z33warp_inclusive_scan_reduce_kernelIfLj32ELj8EENSt9enable_ifIXsr10test_utilsE35device_test_enabled_for_warp_size_vIXT1_EEEvE4typeEPT_S4_S4_.kd
    .uniform_work_group_size: 1
    .uses_dynamic_stack: false
    .vgpr_count:     8
    .vgpr_spill_count: 0
    .wavefront_size: 32
    .workgroup_processor_mode: 1
  - .args:
      - .address_space:  global
        .offset:         0
        .size:           8
        .value_kind:     global_buffer
      - .address_space:  global
        .offset:         8
        .size:           8
        .value_kind:     global_buffer
      - .address_space:  global
        .offset:         16
        .size:           8
        .value_kind:     global_buffer
    .group_segment_fixed_size: 0
    .kernarg_segment_align: 8
    .kernarg_segment_size: 24
    .language:       OpenCL C
    .language_version:
      - 2
      - 0
    .max_flat_workgroup_size: 64
    .name:           _Z33warp_inclusive_scan_reduce_kernelIfLj64ELj8EENSt9enable_ifIXsr10test_utilsE35device_test_enabled_for_warp_size_vIXT1_EEEvE4typeEPT_S4_S4_
    .private_segment_fixed_size: 0
    .sgpr_count:     18
    .sgpr_spill_count: 0
    .symbol:         _Z33warp_inclusive_scan_reduce_kernelIfLj64ELj8EENSt9enable_ifIXsr10test_utilsE35device_test_enabled_for_warp_size_vIXT1_EEEvE4typeEPT_S4_S4_.kd
    .uniform_work_group_size: 1
    .uses_dynamic_stack: false
    .vgpr_count:     8
    .vgpr_spill_count: 0
    .wavefront_size: 32
    .workgroup_processor_mode: 1
  - .args:
      - .address_space:  global
        .offset:         0
        .size:           8
        .value_kind:     global_buffer
      - .address_space:  global
        .offset:         8
        .size:           8
        .value_kind:     global_buffer
      - .address_space:  global
        .offset:         16
        .size:           8
        .value_kind:     global_buffer
    .group_segment_fixed_size: 0
    .kernarg_segment_align: 8
    .kernarg_segment_size: 24
    .language:       OpenCL C
    .language_version:
      - 2
      - 0
    .max_flat_workgroup_size: 32
    .name:           _Z33warp_inclusive_scan_reduce_kernelIfLj32ELj4EENSt9enable_ifIXsr10test_utilsE35device_test_enabled_for_warp_size_vIXT1_EEEvE4typeEPT_S4_S4_
    .private_segment_fixed_size: 0
    .sgpr_count:     18
    .sgpr_spill_count: 0
    .symbol:         _Z33warp_inclusive_scan_reduce_kernelIfLj32ELj4EENSt9enable_ifIXsr10test_utilsE35device_test_enabled_for_warp_size_vIXT1_EEEvE4typeEPT_S4_S4_.kd
    .uniform_work_group_size: 1
    .uses_dynamic_stack: false
    .vgpr_count:     8
    .vgpr_spill_count: 0
    .wavefront_size: 32
    .workgroup_processor_mode: 1
  - .args:
      - .address_space:  global
        .offset:         0
        .size:           8
        .value_kind:     global_buffer
      - .address_space:  global
        .offset:         8
        .size:           8
        .value_kind:     global_buffer
      - .address_space:  global
        .offset:         16
        .size:           8
        .value_kind:     global_buffer
    .group_segment_fixed_size: 0
    .kernarg_segment_align: 8
    .kernarg_segment_size: 24
    .language:       OpenCL C
    .language_version:
      - 2
      - 0
    .max_flat_workgroup_size: 64
    .name:           _Z33warp_inclusive_scan_reduce_kernelIfLj64ELj4EENSt9enable_ifIXsr10test_utilsE35device_test_enabled_for_warp_size_vIXT1_EEEvE4typeEPT_S4_S4_
    .private_segment_fixed_size: 0
    .sgpr_count:     18
    .sgpr_spill_count: 0
    .symbol:         _Z33warp_inclusive_scan_reduce_kernelIfLj64ELj4EENSt9enable_ifIXsr10test_utilsE35device_test_enabled_for_warp_size_vIXT1_EEEvE4typeEPT_S4_S4_.kd
    .uniform_work_group_size: 1
    .uses_dynamic_stack: false
    .vgpr_count:     8
    .vgpr_spill_count: 0
    .wavefront_size: 32
    .workgroup_processor_mode: 1
  - .args:
      - .address_space:  global
        .offset:         0
        .size:           8
        .value_kind:     global_buffer
      - .address_space:  global
        .offset:         8
        .size:           8
        .value_kind:     global_buffer
      - .address_space:  global
        .offset:         16
        .size:           8
        .value_kind:     global_buffer
    .group_segment_fixed_size: 0
    .kernarg_segment_align: 8
    .kernarg_segment_size: 24
    .language:       OpenCL C
    .language_version:
      - 2
      - 0
    .max_flat_workgroup_size: 32
    .name:           _Z33warp_inclusive_scan_reduce_kernelIfLj32ELj2EENSt9enable_ifIXsr10test_utilsE35device_test_enabled_for_warp_size_vIXT1_EEEvE4typeEPT_S4_S4_
    .private_segment_fixed_size: 0
    .sgpr_count:     18
    .sgpr_spill_count: 0
    .symbol:         _Z33warp_inclusive_scan_reduce_kernelIfLj32ELj2EENSt9enable_ifIXsr10test_utilsE35device_test_enabled_for_warp_size_vIXT1_EEEvE4typeEPT_S4_S4_.kd
    .uniform_work_group_size: 1
    .uses_dynamic_stack: false
    .vgpr_count:     8
    .vgpr_spill_count: 0
    .wavefront_size: 32
    .workgroup_processor_mode: 1
  - .args:
      - .address_space:  global
        .offset:         0
        .size:           8
        .value_kind:     global_buffer
      - .address_space:  global
        .offset:         8
        .size:           8
        .value_kind:     global_buffer
      - .address_space:  global
        .offset:         16
        .size:           8
        .value_kind:     global_buffer
    .group_segment_fixed_size: 0
    .kernarg_segment_align: 8
    .kernarg_segment_size: 24
    .language:       OpenCL C
    .language_version:
      - 2
      - 0
    .max_flat_workgroup_size: 64
    .name:           _Z33warp_inclusive_scan_reduce_kernelIfLj64ELj2EENSt9enable_ifIXsr10test_utilsE35device_test_enabled_for_warp_size_vIXT1_EEEvE4typeEPT_S4_S4_
    .private_segment_fixed_size: 0
    .sgpr_count:     18
    .sgpr_spill_count: 0
    .symbol:         _Z33warp_inclusive_scan_reduce_kernelIfLj64ELj2EENSt9enable_ifIXsr10test_utilsE35device_test_enabled_for_warp_size_vIXT1_EEEvE4typeEPT_S4_S4_.kd
    .uniform_work_group_size: 1
    .uses_dynamic_stack: false
    .vgpr_count:     8
    .vgpr_spill_count: 0
    .wavefront_size: 32
    .workgroup_processor_mode: 1
  - .args:
      - .address_space:  global
        .offset:         0
        .size:           8
        .value_kind:     global_buffer
      - .address_space:  global
        .offset:         8
        .size:           8
        .value_kind:     global_buffer
      - .address_space:  global
        .offset:         16
        .size:           8
        .value_kind:     global_buffer
    .group_segment_fixed_size: 0
    .kernarg_segment_align: 8
    .kernarg_segment_size: 24
    .language:       OpenCL C
    .language_version:
      - 2
      - 0
    .max_flat_workgroup_size: 256
    .name:           _Z33warp_inclusive_scan_reduce_kernelIiLj256ELj64EENSt9enable_ifIXntsr10test_utilsE35device_test_enabled_for_warp_size_vIXT1_EEEvE4typeEPT_S4_S4_
    .private_segment_fixed_size: 0
    .sgpr_count:     0
    .sgpr_spill_count: 0
    .symbol:         _Z33warp_inclusive_scan_reduce_kernelIiLj256ELj64EENSt9enable_ifIXntsr10test_utilsE35device_test_enabled_for_warp_size_vIXT1_EEEvE4typeEPT_S4_S4_.kd
    .uniform_work_group_size: 1
    .uses_dynamic_stack: false
    .vgpr_count:     0
    .vgpr_spill_count: 0
    .wavefront_size: 32
    .workgroup_processor_mode: 1
  - .args:
      - .address_space:  global
        .offset:         0
        .size:           8
        .value_kind:     global_buffer
      - .address_space:  global
        .offset:         8
        .size:           8
        .value_kind:     global_buffer
      - .address_space:  global
        .offset:         16
        .size:           8
        .value_kind:     global_buffer
    .group_segment_fixed_size: 0
    .kernarg_segment_align: 8
    .kernarg_segment_size: 24
    .language:       OpenCL C
    .language_version:
      - 2
      - 0
    .max_flat_workgroup_size: 128
    .name:           _Z33warp_inclusive_scan_reduce_kernelIiLj128ELj32EENSt9enable_ifIXsr10test_utilsE35device_test_enabled_for_warp_size_vIXT1_EEEvE4typeEPT_S4_S4_
    .private_segment_fixed_size: 0
    .sgpr_count:     18
    .sgpr_spill_count: 0
    .symbol:         _Z33warp_inclusive_scan_reduce_kernelIiLj128ELj32EENSt9enable_ifIXsr10test_utilsE35device_test_enabled_for_warp_size_vIXT1_EEEvE4typeEPT_S4_S4_.kd
    .uniform_work_group_size: 1
    .uses_dynamic_stack: false
    .vgpr_count:     8
    .vgpr_spill_count: 0
    .wavefront_size: 32
    .workgroup_processor_mode: 1
  - .args:
      - .address_space:  global
        .offset:         0
        .size:           8
        .value_kind:     global_buffer
      - .address_space:  global
        .offset:         8
        .size:           8
        .value_kind:     global_buffer
      - .address_space:  global
        .offset:         16
        .size:           8
        .value_kind:     global_buffer
    .group_segment_fixed_size: 0
    .kernarg_segment_align: 8
    .kernarg_segment_size: 24
    .language:       OpenCL C
    .language_version:
      - 2
      - 0
    .max_flat_workgroup_size: 64
    .name:           _Z33warp_inclusive_scan_reduce_kernelIiLj64ELj16EENSt9enable_ifIXsr10test_utilsE35device_test_enabled_for_warp_size_vIXT1_EEEvE4typeEPT_S4_S4_
    .private_segment_fixed_size: 0
    .sgpr_count:     18
    .sgpr_spill_count: 0
    .symbol:         _Z33warp_inclusive_scan_reduce_kernelIiLj64ELj16EENSt9enable_ifIXsr10test_utilsE35device_test_enabled_for_warp_size_vIXT1_EEEvE4typeEPT_S4_S4_.kd
    .uniform_work_group_size: 1
    .uses_dynamic_stack: false
    .vgpr_count:     8
    .vgpr_spill_count: 0
    .wavefront_size: 32
    .workgroup_processor_mode: 1
  - .args:
      - .address_space:  global
        .offset:         0
        .size:           8
        .value_kind:     global_buffer
      - .address_space:  global
        .offset:         8
        .size:           8
        .value_kind:     global_buffer
      - .address_space:  global
        .offset:         16
        .size:           8
        .value_kind:     global_buffer
    .group_segment_fixed_size: 0
    .kernarg_segment_align: 8
    .kernarg_segment_size: 24
    .language:       OpenCL C
    .language_version:
      - 2
      - 0
    .max_flat_workgroup_size: 32
    .name:           _Z33warp_inclusive_scan_reduce_kernelIiLj32ELj8EENSt9enable_ifIXsr10test_utilsE35device_test_enabled_for_warp_size_vIXT1_EEEvE4typeEPT_S4_S4_
    .private_segment_fixed_size: 0
    .sgpr_count:     18
    .sgpr_spill_count: 0
    .symbol:         _Z33warp_inclusive_scan_reduce_kernelIiLj32ELj8EENSt9enable_ifIXsr10test_utilsE35device_test_enabled_for_warp_size_vIXT1_EEEvE4typeEPT_S4_S4_.kd
    .uniform_work_group_size: 1
    .uses_dynamic_stack: false
    .vgpr_count:     8
    .vgpr_spill_count: 0
    .wavefront_size: 32
    .workgroup_processor_mode: 1
  - .args:
      - .address_space:  global
        .offset:         0
        .size:           8
        .value_kind:     global_buffer
      - .address_space:  global
        .offset:         8
        .size:           8
        .value_kind:     global_buffer
      - .address_space:  global
        .offset:         16
        .size:           8
        .value_kind:     global_buffer
    .group_segment_fixed_size: 0
    .kernarg_segment_align: 8
    .kernarg_segment_size: 24
    .language:       OpenCL C
    .language_version:
      - 2
      - 0
    .max_flat_workgroup_size: 64
    .name:           _Z33warp_inclusive_scan_reduce_kernelIiLj64ELj8EENSt9enable_ifIXsr10test_utilsE35device_test_enabled_for_warp_size_vIXT1_EEEvE4typeEPT_S4_S4_
    .private_segment_fixed_size: 0
    .sgpr_count:     18
    .sgpr_spill_count: 0
    .symbol:         _Z33warp_inclusive_scan_reduce_kernelIiLj64ELj8EENSt9enable_ifIXsr10test_utilsE35device_test_enabled_for_warp_size_vIXT1_EEEvE4typeEPT_S4_S4_.kd
    .uniform_work_group_size: 1
    .uses_dynamic_stack: false
    .vgpr_count:     8
    .vgpr_spill_count: 0
    .wavefront_size: 32
    .workgroup_processor_mode: 1
  - .args:
      - .address_space:  global
        .offset:         0
        .size:           8
        .value_kind:     global_buffer
      - .address_space:  global
        .offset:         8
        .size:           8
        .value_kind:     global_buffer
      - .address_space:  global
        .offset:         16
        .size:           8
        .value_kind:     global_buffer
    .group_segment_fixed_size: 0
    .kernarg_segment_align: 8
    .kernarg_segment_size: 24
    .language:       OpenCL C
    .language_version:
      - 2
      - 0
    .max_flat_workgroup_size: 32
    .name:           _Z33warp_inclusive_scan_reduce_kernelIiLj32ELj4EENSt9enable_ifIXsr10test_utilsE35device_test_enabled_for_warp_size_vIXT1_EEEvE4typeEPT_S4_S4_
    .private_segment_fixed_size: 0
    .sgpr_count:     18
    .sgpr_spill_count: 0
    .symbol:         _Z33warp_inclusive_scan_reduce_kernelIiLj32ELj4EENSt9enable_ifIXsr10test_utilsE35device_test_enabled_for_warp_size_vIXT1_EEEvE4typeEPT_S4_S4_.kd
    .uniform_work_group_size: 1
    .uses_dynamic_stack: false
    .vgpr_count:     8
    .vgpr_spill_count: 0
    .wavefront_size: 32
    .workgroup_processor_mode: 1
  - .args:
      - .address_space:  global
        .offset:         0
        .size:           8
        .value_kind:     global_buffer
      - .address_space:  global
        .offset:         8
        .size:           8
        .value_kind:     global_buffer
      - .address_space:  global
        .offset:         16
        .size:           8
        .value_kind:     global_buffer
    .group_segment_fixed_size: 0
    .kernarg_segment_align: 8
    .kernarg_segment_size: 24
    .language:       OpenCL C
    .language_version:
      - 2
      - 0
    .max_flat_workgroup_size: 64
    .name:           _Z33warp_inclusive_scan_reduce_kernelIiLj64ELj4EENSt9enable_ifIXsr10test_utilsE35device_test_enabled_for_warp_size_vIXT1_EEEvE4typeEPT_S4_S4_
    .private_segment_fixed_size: 0
    .sgpr_count:     18
    .sgpr_spill_count: 0
    .symbol:         _Z33warp_inclusive_scan_reduce_kernelIiLj64ELj4EENSt9enable_ifIXsr10test_utilsE35device_test_enabled_for_warp_size_vIXT1_EEEvE4typeEPT_S4_S4_.kd
    .uniform_work_group_size: 1
    .uses_dynamic_stack: false
    .vgpr_count:     8
    .vgpr_spill_count: 0
    .wavefront_size: 32
    .workgroup_processor_mode: 1
  - .args:
      - .address_space:  global
        .offset:         0
        .size:           8
        .value_kind:     global_buffer
      - .address_space:  global
        .offset:         8
        .size:           8
        .value_kind:     global_buffer
      - .address_space:  global
        .offset:         16
        .size:           8
        .value_kind:     global_buffer
    .group_segment_fixed_size: 0
    .kernarg_segment_align: 8
    .kernarg_segment_size: 24
    .language:       OpenCL C
    .language_version:
      - 2
      - 0
    .max_flat_workgroup_size: 32
    .name:           _Z33warp_inclusive_scan_reduce_kernelIiLj32ELj2EENSt9enable_ifIXsr10test_utilsE35device_test_enabled_for_warp_size_vIXT1_EEEvE4typeEPT_S4_S4_
    .private_segment_fixed_size: 0
    .sgpr_count:     18
    .sgpr_spill_count: 0
    .symbol:         _Z33warp_inclusive_scan_reduce_kernelIiLj32ELj2EENSt9enable_ifIXsr10test_utilsE35device_test_enabled_for_warp_size_vIXT1_EEEvE4typeEPT_S4_S4_.kd
    .uniform_work_group_size: 1
    .uses_dynamic_stack: false
    .vgpr_count:     8
    .vgpr_spill_count: 0
    .wavefront_size: 32
    .workgroup_processor_mode: 1
  - .args:
      - .address_space:  global
        .offset:         0
        .size:           8
        .value_kind:     global_buffer
      - .address_space:  global
        .offset:         8
        .size:           8
        .value_kind:     global_buffer
      - .address_space:  global
        .offset:         16
        .size:           8
        .value_kind:     global_buffer
    .group_segment_fixed_size: 0
    .kernarg_segment_align: 8
    .kernarg_segment_size: 24
    .language:       OpenCL C
    .language_version:
      - 2
      - 0
    .max_flat_workgroup_size: 64
    .name:           _Z33warp_inclusive_scan_reduce_kernelIiLj64ELj2EENSt9enable_ifIXsr10test_utilsE35device_test_enabled_for_warp_size_vIXT1_EEEvE4typeEPT_S4_S4_
    .private_segment_fixed_size: 0
    .sgpr_count:     18
    .sgpr_spill_count: 0
    .symbol:         _Z33warp_inclusive_scan_reduce_kernelIiLj64ELj2EENSt9enable_ifIXsr10test_utilsE35device_test_enabled_for_warp_size_vIXT1_EEEvE4typeEPT_S4_S4_.kd
    .uniform_work_group_size: 1
    .uses_dynamic_stack: false
    .vgpr_count:     8
    .vgpr_spill_count: 0
    .wavefront_size: 32
    .workgroup_processor_mode: 1
  - .args:
      - .address_space:  global
        .offset:         0
        .size:           8
        .value_kind:     global_buffer
      - .address_space:  global
        .offset:         8
        .size:           8
        .value_kind:     global_buffer
      - .offset:         16
        .size:           4
        .value_kind:     by_value
    .group_segment_fixed_size: 0
    .kernarg_segment_align: 8
    .kernarg_segment_size: 20
    .language:       OpenCL C
    .language_version:
      - 2
      - 0
    .max_flat_workgroup_size: 1
    .name:           _Z26warp_exclusive_scan_kernelIfLj1ELj61EENSt9enable_ifIXntsr10test_utilsE35device_test_enabled_for_warp_size_vIXT1_EEEvE4typeEPT_S4_S3_
    .private_segment_fixed_size: 0
    .sgpr_count:     0
    .sgpr_spill_count: 0
    .symbol:         _Z26warp_exclusive_scan_kernelIfLj1ELj61EENSt9enable_ifIXntsr10test_utilsE35device_test_enabled_for_warp_size_vIXT1_EEEvE4typeEPT_S4_S3_.kd
    .uniform_work_group_size: 1
    .uses_dynamic_stack: false
    .vgpr_count:     0
    .vgpr_spill_count: 0
    .wavefront_size: 32
    .workgroup_processor_mode: 1
  - .args:
      - .address_space:  global
        .offset:         0
        .size:           8
        .value_kind:     global_buffer
      - .address_space:  global
        .offset:         8
        .size:           8
        .value_kind:     global_buffer
      - .offset:         16
        .size:           4
        .value_kind:     by_value
    .group_segment_fixed_size: 0
    .kernarg_segment_align: 8
    .kernarg_segment_size: 20
    .language:       OpenCL C
    .language_version:
      - 2
      - 0
    .max_flat_workgroup_size: 61
    .name:           _Z26warp_exclusive_scan_kernelIfLj61ELj61EENSt9enable_ifIXntsr10test_utilsE35device_test_enabled_for_warp_size_vIXT1_EEEvE4typeEPT_S4_S3_
    .private_segment_fixed_size: 0
    .sgpr_count:     0
    .sgpr_spill_count: 0
    .symbol:         _Z26warp_exclusive_scan_kernelIfLj61ELj61EENSt9enable_ifIXntsr10test_utilsE35device_test_enabled_for_warp_size_vIXT1_EEEvE4typeEPT_S4_S3_.kd
    .uniform_work_group_size: 1
    .uses_dynamic_stack: false
    .vgpr_count:     0
    .vgpr_spill_count: 0
    .wavefront_size: 32
    .workgroup_processor_mode: 1
  - .args:
      - .address_space:  global
        .offset:         0
        .size:           8
        .value_kind:     global_buffer
      - .address_space:  global
        .offset:         8
        .size:           8
        .value_kind:     global_buffer
      - .offset:         16
        .size:           4
        .value_kind:     by_value
    .group_segment_fixed_size: 0
    .kernarg_segment_align: 8
    .kernarg_segment_size: 20
    .language:       OpenCL C
    .language_version:
      - 2
      - 0
    .max_flat_workgroup_size: 1
    .name:           _Z26warp_exclusive_scan_kernelIfLj1ELj37EENSt9enable_ifIXntsr10test_utilsE35device_test_enabled_for_warp_size_vIXT1_EEEvE4typeEPT_S4_S3_
    .private_segment_fixed_size: 0
    .sgpr_count:     0
    .sgpr_spill_count: 0
    .symbol:         _Z26warp_exclusive_scan_kernelIfLj1ELj37EENSt9enable_ifIXntsr10test_utilsE35device_test_enabled_for_warp_size_vIXT1_EEEvE4typeEPT_S4_S3_.kd
    .uniform_work_group_size: 1
    .uses_dynamic_stack: false
    .vgpr_count:     0
    .vgpr_spill_count: 0
    .wavefront_size: 32
    .workgroup_processor_mode: 1
  - .args:
      - .address_space:  global
        .offset:         0
        .size:           8
        .value_kind:     global_buffer
      - .address_space:  global
        .offset:         8
        .size:           8
        .value_kind:     global_buffer
      - .offset:         16
        .size:           4
        .value_kind:     by_value
    .group_segment_fixed_size: 0
    .kernarg_segment_align: 8
    .kernarg_segment_size: 20
    .language:       OpenCL C
    .language_version:
      - 2
      - 0
    .max_flat_workgroup_size: 37
    .name:           _Z26warp_exclusive_scan_kernelIfLj37ELj37EENSt9enable_ifIXntsr10test_utilsE35device_test_enabled_for_warp_size_vIXT1_EEEvE4typeEPT_S4_S3_
    .private_segment_fixed_size: 0
    .sgpr_count:     0
    .sgpr_spill_count: 0
    .symbol:         _Z26warp_exclusive_scan_kernelIfLj37ELj37EENSt9enable_ifIXntsr10test_utilsE35device_test_enabled_for_warp_size_vIXT1_EEEvE4typeEPT_S4_S3_.kd
    .uniform_work_group_size: 1
    .uses_dynamic_stack: false
    .vgpr_count:     0
    .vgpr_spill_count: 0
    .wavefront_size: 32
    .workgroup_processor_mode: 1
  - .args:
      - .address_space:  global
        .offset:         0
        .size:           8
        .value_kind:     global_buffer
      - .address_space:  global
        .offset:         8
        .size:           8
        .value_kind:     global_buffer
      - .offset:         16
        .size:           4
        .value_kind:     by_value
      - .offset:         24
        .size:           4
        .value_kind:     hidden_block_count_x
      - .offset:         28
        .size:           4
        .value_kind:     hidden_block_count_y
      - .offset:         32
        .size:           4
        .value_kind:     hidden_block_count_z
      - .offset:         36
        .size:           2
        .value_kind:     hidden_group_size_x
      - .offset:         38
        .size:           2
        .value_kind:     hidden_group_size_y
      - .offset:         40
        .size:           2
        .value_kind:     hidden_group_size_z
      - .offset:         42
        .size:           2
        .value_kind:     hidden_remainder_x
      - .offset:         44
        .size:           2
        .value_kind:     hidden_remainder_y
      - .offset:         46
        .size:           2
        .value_kind:     hidden_remainder_z
      - .offset:         64
        .size:           8
        .value_kind:     hidden_global_offset_x
      - .offset:         72
        .size:           8
        .value_kind:     hidden_global_offset_y
      - .offset:         80
        .size:           8
        .value_kind:     hidden_global_offset_z
      - .offset:         88
        .size:           2
        .value_kind:     hidden_grid_dims
    .group_segment_fixed_size: 120
    .kernarg_segment_align: 8
    .kernarg_segment_size: 280
    .language:       OpenCL C
    .language_version:
      - 2
      - 0
    .max_flat_workgroup_size: 30
    .name:           _Z26warp_exclusive_scan_kernelIfLj30ELj15EENSt9enable_ifIXsr10test_utilsE35device_test_enabled_for_warp_size_vIXT1_EEEvE4typeEPT_S4_S3_
    .private_segment_fixed_size: 0
    .sgpr_count:     18
    .sgpr_spill_count: 0
    .symbol:         _Z26warp_exclusive_scan_kernelIfLj30ELj15EENSt9enable_ifIXsr10test_utilsE35device_test_enabled_for_warp_size_vIXT1_EEEvE4typeEPT_S4_S3_.kd
    .uniform_work_group_size: 1
    .uses_dynamic_stack: false
    .vgpr_count:     7
    .vgpr_spill_count: 0
    .wavefront_size: 32
    .workgroup_processor_mode: 1
  - .args:
      - .address_space:  global
        .offset:         0
        .size:           8
        .value_kind:     global_buffer
      - .address_space:  global
        .offset:         8
        .size:           8
        .value_kind:     global_buffer
      - .offset:         16
        .size:           4
        .value_kind:     by_value
      - .offset:         24
        .size:           4
        .value_kind:     hidden_block_count_x
      - .offset:         28
        .size:           4
        .value_kind:     hidden_block_count_y
      - .offset:         32
        .size:           4
        .value_kind:     hidden_block_count_z
      - .offset:         36
        .size:           2
        .value_kind:     hidden_group_size_x
      - .offset:         38
        .size:           2
        .value_kind:     hidden_group_size_y
      - .offset:         40
        .size:           2
        .value_kind:     hidden_group_size_z
      - .offset:         42
        .size:           2
        .value_kind:     hidden_remainder_x
      - .offset:         44
        .size:           2
        .value_kind:     hidden_remainder_y
      - .offset:         46
        .size:           2
        .value_kind:     hidden_remainder_z
      - .offset:         64
        .size:           8
        .value_kind:     hidden_global_offset_x
      - .offset:         72
        .size:           8
        .value_kind:     hidden_global_offset_y
      - .offset:         80
        .size:           8
        .value_kind:     hidden_global_offset_z
      - .offset:         88
        .size:           2
        .value_kind:     hidden_grid_dims
    .group_segment_fixed_size: 240
    .kernarg_segment_align: 8
    .kernarg_segment_size: 280
    .language:       OpenCL C
    .language_version:
      - 2
      - 0
    .max_flat_workgroup_size: 60
    .name:           _Z26warp_exclusive_scan_kernelIfLj60ELj15EENSt9enable_ifIXsr10test_utilsE35device_test_enabled_for_warp_size_vIXT1_EEEvE4typeEPT_S4_S3_
    .private_segment_fixed_size: 0
    .sgpr_count:     18
    .sgpr_spill_count: 0
    .symbol:         _Z26warp_exclusive_scan_kernelIfLj60ELj15EENSt9enable_ifIXsr10test_utilsE35device_test_enabled_for_warp_size_vIXT1_EEEvE4typeEPT_S4_S3_.kd
    .uniform_work_group_size: 1
    .uses_dynamic_stack: false
    .vgpr_count:     7
    .vgpr_spill_count: 0
    .wavefront_size: 32
    .workgroup_processor_mode: 1
  - .args:
      - .address_space:  global
        .offset:         0
        .size:           8
        .value_kind:     global_buffer
      - .address_space:  global
        .offset:         8
        .size:           8
        .value_kind:     global_buffer
      - .offset:         16
        .size:           4
        .value_kind:     by_value
      - .offset:         24
        .size:           4
        .value_kind:     hidden_block_count_x
      - .offset:         28
        .size:           4
        .value_kind:     hidden_block_count_y
      - .offset:         32
        .size:           4
        .value_kind:     hidden_block_count_z
      - .offset:         36
        .size:           2
        .value_kind:     hidden_group_size_x
      - .offset:         38
        .size:           2
        .value_kind:     hidden_group_size_y
      - .offset:         40
        .size:           2
        .value_kind:     hidden_group_size_z
      - .offset:         42
        .size:           2
        .value_kind:     hidden_remainder_x
      - .offset:         44
        .size:           2
        .value_kind:     hidden_remainder_y
      - .offset:         46
        .size:           2
        .value_kind:     hidden_remainder_z
      - .offset:         64
        .size:           8
        .value_kind:     hidden_global_offset_x
      - .offset:         72
        .size:           8
        .value_kind:     hidden_global_offset_y
      - .offset:         80
        .size:           8
        .value_kind:     hidden_global_offset_z
      - .offset:         88
        .size:           2
        .value_kind:     hidden_grid_dims
    .group_segment_fixed_size: 112
    .kernarg_segment_align: 8
    .kernarg_segment_size: 280
    .language:       OpenCL C
    .language_version:
      - 2
      - 0
    .max_flat_workgroup_size: 28
    .name:           _Z26warp_exclusive_scan_kernelIfLj28ELj7EENSt9enable_ifIXsr10test_utilsE35device_test_enabled_for_warp_size_vIXT1_EEEvE4typeEPT_S4_S3_
    .private_segment_fixed_size: 0
    .sgpr_count:     18
    .sgpr_spill_count: 0
    .symbol:         _Z26warp_exclusive_scan_kernelIfLj28ELj7EENSt9enable_ifIXsr10test_utilsE35device_test_enabled_for_warp_size_vIXT1_EEEvE4typeEPT_S4_S3_.kd
    .uniform_work_group_size: 1
    .uses_dynamic_stack: false
    .vgpr_count:     7
    .vgpr_spill_count: 0
    .wavefront_size: 32
    .workgroup_processor_mode: 1
  - .args:
      - .address_space:  global
        .offset:         0
        .size:           8
        .value_kind:     global_buffer
      - .address_space:  global
        .offset:         8
        .size:           8
        .value_kind:     global_buffer
      - .offset:         16
        .size:           4
        .value_kind:     by_value
      - .offset:         24
        .size:           4
        .value_kind:     hidden_block_count_x
      - .offset:         28
        .size:           4
        .value_kind:     hidden_block_count_y
      - .offset:         32
        .size:           4
        .value_kind:     hidden_block_count_z
      - .offset:         36
        .size:           2
        .value_kind:     hidden_group_size_x
      - .offset:         38
        .size:           2
        .value_kind:     hidden_group_size_y
      - .offset:         40
        .size:           2
        .value_kind:     hidden_group_size_z
      - .offset:         42
        .size:           2
        .value_kind:     hidden_remainder_x
      - .offset:         44
        .size:           2
        .value_kind:     hidden_remainder_y
      - .offset:         46
        .size:           2
        .value_kind:     hidden_remainder_z
      - .offset:         64
        .size:           8
        .value_kind:     hidden_global_offset_x
      - .offset:         72
        .size:           8
        .value_kind:     hidden_global_offset_y
      - .offset:         80
        .size:           8
        .value_kind:     hidden_global_offset_z
      - .offset:         88
        .size:           2
        .value_kind:     hidden_grid_dims
    .group_segment_fixed_size: 252
    .kernarg_segment_align: 8
    .kernarg_segment_size: 280
    .language:       OpenCL C
    .language_version:
      - 2
      - 0
    .max_flat_workgroup_size: 63
    .name:           _Z26warp_exclusive_scan_kernelIfLj63ELj7EENSt9enable_ifIXsr10test_utilsE35device_test_enabled_for_warp_size_vIXT1_EEEvE4typeEPT_S4_S3_
    .private_segment_fixed_size: 0
    .sgpr_count:     18
    .sgpr_spill_count: 0
    .symbol:         _Z26warp_exclusive_scan_kernelIfLj63ELj7EENSt9enable_ifIXsr10test_utilsE35device_test_enabled_for_warp_size_vIXT1_EEEvE4typeEPT_S4_S3_.kd
    .uniform_work_group_size: 1
    .uses_dynamic_stack: false
    .vgpr_count:     7
    .vgpr_spill_count: 0
    .wavefront_size: 32
    .workgroup_processor_mode: 1
  - .args:
      - .address_space:  global
        .offset:         0
        .size:           8
        .value_kind:     global_buffer
      - .address_space:  global
        .offset:         8
        .size:           8
        .value_kind:     global_buffer
      - .offset:         16
        .size:           4
        .value_kind:     by_value
      - .offset:         24
        .size:           4
        .value_kind:     hidden_block_count_x
      - .offset:         28
        .size:           4
        .value_kind:     hidden_block_count_y
      - .offset:         32
        .size:           4
        .value_kind:     hidden_block_count_z
      - .offset:         36
        .size:           2
        .value_kind:     hidden_group_size_x
      - .offset:         38
        .size:           2
        .value_kind:     hidden_group_size_y
      - .offset:         40
        .size:           2
        .value_kind:     hidden_group_size_z
      - .offset:         42
        .size:           2
        .value_kind:     hidden_remainder_x
      - .offset:         44
        .size:           2
        .value_kind:     hidden_remainder_y
      - .offset:         46
        .size:           2
        .value_kind:     hidden_remainder_z
      - .offset:         64
        .size:           8
        .value_kind:     hidden_global_offset_x
      - .offset:         72
        .size:           8
        .value_kind:     hidden_global_offset_y
      - .offset:         80
        .size:           8
        .value_kind:     hidden_global_offset_z
      - .offset:         88
        .size:           2
        .value_kind:     hidden_grid_dims
    .group_segment_fixed_size: 120
    .kernarg_segment_align: 8
    .kernarg_segment_size: 280
    .language:       OpenCL C
    .language_version:
      - 2
      - 0
    .max_flat_workgroup_size: 30
    .name:           _Z26warp_exclusive_scan_kernelIfLj30ELj3EENSt9enable_ifIXsr10test_utilsE35device_test_enabled_for_warp_size_vIXT1_EEEvE4typeEPT_S4_S3_
    .private_segment_fixed_size: 0
    .sgpr_count:     18
    .sgpr_spill_count: 0
    .symbol:         _Z26warp_exclusive_scan_kernelIfLj30ELj3EENSt9enable_ifIXsr10test_utilsE35device_test_enabled_for_warp_size_vIXT1_EEEvE4typeEPT_S4_S3_.kd
    .uniform_work_group_size: 1
    .uses_dynamic_stack: false
    .vgpr_count:     7
    .vgpr_spill_count: 0
    .wavefront_size: 32
    .workgroup_processor_mode: 1
  - .args:
      - .address_space:  global
        .offset:         0
        .size:           8
        .value_kind:     global_buffer
      - .address_space:  global
        .offset:         8
        .size:           8
        .value_kind:     global_buffer
      - .offset:         16
        .size:           4
        .value_kind:     by_value
      - .offset:         24
        .size:           4
        .value_kind:     hidden_block_count_x
      - .offset:         28
        .size:           4
        .value_kind:     hidden_block_count_y
      - .offset:         32
        .size:           4
        .value_kind:     hidden_block_count_z
      - .offset:         36
        .size:           2
        .value_kind:     hidden_group_size_x
      - .offset:         38
        .size:           2
        .value_kind:     hidden_group_size_y
      - .offset:         40
        .size:           2
        .value_kind:     hidden_group_size_z
      - .offset:         42
        .size:           2
        .value_kind:     hidden_remainder_x
      - .offset:         44
        .size:           2
        .value_kind:     hidden_remainder_y
      - .offset:         46
        .size:           2
        .value_kind:     hidden_remainder_z
      - .offset:         64
        .size:           8
        .value_kind:     hidden_global_offset_x
      - .offset:         72
        .size:           8
        .value_kind:     hidden_global_offset_y
      - .offset:         80
        .size:           8
        .value_kind:     hidden_global_offset_z
      - .offset:         88
        .size:           2
        .value_kind:     hidden_grid_dims
    .group_segment_fixed_size: 252
    .kernarg_segment_align: 8
    .kernarg_segment_size: 280
    .language:       OpenCL C
    .language_version:
      - 2
      - 0
    .max_flat_workgroup_size: 63
    .name:           _Z26warp_exclusive_scan_kernelIfLj63ELj3EENSt9enable_ifIXsr10test_utilsE35device_test_enabled_for_warp_size_vIXT1_EEEvE4typeEPT_S4_S3_
    .private_segment_fixed_size: 0
    .sgpr_count:     18
    .sgpr_spill_count: 0
    .symbol:         _Z26warp_exclusive_scan_kernelIfLj63ELj3EENSt9enable_ifIXsr10test_utilsE35device_test_enabled_for_warp_size_vIXT1_EEEvE4typeEPT_S4_S3_.kd
    .uniform_work_group_size: 1
    .uses_dynamic_stack: false
    .vgpr_count:     7
    .vgpr_spill_count: 0
    .wavefront_size: 32
    .workgroup_processor_mode: 1
  - .args:
      - .address_space:  global
        .offset:         0
        .size:           8
        .value_kind:     global_buffer
      - .address_space:  global
        .offset:         8
        .size:           8
        .value_kind:     global_buffer
      - .offset:         16
        .size:           4
        .value_kind:     by_value
    .group_segment_fixed_size: 0
    .kernarg_segment_align: 8
    .kernarg_segment_size: 20
    .language:       OpenCL C
    .language_version:
      - 2
      - 0
    .max_flat_workgroup_size: 1
    .name:           _Z26warp_exclusive_scan_kernelIiLj1ELj61EENSt9enable_ifIXntsr10test_utilsE35device_test_enabled_for_warp_size_vIXT1_EEEvE4typeEPT_S4_S3_
    .private_segment_fixed_size: 0
    .sgpr_count:     0
    .sgpr_spill_count: 0
    .symbol:         _Z26warp_exclusive_scan_kernelIiLj1ELj61EENSt9enable_ifIXntsr10test_utilsE35device_test_enabled_for_warp_size_vIXT1_EEEvE4typeEPT_S4_S3_.kd
    .uniform_work_group_size: 1
    .uses_dynamic_stack: false
    .vgpr_count:     0
    .vgpr_spill_count: 0
    .wavefront_size: 32
    .workgroup_processor_mode: 1
  - .args:
      - .address_space:  global
        .offset:         0
        .size:           8
        .value_kind:     global_buffer
      - .address_space:  global
        .offset:         8
        .size:           8
        .value_kind:     global_buffer
      - .offset:         16
        .size:           4
        .value_kind:     by_value
    .group_segment_fixed_size: 0
    .kernarg_segment_align: 8
    .kernarg_segment_size: 20
    .language:       OpenCL C
    .language_version:
      - 2
      - 0
    .max_flat_workgroup_size: 61
    .name:           _Z26warp_exclusive_scan_kernelIiLj61ELj61EENSt9enable_ifIXntsr10test_utilsE35device_test_enabled_for_warp_size_vIXT1_EEEvE4typeEPT_S4_S3_
    .private_segment_fixed_size: 0
    .sgpr_count:     0
    .sgpr_spill_count: 0
    .symbol:         _Z26warp_exclusive_scan_kernelIiLj61ELj61EENSt9enable_ifIXntsr10test_utilsE35device_test_enabled_for_warp_size_vIXT1_EEEvE4typeEPT_S4_S3_.kd
    .uniform_work_group_size: 1
    .uses_dynamic_stack: false
    .vgpr_count:     0
    .vgpr_spill_count: 0
    .wavefront_size: 32
    .workgroup_processor_mode: 1
  - .args:
      - .address_space:  global
        .offset:         0
        .size:           8
        .value_kind:     global_buffer
      - .address_space:  global
        .offset:         8
        .size:           8
        .value_kind:     global_buffer
      - .offset:         16
        .size:           4
        .value_kind:     by_value
    .group_segment_fixed_size: 0
    .kernarg_segment_align: 8
    .kernarg_segment_size: 20
    .language:       OpenCL C
    .language_version:
      - 2
      - 0
    .max_flat_workgroup_size: 1
    .name:           _Z26warp_exclusive_scan_kernelIiLj1ELj37EENSt9enable_ifIXntsr10test_utilsE35device_test_enabled_for_warp_size_vIXT1_EEEvE4typeEPT_S4_S3_
    .private_segment_fixed_size: 0
    .sgpr_count:     0
    .sgpr_spill_count: 0
    .symbol:         _Z26warp_exclusive_scan_kernelIiLj1ELj37EENSt9enable_ifIXntsr10test_utilsE35device_test_enabled_for_warp_size_vIXT1_EEEvE4typeEPT_S4_S3_.kd
    .uniform_work_group_size: 1
    .uses_dynamic_stack: false
    .vgpr_count:     0
    .vgpr_spill_count: 0
    .wavefront_size: 32
    .workgroup_processor_mode: 1
  - .args:
      - .address_space:  global
        .offset:         0
        .size:           8
        .value_kind:     global_buffer
      - .address_space:  global
        .offset:         8
        .size:           8
        .value_kind:     global_buffer
      - .offset:         16
        .size:           4
        .value_kind:     by_value
    .group_segment_fixed_size: 0
    .kernarg_segment_align: 8
    .kernarg_segment_size: 20
    .language:       OpenCL C
    .language_version:
      - 2
      - 0
    .max_flat_workgroup_size: 37
    .name:           _Z26warp_exclusive_scan_kernelIiLj37ELj37EENSt9enable_ifIXntsr10test_utilsE35device_test_enabled_for_warp_size_vIXT1_EEEvE4typeEPT_S4_S3_
    .private_segment_fixed_size: 0
    .sgpr_count:     0
    .sgpr_spill_count: 0
    .symbol:         _Z26warp_exclusive_scan_kernelIiLj37ELj37EENSt9enable_ifIXntsr10test_utilsE35device_test_enabled_for_warp_size_vIXT1_EEEvE4typeEPT_S4_S3_.kd
    .uniform_work_group_size: 1
    .uses_dynamic_stack: false
    .vgpr_count:     0
    .vgpr_spill_count: 0
    .wavefront_size: 32
    .workgroup_processor_mode: 1
  - .args:
      - .address_space:  global
        .offset:         0
        .size:           8
        .value_kind:     global_buffer
      - .address_space:  global
        .offset:         8
        .size:           8
        .value_kind:     global_buffer
      - .offset:         16
        .size:           4
        .value_kind:     by_value
      - .offset:         24
        .size:           4
        .value_kind:     hidden_block_count_x
      - .offset:         28
        .size:           4
        .value_kind:     hidden_block_count_y
      - .offset:         32
        .size:           4
        .value_kind:     hidden_block_count_z
      - .offset:         36
        .size:           2
        .value_kind:     hidden_group_size_x
      - .offset:         38
        .size:           2
        .value_kind:     hidden_group_size_y
      - .offset:         40
        .size:           2
        .value_kind:     hidden_group_size_z
      - .offset:         42
        .size:           2
        .value_kind:     hidden_remainder_x
      - .offset:         44
        .size:           2
        .value_kind:     hidden_remainder_y
      - .offset:         46
        .size:           2
        .value_kind:     hidden_remainder_z
      - .offset:         64
        .size:           8
        .value_kind:     hidden_global_offset_x
      - .offset:         72
        .size:           8
        .value_kind:     hidden_global_offset_y
      - .offset:         80
        .size:           8
        .value_kind:     hidden_global_offset_z
      - .offset:         88
        .size:           2
        .value_kind:     hidden_grid_dims
    .group_segment_fixed_size: 120
    .kernarg_segment_align: 8
    .kernarg_segment_size: 280
    .language:       OpenCL C
    .language_version:
      - 2
      - 0
    .max_flat_workgroup_size: 30
    .name:           _Z26warp_exclusive_scan_kernelIiLj30ELj15EENSt9enable_ifIXsr10test_utilsE35device_test_enabled_for_warp_size_vIXT1_EEEvE4typeEPT_S4_S3_
    .private_segment_fixed_size: 0
    .sgpr_count:     18
    .sgpr_spill_count: 0
    .symbol:         _Z26warp_exclusive_scan_kernelIiLj30ELj15EENSt9enable_ifIXsr10test_utilsE35device_test_enabled_for_warp_size_vIXT1_EEEvE4typeEPT_S4_S3_.kd
    .uniform_work_group_size: 1
    .uses_dynamic_stack: false
    .vgpr_count:     7
    .vgpr_spill_count: 0
    .wavefront_size: 32
    .workgroup_processor_mode: 1
  - .args:
      - .address_space:  global
        .offset:         0
        .size:           8
        .value_kind:     global_buffer
      - .address_space:  global
        .offset:         8
        .size:           8
        .value_kind:     global_buffer
      - .offset:         16
        .size:           4
        .value_kind:     by_value
      - .offset:         24
        .size:           4
        .value_kind:     hidden_block_count_x
      - .offset:         28
        .size:           4
        .value_kind:     hidden_block_count_y
      - .offset:         32
        .size:           4
        .value_kind:     hidden_block_count_z
      - .offset:         36
        .size:           2
        .value_kind:     hidden_group_size_x
      - .offset:         38
        .size:           2
        .value_kind:     hidden_group_size_y
      - .offset:         40
        .size:           2
        .value_kind:     hidden_group_size_z
      - .offset:         42
        .size:           2
        .value_kind:     hidden_remainder_x
      - .offset:         44
        .size:           2
        .value_kind:     hidden_remainder_y
      - .offset:         46
        .size:           2
        .value_kind:     hidden_remainder_z
      - .offset:         64
        .size:           8
        .value_kind:     hidden_global_offset_x
      - .offset:         72
        .size:           8
        .value_kind:     hidden_global_offset_y
      - .offset:         80
        .size:           8
        .value_kind:     hidden_global_offset_z
      - .offset:         88
        .size:           2
        .value_kind:     hidden_grid_dims
    .group_segment_fixed_size: 240
    .kernarg_segment_align: 8
    .kernarg_segment_size: 280
    .language:       OpenCL C
    .language_version:
      - 2
      - 0
    .max_flat_workgroup_size: 60
    .name:           _Z26warp_exclusive_scan_kernelIiLj60ELj15EENSt9enable_ifIXsr10test_utilsE35device_test_enabled_for_warp_size_vIXT1_EEEvE4typeEPT_S4_S3_
    .private_segment_fixed_size: 0
    .sgpr_count:     18
    .sgpr_spill_count: 0
    .symbol:         _Z26warp_exclusive_scan_kernelIiLj60ELj15EENSt9enable_ifIXsr10test_utilsE35device_test_enabled_for_warp_size_vIXT1_EEEvE4typeEPT_S4_S3_.kd
    .uniform_work_group_size: 1
    .uses_dynamic_stack: false
    .vgpr_count:     7
    .vgpr_spill_count: 0
    .wavefront_size: 32
    .workgroup_processor_mode: 1
  - .args:
      - .address_space:  global
        .offset:         0
        .size:           8
        .value_kind:     global_buffer
      - .address_space:  global
        .offset:         8
        .size:           8
        .value_kind:     global_buffer
      - .offset:         16
        .size:           4
        .value_kind:     by_value
      - .offset:         24
        .size:           4
        .value_kind:     hidden_block_count_x
      - .offset:         28
        .size:           4
        .value_kind:     hidden_block_count_y
      - .offset:         32
        .size:           4
        .value_kind:     hidden_block_count_z
      - .offset:         36
        .size:           2
        .value_kind:     hidden_group_size_x
      - .offset:         38
        .size:           2
        .value_kind:     hidden_group_size_y
      - .offset:         40
        .size:           2
        .value_kind:     hidden_group_size_z
      - .offset:         42
        .size:           2
        .value_kind:     hidden_remainder_x
      - .offset:         44
        .size:           2
        .value_kind:     hidden_remainder_y
      - .offset:         46
        .size:           2
        .value_kind:     hidden_remainder_z
      - .offset:         64
        .size:           8
        .value_kind:     hidden_global_offset_x
      - .offset:         72
        .size:           8
        .value_kind:     hidden_global_offset_y
      - .offset:         80
        .size:           8
        .value_kind:     hidden_global_offset_z
      - .offset:         88
        .size:           2
        .value_kind:     hidden_grid_dims
    .group_segment_fixed_size: 112
    .kernarg_segment_align: 8
    .kernarg_segment_size: 280
    .language:       OpenCL C
    .language_version:
      - 2
      - 0
    .max_flat_workgroup_size: 28
    .name:           _Z26warp_exclusive_scan_kernelIiLj28ELj7EENSt9enable_ifIXsr10test_utilsE35device_test_enabled_for_warp_size_vIXT1_EEEvE4typeEPT_S4_S3_
    .private_segment_fixed_size: 0
    .sgpr_count:     18
    .sgpr_spill_count: 0
    .symbol:         _Z26warp_exclusive_scan_kernelIiLj28ELj7EENSt9enable_ifIXsr10test_utilsE35device_test_enabled_for_warp_size_vIXT1_EEEvE4typeEPT_S4_S3_.kd
    .uniform_work_group_size: 1
    .uses_dynamic_stack: false
    .vgpr_count:     7
    .vgpr_spill_count: 0
    .wavefront_size: 32
    .workgroup_processor_mode: 1
  - .args:
      - .address_space:  global
        .offset:         0
        .size:           8
        .value_kind:     global_buffer
      - .address_space:  global
        .offset:         8
        .size:           8
        .value_kind:     global_buffer
      - .offset:         16
        .size:           4
        .value_kind:     by_value
      - .offset:         24
        .size:           4
        .value_kind:     hidden_block_count_x
      - .offset:         28
        .size:           4
        .value_kind:     hidden_block_count_y
      - .offset:         32
        .size:           4
        .value_kind:     hidden_block_count_z
      - .offset:         36
        .size:           2
        .value_kind:     hidden_group_size_x
      - .offset:         38
        .size:           2
        .value_kind:     hidden_group_size_y
      - .offset:         40
        .size:           2
        .value_kind:     hidden_group_size_z
      - .offset:         42
        .size:           2
        .value_kind:     hidden_remainder_x
      - .offset:         44
        .size:           2
        .value_kind:     hidden_remainder_y
      - .offset:         46
        .size:           2
        .value_kind:     hidden_remainder_z
      - .offset:         64
        .size:           8
        .value_kind:     hidden_global_offset_x
      - .offset:         72
        .size:           8
        .value_kind:     hidden_global_offset_y
      - .offset:         80
        .size:           8
        .value_kind:     hidden_global_offset_z
      - .offset:         88
        .size:           2
        .value_kind:     hidden_grid_dims
    .group_segment_fixed_size: 252
    .kernarg_segment_align: 8
    .kernarg_segment_size: 280
    .language:       OpenCL C
    .language_version:
      - 2
      - 0
    .max_flat_workgroup_size: 63
    .name:           _Z26warp_exclusive_scan_kernelIiLj63ELj7EENSt9enable_ifIXsr10test_utilsE35device_test_enabled_for_warp_size_vIXT1_EEEvE4typeEPT_S4_S3_
    .private_segment_fixed_size: 0
    .sgpr_count:     18
    .sgpr_spill_count: 0
    .symbol:         _Z26warp_exclusive_scan_kernelIiLj63ELj7EENSt9enable_ifIXsr10test_utilsE35device_test_enabled_for_warp_size_vIXT1_EEEvE4typeEPT_S4_S3_.kd
    .uniform_work_group_size: 1
    .uses_dynamic_stack: false
    .vgpr_count:     7
    .vgpr_spill_count: 0
    .wavefront_size: 32
    .workgroup_processor_mode: 1
  - .args:
      - .address_space:  global
        .offset:         0
        .size:           8
        .value_kind:     global_buffer
      - .address_space:  global
        .offset:         8
        .size:           8
        .value_kind:     global_buffer
      - .offset:         16
        .size:           4
        .value_kind:     by_value
      - .offset:         24
        .size:           4
        .value_kind:     hidden_block_count_x
      - .offset:         28
        .size:           4
        .value_kind:     hidden_block_count_y
      - .offset:         32
        .size:           4
        .value_kind:     hidden_block_count_z
      - .offset:         36
        .size:           2
        .value_kind:     hidden_group_size_x
      - .offset:         38
        .size:           2
        .value_kind:     hidden_group_size_y
      - .offset:         40
        .size:           2
        .value_kind:     hidden_group_size_z
      - .offset:         42
        .size:           2
        .value_kind:     hidden_remainder_x
      - .offset:         44
        .size:           2
        .value_kind:     hidden_remainder_y
      - .offset:         46
        .size:           2
        .value_kind:     hidden_remainder_z
      - .offset:         64
        .size:           8
        .value_kind:     hidden_global_offset_x
      - .offset:         72
        .size:           8
        .value_kind:     hidden_global_offset_y
      - .offset:         80
        .size:           8
        .value_kind:     hidden_global_offset_z
      - .offset:         88
        .size:           2
        .value_kind:     hidden_grid_dims
    .group_segment_fixed_size: 120
    .kernarg_segment_align: 8
    .kernarg_segment_size: 280
    .language:       OpenCL C
    .language_version:
      - 2
      - 0
    .max_flat_workgroup_size: 30
    .name:           _Z26warp_exclusive_scan_kernelIiLj30ELj3EENSt9enable_ifIXsr10test_utilsE35device_test_enabled_for_warp_size_vIXT1_EEEvE4typeEPT_S4_S3_
    .private_segment_fixed_size: 0
    .sgpr_count:     18
    .sgpr_spill_count: 0
    .symbol:         _Z26warp_exclusive_scan_kernelIiLj30ELj3EENSt9enable_ifIXsr10test_utilsE35device_test_enabled_for_warp_size_vIXT1_EEEvE4typeEPT_S4_S3_.kd
    .uniform_work_group_size: 1
    .uses_dynamic_stack: false
    .vgpr_count:     7
    .vgpr_spill_count: 0
    .wavefront_size: 32
    .workgroup_processor_mode: 1
  - .args:
      - .address_space:  global
        .offset:         0
        .size:           8
        .value_kind:     global_buffer
      - .address_space:  global
        .offset:         8
        .size:           8
        .value_kind:     global_buffer
      - .offset:         16
        .size:           4
        .value_kind:     by_value
      - .offset:         24
        .size:           4
        .value_kind:     hidden_block_count_x
      - .offset:         28
        .size:           4
        .value_kind:     hidden_block_count_y
      - .offset:         32
        .size:           4
        .value_kind:     hidden_block_count_z
      - .offset:         36
        .size:           2
        .value_kind:     hidden_group_size_x
      - .offset:         38
        .size:           2
        .value_kind:     hidden_group_size_y
      - .offset:         40
        .size:           2
        .value_kind:     hidden_group_size_z
      - .offset:         42
        .size:           2
        .value_kind:     hidden_remainder_x
      - .offset:         44
        .size:           2
        .value_kind:     hidden_remainder_y
      - .offset:         46
        .size:           2
        .value_kind:     hidden_remainder_z
      - .offset:         64
        .size:           8
        .value_kind:     hidden_global_offset_x
      - .offset:         72
        .size:           8
        .value_kind:     hidden_global_offset_y
      - .offset:         80
        .size:           8
        .value_kind:     hidden_global_offset_z
      - .offset:         88
        .size:           2
        .value_kind:     hidden_grid_dims
    .group_segment_fixed_size: 252
    .kernarg_segment_align: 8
    .kernarg_segment_size: 280
    .language:       OpenCL C
    .language_version:
      - 2
      - 0
    .max_flat_workgroup_size: 63
    .name:           _Z26warp_exclusive_scan_kernelIiLj63ELj3EENSt9enable_ifIXsr10test_utilsE35device_test_enabled_for_warp_size_vIXT1_EEEvE4typeEPT_S4_S3_
    .private_segment_fixed_size: 0
    .sgpr_count:     18
    .sgpr_spill_count: 0
    .symbol:         _Z26warp_exclusive_scan_kernelIiLj63ELj3EENSt9enable_ifIXsr10test_utilsE35device_test_enabled_for_warp_size_vIXT1_EEEvE4typeEPT_S4_S3_.kd
    .uniform_work_group_size: 1
    .uses_dynamic_stack: false
    .vgpr_count:     7
    .vgpr_spill_count: 0
    .wavefront_size: 32
    .workgroup_processor_mode: 1
  - .args:
      - .address_space:  global
        .offset:         0
        .size:           8
        .value_kind:     global_buffer
      - .address_space:  global
        .offset:         8
        .size:           8
        .value_kind:     global_buffer
      - .offset:         16
        .size:           2
        .value_kind:     by_value
    .group_segment_fixed_size: 0
    .kernarg_segment_align: 8
    .kernarg_segment_size: 20
    .language:       OpenCL C
    .language_version:
      - 2
      - 0
    .max_flat_workgroup_size: 256
    .name:           _Z26warp_exclusive_scan_kernelI12hip_bfloat16Lj256ELj64EENSt9enable_ifIXntsr10test_utilsE35device_test_enabled_for_warp_size_vIXT1_EEEvE4typeEPT_S5_S4_
    .private_segment_fixed_size: 0
    .sgpr_count:     0
    .sgpr_spill_count: 0
    .symbol:         _Z26warp_exclusive_scan_kernelI12hip_bfloat16Lj256ELj64EENSt9enable_ifIXntsr10test_utilsE35device_test_enabled_for_warp_size_vIXT1_EEEvE4typeEPT_S5_S4_.kd
    .uniform_work_group_size: 1
    .uses_dynamic_stack: false
    .vgpr_count:     0
    .vgpr_spill_count: 0
    .wavefront_size: 32
    .workgroup_processor_mode: 1
  - .args:
      - .address_space:  global
        .offset:         0
        .size:           8
        .value_kind:     global_buffer
      - .address_space:  global
        .offset:         8
        .size:           8
        .value_kind:     global_buffer
      - .offset:         16
        .size:           2
        .value_kind:     by_value
      - .offset:         24
        .size:           4
        .value_kind:     hidden_block_count_x
      - .offset:         28
        .size:           4
        .value_kind:     hidden_block_count_y
      - .offset:         32
        .size:           4
        .value_kind:     hidden_block_count_z
      - .offset:         36
        .size:           2
        .value_kind:     hidden_group_size_x
      - .offset:         38
        .size:           2
        .value_kind:     hidden_group_size_y
      - .offset:         40
        .size:           2
        .value_kind:     hidden_group_size_z
      - .offset:         42
        .size:           2
        .value_kind:     hidden_remainder_x
      - .offset:         44
        .size:           2
        .value_kind:     hidden_remainder_y
      - .offset:         46
        .size:           2
        .value_kind:     hidden_remainder_z
      - .offset:         64
        .size:           8
        .value_kind:     hidden_global_offset_x
      - .offset:         72
        .size:           8
        .value_kind:     hidden_global_offset_y
      - .offset:         80
        .size:           8
        .value_kind:     hidden_global_offset_z
      - .offset:         88
        .size:           2
        .value_kind:     hidden_grid_dims
    .group_segment_fixed_size: 0
    .kernarg_segment_align: 8
    .kernarg_segment_size: 280
    .language:       OpenCL C
    .language_version:
      - 2
      - 0
    .max_flat_workgroup_size: 128
    .name:           _Z26warp_exclusive_scan_kernelI12hip_bfloat16Lj128ELj32EENSt9enable_ifIXsr10test_utilsE35device_test_enabled_for_warp_size_vIXT1_EEEvE4typeEPT_S5_S4_
    .private_segment_fixed_size: 0
    .sgpr_count:     18
    .sgpr_spill_count: 0
    .symbol:         _Z26warp_exclusive_scan_kernelI12hip_bfloat16Lj128ELj32EENSt9enable_ifIXsr10test_utilsE35device_test_enabled_for_warp_size_vIXT1_EEEvE4typeEPT_S5_S4_.kd
    .uniform_work_group_size: 1
    .uses_dynamic_stack: false
    .vgpr_count:     9
    .vgpr_spill_count: 0
    .wavefront_size: 32
    .workgroup_processor_mode: 1
  - .args:
      - .address_space:  global
        .offset:         0
        .size:           8
        .value_kind:     global_buffer
      - .address_space:  global
        .offset:         8
        .size:           8
        .value_kind:     global_buffer
      - .offset:         16
        .size:           2
        .value_kind:     by_value
      - .offset:         24
        .size:           4
        .value_kind:     hidden_block_count_x
      - .offset:         28
        .size:           4
        .value_kind:     hidden_block_count_y
      - .offset:         32
        .size:           4
        .value_kind:     hidden_block_count_z
      - .offset:         36
        .size:           2
        .value_kind:     hidden_group_size_x
      - .offset:         38
        .size:           2
        .value_kind:     hidden_group_size_y
      - .offset:         40
        .size:           2
        .value_kind:     hidden_group_size_z
      - .offset:         42
        .size:           2
        .value_kind:     hidden_remainder_x
      - .offset:         44
        .size:           2
        .value_kind:     hidden_remainder_y
      - .offset:         46
        .size:           2
        .value_kind:     hidden_remainder_z
      - .offset:         64
        .size:           8
        .value_kind:     hidden_global_offset_x
      - .offset:         72
        .size:           8
        .value_kind:     hidden_global_offset_y
      - .offset:         80
        .size:           8
        .value_kind:     hidden_global_offset_z
      - .offset:         88
        .size:           2
        .value_kind:     hidden_grid_dims
    .group_segment_fixed_size: 0
    .kernarg_segment_align: 8
    .kernarg_segment_size: 280
    .language:       OpenCL C
    .language_version:
      - 2
      - 0
    .max_flat_workgroup_size: 64
    .name:           _Z26warp_exclusive_scan_kernelI12hip_bfloat16Lj64ELj16EENSt9enable_ifIXsr10test_utilsE35device_test_enabled_for_warp_size_vIXT1_EEEvE4typeEPT_S5_S4_
    .private_segment_fixed_size: 0
    .sgpr_count:     18
    .sgpr_spill_count: 0
    .symbol:         _Z26warp_exclusive_scan_kernelI12hip_bfloat16Lj64ELj16EENSt9enable_ifIXsr10test_utilsE35device_test_enabled_for_warp_size_vIXT1_EEEvE4typeEPT_S5_S4_.kd
    .uniform_work_group_size: 1
    .uses_dynamic_stack: false
    .vgpr_count:     9
    .vgpr_spill_count: 0
    .wavefront_size: 32
    .workgroup_processor_mode: 1
  - .args:
      - .address_space:  global
        .offset:         0
        .size:           8
        .value_kind:     global_buffer
      - .address_space:  global
        .offset:         8
        .size:           8
        .value_kind:     global_buffer
      - .offset:         16
        .size:           2
        .value_kind:     by_value
      - .offset:         24
        .size:           4
        .value_kind:     hidden_block_count_x
      - .offset:         28
        .size:           4
        .value_kind:     hidden_block_count_y
      - .offset:         32
        .size:           4
        .value_kind:     hidden_block_count_z
      - .offset:         36
        .size:           2
        .value_kind:     hidden_group_size_x
      - .offset:         38
        .size:           2
        .value_kind:     hidden_group_size_y
      - .offset:         40
        .size:           2
        .value_kind:     hidden_group_size_z
      - .offset:         42
        .size:           2
        .value_kind:     hidden_remainder_x
      - .offset:         44
        .size:           2
        .value_kind:     hidden_remainder_y
      - .offset:         46
        .size:           2
        .value_kind:     hidden_remainder_z
      - .offset:         64
        .size:           8
        .value_kind:     hidden_global_offset_x
      - .offset:         72
        .size:           8
        .value_kind:     hidden_global_offset_y
      - .offset:         80
        .size:           8
        .value_kind:     hidden_global_offset_z
      - .offset:         88
        .size:           2
        .value_kind:     hidden_grid_dims
    .group_segment_fixed_size: 0
    .kernarg_segment_align: 8
    .kernarg_segment_size: 280
    .language:       OpenCL C
    .language_version:
      - 2
      - 0
    .max_flat_workgroup_size: 32
    .name:           _Z26warp_exclusive_scan_kernelI12hip_bfloat16Lj32ELj8EENSt9enable_ifIXsr10test_utilsE35device_test_enabled_for_warp_size_vIXT1_EEEvE4typeEPT_S5_S4_
    .private_segment_fixed_size: 0
    .sgpr_count:     18
    .sgpr_spill_count: 0
    .symbol:         _Z26warp_exclusive_scan_kernelI12hip_bfloat16Lj32ELj8EENSt9enable_ifIXsr10test_utilsE35device_test_enabled_for_warp_size_vIXT1_EEEvE4typeEPT_S5_S4_.kd
    .uniform_work_group_size: 1
    .uses_dynamic_stack: false
    .vgpr_count:     9
    .vgpr_spill_count: 0
    .wavefront_size: 32
    .workgroup_processor_mode: 1
  - .args:
      - .address_space:  global
        .offset:         0
        .size:           8
        .value_kind:     global_buffer
      - .address_space:  global
        .offset:         8
        .size:           8
        .value_kind:     global_buffer
      - .offset:         16
        .size:           2
        .value_kind:     by_value
      - .offset:         24
        .size:           4
        .value_kind:     hidden_block_count_x
      - .offset:         28
        .size:           4
        .value_kind:     hidden_block_count_y
      - .offset:         32
        .size:           4
        .value_kind:     hidden_block_count_z
      - .offset:         36
        .size:           2
        .value_kind:     hidden_group_size_x
      - .offset:         38
        .size:           2
        .value_kind:     hidden_group_size_y
      - .offset:         40
        .size:           2
        .value_kind:     hidden_group_size_z
      - .offset:         42
        .size:           2
        .value_kind:     hidden_remainder_x
      - .offset:         44
        .size:           2
        .value_kind:     hidden_remainder_y
      - .offset:         46
        .size:           2
        .value_kind:     hidden_remainder_z
      - .offset:         64
        .size:           8
        .value_kind:     hidden_global_offset_x
      - .offset:         72
        .size:           8
        .value_kind:     hidden_global_offset_y
      - .offset:         80
        .size:           8
        .value_kind:     hidden_global_offset_z
      - .offset:         88
        .size:           2
        .value_kind:     hidden_grid_dims
    .group_segment_fixed_size: 0
    .kernarg_segment_align: 8
    .kernarg_segment_size: 280
    .language:       OpenCL C
    .language_version:
      - 2
      - 0
    .max_flat_workgroup_size: 64
    .name:           _Z26warp_exclusive_scan_kernelI12hip_bfloat16Lj64ELj8EENSt9enable_ifIXsr10test_utilsE35device_test_enabled_for_warp_size_vIXT1_EEEvE4typeEPT_S5_S4_
    .private_segment_fixed_size: 0
    .sgpr_count:     18
    .sgpr_spill_count: 0
    .symbol:         _Z26warp_exclusive_scan_kernelI12hip_bfloat16Lj64ELj8EENSt9enable_ifIXsr10test_utilsE35device_test_enabled_for_warp_size_vIXT1_EEEvE4typeEPT_S5_S4_.kd
    .uniform_work_group_size: 1
    .uses_dynamic_stack: false
    .vgpr_count:     9
    .vgpr_spill_count: 0
    .wavefront_size: 32
    .workgroup_processor_mode: 1
  - .args:
      - .address_space:  global
        .offset:         0
        .size:           8
        .value_kind:     global_buffer
      - .address_space:  global
        .offset:         8
        .size:           8
        .value_kind:     global_buffer
      - .offset:         16
        .size:           2
        .value_kind:     by_value
      - .offset:         24
        .size:           4
        .value_kind:     hidden_block_count_x
      - .offset:         28
        .size:           4
        .value_kind:     hidden_block_count_y
      - .offset:         32
        .size:           4
        .value_kind:     hidden_block_count_z
      - .offset:         36
        .size:           2
        .value_kind:     hidden_group_size_x
      - .offset:         38
        .size:           2
        .value_kind:     hidden_group_size_y
      - .offset:         40
        .size:           2
        .value_kind:     hidden_group_size_z
      - .offset:         42
        .size:           2
        .value_kind:     hidden_remainder_x
      - .offset:         44
        .size:           2
        .value_kind:     hidden_remainder_y
      - .offset:         46
        .size:           2
        .value_kind:     hidden_remainder_z
      - .offset:         64
        .size:           8
        .value_kind:     hidden_global_offset_x
      - .offset:         72
        .size:           8
        .value_kind:     hidden_global_offset_y
      - .offset:         80
        .size:           8
        .value_kind:     hidden_global_offset_z
      - .offset:         88
        .size:           2
        .value_kind:     hidden_grid_dims
    .group_segment_fixed_size: 0
    .kernarg_segment_align: 8
    .kernarg_segment_size: 280
    .language:       OpenCL C
    .language_version:
      - 2
      - 0
    .max_flat_workgroup_size: 32
    .name:           _Z26warp_exclusive_scan_kernelI12hip_bfloat16Lj32ELj4EENSt9enable_ifIXsr10test_utilsE35device_test_enabled_for_warp_size_vIXT1_EEEvE4typeEPT_S5_S4_
    .private_segment_fixed_size: 0
    .sgpr_count:     18
    .sgpr_spill_count: 0
    .symbol:         _Z26warp_exclusive_scan_kernelI12hip_bfloat16Lj32ELj4EENSt9enable_ifIXsr10test_utilsE35device_test_enabled_for_warp_size_vIXT1_EEEvE4typeEPT_S5_S4_.kd
    .uniform_work_group_size: 1
    .uses_dynamic_stack: false
    .vgpr_count:     8
    .vgpr_spill_count: 0
    .wavefront_size: 32
    .workgroup_processor_mode: 1
  - .args:
      - .address_space:  global
        .offset:         0
        .size:           8
        .value_kind:     global_buffer
      - .address_space:  global
        .offset:         8
        .size:           8
        .value_kind:     global_buffer
      - .offset:         16
        .size:           2
        .value_kind:     by_value
      - .offset:         24
        .size:           4
        .value_kind:     hidden_block_count_x
      - .offset:         28
        .size:           4
        .value_kind:     hidden_block_count_y
      - .offset:         32
        .size:           4
        .value_kind:     hidden_block_count_z
      - .offset:         36
        .size:           2
        .value_kind:     hidden_group_size_x
      - .offset:         38
        .size:           2
        .value_kind:     hidden_group_size_y
      - .offset:         40
        .size:           2
        .value_kind:     hidden_group_size_z
      - .offset:         42
        .size:           2
        .value_kind:     hidden_remainder_x
      - .offset:         44
        .size:           2
        .value_kind:     hidden_remainder_y
      - .offset:         46
        .size:           2
        .value_kind:     hidden_remainder_z
      - .offset:         64
        .size:           8
        .value_kind:     hidden_global_offset_x
      - .offset:         72
        .size:           8
        .value_kind:     hidden_global_offset_y
      - .offset:         80
        .size:           8
        .value_kind:     hidden_global_offset_z
      - .offset:         88
        .size:           2
        .value_kind:     hidden_grid_dims
    .group_segment_fixed_size: 0
    .kernarg_segment_align: 8
    .kernarg_segment_size: 280
    .language:       OpenCL C
    .language_version:
      - 2
      - 0
    .max_flat_workgroup_size: 64
    .name:           _Z26warp_exclusive_scan_kernelI12hip_bfloat16Lj64ELj4EENSt9enable_ifIXsr10test_utilsE35device_test_enabled_for_warp_size_vIXT1_EEEvE4typeEPT_S5_S4_
    .private_segment_fixed_size: 0
    .sgpr_count:     18
    .sgpr_spill_count: 0
    .symbol:         _Z26warp_exclusive_scan_kernelI12hip_bfloat16Lj64ELj4EENSt9enable_ifIXsr10test_utilsE35device_test_enabled_for_warp_size_vIXT1_EEEvE4typeEPT_S5_S4_.kd
    .uniform_work_group_size: 1
    .uses_dynamic_stack: false
    .vgpr_count:     8
    .vgpr_spill_count: 0
    .wavefront_size: 32
    .workgroup_processor_mode: 1
  - .args:
      - .address_space:  global
        .offset:         0
        .size:           8
        .value_kind:     global_buffer
      - .address_space:  global
        .offset:         8
        .size:           8
        .value_kind:     global_buffer
      - .offset:         16
        .size:           2
        .value_kind:     by_value
      - .offset:         24
        .size:           4
        .value_kind:     hidden_block_count_x
      - .offset:         28
        .size:           4
        .value_kind:     hidden_block_count_y
      - .offset:         32
        .size:           4
        .value_kind:     hidden_block_count_z
      - .offset:         36
        .size:           2
        .value_kind:     hidden_group_size_x
      - .offset:         38
        .size:           2
        .value_kind:     hidden_group_size_y
      - .offset:         40
        .size:           2
        .value_kind:     hidden_group_size_z
      - .offset:         42
        .size:           2
        .value_kind:     hidden_remainder_x
      - .offset:         44
        .size:           2
        .value_kind:     hidden_remainder_y
      - .offset:         46
        .size:           2
        .value_kind:     hidden_remainder_z
      - .offset:         64
        .size:           8
        .value_kind:     hidden_global_offset_x
      - .offset:         72
        .size:           8
        .value_kind:     hidden_global_offset_y
      - .offset:         80
        .size:           8
        .value_kind:     hidden_global_offset_z
      - .offset:         88
        .size:           2
        .value_kind:     hidden_grid_dims
    .group_segment_fixed_size: 0
    .kernarg_segment_align: 8
    .kernarg_segment_size: 280
    .language:       OpenCL C
    .language_version:
      - 2
      - 0
    .max_flat_workgroup_size: 32
    .name:           _Z26warp_exclusive_scan_kernelI12hip_bfloat16Lj32ELj2EENSt9enable_ifIXsr10test_utilsE35device_test_enabled_for_warp_size_vIXT1_EEEvE4typeEPT_S5_S4_
    .private_segment_fixed_size: 0
    .sgpr_count:     18
    .sgpr_spill_count: 0
    .symbol:         _Z26warp_exclusive_scan_kernelI12hip_bfloat16Lj32ELj2EENSt9enable_ifIXsr10test_utilsE35device_test_enabled_for_warp_size_vIXT1_EEEvE4typeEPT_S5_S4_.kd
    .uniform_work_group_size: 1
    .uses_dynamic_stack: false
    .vgpr_count:     6
    .vgpr_spill_count: 0
    .wavefront_size: 32
    .workgroup_processor_mode: 1
  - .args:
      - .address_space:  global
        .offset:         0
        .size:           8
        .value_kind:     global_buffer
      - .address_space:  global
        .offset:         8
        .size:           8
        .value_kind:     global_buffer
      - .offset:         16
        .size:           2
        .value_kind:     by_value
      - .offset:         24
        .size:           4
        .value_kind:     hidden_block_count_x
      - .offset:         28
        .size:           4
        .value_kind:     hidden_block_count_y
      - .offset:         32
        .size:           4
        .value_kind:     hidden_block_count_z
      - .offset:         36
        .size:           2
        .value_kind:     hidden_group_size_x
      - .offset:         38
        .size:           2
        .value_kind:     hidden_group_size_y
      - .offset:         40
        .size:           2
        .value_kind:     hidden_group_size_z
      - .offset:         42
        .size:           2
        .value_kind:     hidden_remainder_x
      - .offset:         44
        .size:           2
        .value_kind:     hidden_remainder_y
      - .offset:         46
        .size:           2
        .value_kind:     hidden_remainder_z
      - .offset:         64
        .size:           8
        .value_kind:     hidden_global_offset_x
      - .offset:         72
        .size:           8
        .value_kind:     hidden_global_offset_y
      - .offset:         80
        .size:           8
        .value_kind:     hidden_global_offset_z
      - .offset:         88
        .size:           2
        .value_kind:     hidden_grid_dims
    .group_segment_fixed_size: 0
    .kernarg_segment_align: 8
    .kernarg_segment_size: 280
    .language:       OpenCL C
    .language_version:
      - 2
      - 0
    .max_flat_workgroup_size: 64
    .name:           _Z26warp_exclusive_scan_kernelI12hip_bfloat16Lj64ELj2EENSt9enable_ifIXsr10test_utilsE35device_test_enabled_for_warp_size_vIXT1_EEEvE4typeEPT_S5_S4_
    .private_segment_fixed_size: 0
    .sgpr_count:     18
    .sgpr_spill_count: 0
    .symbol:         _Z26warp_exclusive_scan_kernelI12hip_bfloat16Lj64ELj2EENSt9enable_ifIXsr10test_utilsE35device_test_enabled_for_warp_size_vIXT1_EEEvE4typeEPT_S5_S4_.kd
    .uniform_work_group_size: 1
    .uses_dynamic_stack: false
    .vgpr_count:     6
    .vgpr_spill_count: 0
    .wavefront_size: 32
    .workgroup_processor_mode: 1
  - .args:
      - .address_space:  global
        .offset:         0
        .size:           8
        .value_kind:     global_buffer
      - .address_space:  global
        .offset:         8
        .size:           8
        .value_kind:     global_buffer
      - .offset:         16
        .size:           2
        .value_kind:     by_value
    .group_segment_fixed_size: 0
    .kernarg_segment_align: 8
    .kernarg_segment_size: 20
    .language:       OpenCL C
    .language_version:
      - 2
      - 0
    .max_flat_workgroup_size: 256
    .name:           _Z26warp_exclusive_scan_kernelI6__halfLj256ELj64EENSt9enable_ifIXntsr10test_utilsE35device_test_enabled_for_warp_size_vIXT1_EEEvE4typeEPT_S5_S4_
    .private_segment_fixed_size: 0
    .sgpr_count:     0
    .sgpr_spill_count: 0
    .symbol:         _Z26warp_exclusive_scan_kernelI6__halfLj256ELj64EENSt9enable_ifIXntsr10test_utilsE35device_test_enabled_for_warp_size_vIXT1_EEEvE4typeEPT_S5_S4_.kd
    .uniform_work_group_size: 1
    .uses_dynamic_stack: false
    .vgpr_count:     0
    .vgpr_spill_count: 0
    .wavefront_size: 32
    .workgroup_processor_mode: 1
  - .args:
      - .address_space:  global
        .offset:         0
        .size:           8
        .value_kind:     global_buffer
      - .address_space:  global
        .offset:         8
        .size:           8
        .value_kind:     global_buffer
      - .offset:         16
        .size:           2
        .value_kind:     by_value
      - .offset:         24
        .size:           4
        .value_kind:     hidden_block_count_x
      - .offset:         28
        .size:           4
        .value_kind:     hidden_block_count_y
      - .offset:         32
        .size:           4
        .value_kind:     hidden_block_count_z
      - .offset:         36
        .size:           2
        .value_kind:     hidden_group_size_x
      - .offset:         38
        .size:           2
        .value_kind:     hidden_group_size_y
      - .offset:         40
        .size:           2
        .value_kind:     hidden_group_size_z
      - .offset:         42
        .size:           2
        .value_kind:     hidden_remainder_x
      - .offset:         44
        .size:           2
        .value_kind:     hidden_remainder_y
      - .offset:         46
        .size:           2
        .value_kind:     hidden_remainder_z
      - .offset:         64
        .size:           8
        .value_kind:     hidden_global_offset_x
      - .offset:         72
        .size:           8
        .value_kind:     hidden_global_offset_y
      - .offset:         80
        .size:           8
        .value_kind:     hidden_global_offset_z
      - .offset:         88
        .size:           2
        .value_kind:     hidden_grid_dims
    .group_segment_fixed_size: 0
    .kernarg_segment_align: 8
    .kernarg_segment_size: 280
    .language:       OpenCL C
    .language_version:
      - 2
      - 0
    .max_flat_workgroup_size: 128
    .name:           _Z26warp_exclusive_scan_kernelI6__halfLj128ELj32EENSt9enable_ifIXsr10test_utilsE35device_test_enabled_for_warp_size_vIXT1_EEEvE4typeEPT_S5_S4_
    .private_segment_fixed_size: 0
    .sgpr_count:     18
    .sgpr_spill_count: 0
    .symbol:         _Z26warp_exclusive_scan_kernelI6__halfLj128ELj32EENSt9enable_ifIXsr10test_utilsE35device_test_enabled_for_warp_size_vIXT1_EEEvE4typeEPT_S5_S4_.kd
    .uniform_work_group_size: 1
    .uses_dynamic_stack: false
    .vgpr_count:     7
    .vgpr_spill_count: 0
    .wavefront_size: 32
    .workgroup_processor_mode: 1
  - .args:
      - .address_space:  global
        .offset:         0
        .size:           8
        .value_kind:     global_buffer
      - .address_space:  global
        .offset:         8
        .size:           8
        .value_kind:     global_buffer
      - .offset:         16
        .size:           2
        .value_kind:     by_value
      - .offset:         24
        .size:           4
        .value_kind:     hidden_block_count_x
      - .offset:         28
        .size:           4
        .value_kind:     hidden_block_count_y
      - .offset:         32
        .size:           4
        .value_kind:     hidden_block_count_z
      - .offset:         36
        .size:           2
        .value_kind:     hidden_group_size_x
      - .offset:         38
        .size:           2
        .value_kind:     hidden_group_size_y
      - .offset:         40
        .size:           2
        .value_kind:     hidden_group_size_z
      - .offset:         42
        .size:           2
        .value_kind:     hidden_remainder_x
      - .offset:         44
        .size:           2
        .value_kind:     hidden_remainder_y
      - .offset:         46
        .size:           2
        .value_kind:     hidden_remainder_z
      - .offset:         64
        .size:           8
        .value_kind:     hidden_global_offset_x
      - .offset:         72
        .size:           8
        .value_kind:     hidden_global_offset_y
      - .offset:         80
        .size:           8
        .value_kind:     hidden_global_offset_z
      - .offset:         88
        .size:           2
        .value_kind:     hidden_grid_dims
    .group_segment_fixed_size: 0
    .kernarg_segment_align: 8
    .kernarg_segment_size: 280
    .language:       OpenCL C
    .language_version:
      - 2
      - 0
    .max_flat_workgroup_size: 64
    .name:           _Z26warp_exclusive_scan_kernelI6__halfLj64ELj16EENSt9enable_ifIXsr10test_utilsE35device_test_enabled_for_warp_size_vIXT1_EEEvE4typeEPT_S5_S4_
    .private_segment_fixed_size: 0
    .sgpr_count:     18
    .sgpr_spill_count: 0
    .symbol:         _Z26warp_exclusive_scan_kernelI6__halfLj64ELj16EENSt9enable_ifIXsr10test_utilsE35device_test_enabled_for_warp_size_vIXT1_EEEvE4typeEPT_S5_S4_.kd
    .uniform_work_group_size: 1
    .uses_dynamic_stack: false
    .vgpr_count:     8
    .vgpr_spill_count: 0
    .wavefront_size: 32
    .workgroup_processor_mode: 1
  - .args:
      - .address_space:  global
        .offset:         0
        .size:           8
        .value_kind:     global_buffer
      - .address_space:  global
        .offset:         8
        .size:           8
        .value_kind:     global_buffer
      - .offset:         16
        .size:           2
        .value_kind:     by_value
      - .offset:         24
        .size:           4
        .value_kind:     hidden_block_count_x
      - .offset:         28
        .size:           4
        .value_kind:     hidden_block_count_y
      - .offset:         32
        .size:           4
        .value_kind:     hidden_block_count_z
      - .offset:         36
        .size:           2
        .value_kind:     hidden_group_size_x
      - .offset:         38
        .size:           2
        .value_kind:     hidden_group_size_y
      - .offset:         40
        .size:           2
        .value_kind:     hidden_group_size_z
      - .offset:         42
        .size:           2
        .value_kind:     hidden_remainder_x
      - .offset:         44
        .size:           2
        .value_kind:     hidden_remainder_y
      - .offset:         46
        .size:           2
        .value_kind:     hidden_remainder_z
      - .offset:         64
        .size:           8
        .value_kind:     hidden_global_offset_x
      - .offset:         72
        .size:           8
        .value_kind:     hidden_global_offset_y
      - .offset:         80
        .size:           8
        .value_kind:     hidden_global_offset_z
      - .offset:         88
        .size:           2
        .value_kind:     hidden_grid_dims
    .group_segment_fixed_size: 0
    .kernarg_segment_align: 8
    .kernarg_segment_size: 280
    .language:       OpenCL C
    .language_version:
      - 2
      - 0
    .max_flat_workgroup_size: 32
    .name:           _Z26warp_exclusive_scan_kernelI6__halfLj32ELj8EENSt9enable_ifIXsr10test_utilsE35device_test_enabled_for_warp_size_vIXT1_EEEvE4typeEPT_S5_S4_
    .private_segment_fixed_size: 0
    .sgpr_count:     18
    .sgpr_spill_count: 0
    .symbol:         _Z26warp_exclusive_scan_kernelI6__halfLj32ELj8EENSt9enable_ifIXsr10test_utilsE35device_test_enabled_for_warp_size_vIXT1_EEEvE4typeEPT_S5_S4_.kd
    .uniform_work_group_size: 1
    .uses_dynamic_stack: false
    .vgpr_count:     8
    .vgpr_spill_count: 0
    .wavefront_size: 32
    .workgroup_processor_mode: 1
  - .args:
      - .address_space:  global
        .offset:         0
        .size:           8
        .value_kind:     global_buffer
      - .address_space:  global
        .offset:         8
        .size:           8
        .value_kind:     global_buffer
      - .offset:         16
        .size:           2
        .value_kind:     by_value
      - .offset:         24
        .size:           4
        .value_kind:     hidden_block_count_x
      - .offset:         28
        .size:           4
        .value_kind:     hidden_block_count_y
      - .offset:         32
        .size:           4
        .value_kind:     hidden_block_count_z
      - .offset:         36
        .size:           2
        .value_kind:     hidden_group_size_x
      - .offset:         38
        .size:           2
        .value_kind:     hidden_group_size_y
      - .offset:         40
        .size:           2
        .value_kind:     hidden_group_size_z
      - .offset:         42
        .size:           2
        .value_kind:     hidden_remainder_x
      - .offset:         44
        .size:           2
        .value_kind:     hidden_remainder_y
      - .offset:         46
        .size:           2
        .value_kind:     hidden_remainder_z
      - .offset:         64
        .size:           8
        .value_kind:     hidden_global_offset_x
      - .offset:         72
        .size:           8
        .value_kind:     hidden_global_offset_y
      - .offset:         80
        .size:           8
        .value_kind:     hidden_global_offset_z
      - .offset:         88
        .size:           2
        .value_kind:     hidden_grid_dims
    .group_segment_fixed_size: 0
    .kernarg_segment_align: 8
    .kernarg_segment_size: 280
    .language:       OpenCL C
    .language_version:
      - 2
      - 0
    .max_flat_workgroup_size: 64
    .name:           _Z26warp_exclusive_scan_kernelI6__halfLj64ELj8EENSt9enable_ifIXsr10test_utilsE35device_test_enabled_for_warp_size_vIXT1_EEEvE4typeEPT_S5_S4_
    .private_segment_fixed_size: 0
    .sgpr_count:     18
    .sgpr_spill_count: 0
    .symbol:         _Z26warp_exclusive_scan_kernelI6__halfLj64ELj8EENSt9enable_ifIXsr10test_utilsE35device_test_enabled_for_warp_size_vIXT1_EEEvE4typeEPT_S5_S4_.kd
    .uniform_work_group_size: 1
    .uses_dynamic_stack: false
    .vgpr_count:     8
    .vgpr_spill_count: 0
    .wavefront_size: 32
    .workgroup_processor_mode: 1
  - .args:
      - .address_space:  global
        .offset:         0
        .size:           8
        .value_kind:     global_buffer
      - .address_space:  global
        .offset:         8
        .size:           8
        .value_kind:     global_buffer
      - .offset:         16
        .size:           2
        .value_kind:     by_value
      - .offset:         24
        .size:           4
        .value_kind:     hidden_block_count_x
      - .offset:         28
        .size:           4
        .value_kind:     hidden_block_count_y
      - .offset:         32
        .size:           4
        .value_kind:     hidden_block_count_z
      - .offset:         36
        .size:           2
        .value_kind:     hidden_group_size_x
      - .offset:         38
        .size:           2
        .value_kind:     hidden_group_size_y
      - .offset:         40
        .size:           2
        .value_kind:     hidden_group_size_z
      - .offset:         42
        .size:           2
        .value_kind:     hidden_remainder_x
      - .offset:         44
        .size:           2
        .value_kind:     hidden_remainder_y
      - .offset:         46
        .size:           2
        .value_kind:     hidden_remainder_z
      - .offset:         64
        .size:           8
        .value_kind:     hidden_global_offset_x
      - .offset:         72
        .size:           8
        .value_kind:     hidden_global_offset_y
      - .offset:         80
        .size:           8
        .value_kind:     hidden_global_offset_z
      - .offset:         88
        .size:           2
        .value_kind:     hidden_grid_dims
    .group_segment_fixed_size: 0
    .kernarg_segment_align: 8
    .kernarg_segment_size: 280
    .language:       OpenCL C
    .language_version:
      - 2
      - 0
    .max_flat_workgroup_size: 32
    .name:           _Z26warp_exclusive_scan_kernelI6__halfLj32ELj4EENSt9enable_ifIXsr10test_utilsE35device_test_enabled_for_warp_size_vIXT1_EEEvE4typeEPT_S5_S4_
    .private_segment_fixed_size: 0
    .sgpr_count:     18
    .sgpr_spill_count: 0
    .symbol:         _Z26warp_exclusive_scan_kernelI6__halfLj32ELj4EENSt9enable_ifIXsr10test_utilsE35device_test_enabled_for_warp_size_vIXT1_EEEvE4typeEPT_S5_S4_.kd
    .uniform_work_group_size: 1
    .uses_dynamic_stack: false
    .vgpr_count:     8
    .vgpr_spill_count: 0
    .wavefront_size: 32
    .workgroup_processor_mode: 1
  - .args:
      - .address_space:  global
        .offset:         0
        .size:           8
        .value_kind:     global_buffer
      - .address_space:  global
        .offset:         8
        .size:           8
        .value_kind:     global_buffer
      - .offset:         16
        .size:           2
        .value_kind:     by_value
      - .offset:         24
        .size:           4
        .value_kind:     hidden_block_count_x
      - .offset:         28
        .size:           4
        .value_kind:     hidden_block_count_y
      - .offset:         32
        .size:           4
        .value_kind:     hidden_block_count_z
      - .offset:         36
        .size:           2
        .value_kind:     hidden_group_size_x
      - .offset:         38
        .size:           2
        .value_kind:     hidden_group_size_y
      - .offset:         40
        .size:           2
        .value_kind:     hidden_group_size_z
      - .offset:         42
        .size:           2
        .value_kind:     hidden_remainder_x
      - .offset:         44
        .size:           2
        .value_kind:     hidden_remainder_y
      - .offset:         46
        .size:           2
        .value_kind:     hidden_remainder_z
      - .offset:         64
        .size:           8
        .value_kind:     hidden_global_offset_x
      - .offset:         72
        .size:           8
        .value_kind:     hidden_global_offset_y
      - .offset:         80
        .size:           8
        .value_kind:     hidden_global_offset_z
      - .offset:         88
        .size:           2
        .value_kind:     hidden_grid_dims
    .group_segment_fixed_size: 0
    .kernarg_segment_align: 8
    .kernarg_segment_size: 280
    .language:       OpenCL C
    .language_version:
      - 2
      - 0
    .max_flat_workgroup_size: 64
    .name:           _Z26warp_exclusive_scan_kernelI6__halfLj64ELj4EENSt9enable_ifIXsr10test_utilsE35device_test_enabled_for_warp_size_vIXT1_EEEvE4typeEPT_S5_S4_
    .private_segment_fixed_size: 0
    .sgpr_count:     18
    .sgpr_spill_count: 0
    .symbol:         _Z26warp_exclusive_scan_kernelI6__halfLj64ELj4EENSt9enable_ifIXsr10test_utilsE35device_test_enabled_for_warp_size_vIXT1_EEEvE4typeEPT_S5_S4_.kd
    .uniform_work_group_size: 1
    .uses_dynamic_stack: false
    .vgpr_count:     8
    .vgpr_spill_count: 0
    .wavefront_size: 32
    .workgroup_processor_mode: 1
  - .args:
      - .address_space:  global
        .offset:         0
        .size:           8
        .value_kind:     global_buffer
      - .address_space:  global
        .offset:         8
        .size:           8
        .value_kind:     global_buffer
      - .offset:         16
        .size:           2
        .value_kind:     by_value
      - .offset:         24
        .size:           4
        .value_kind:     hidden_block_count_x
      - .offset:         28
        .size:           4
        .value_kind:     hidden_block_count_y
      - .offset:         32
        .size:           4
        .value_kind:     hidden_block_count_z
      - .offset:         36
        .size:           2
        .value_kind:     hidden_group_size_x
      - .offset:         38
        .size:           2
        .value_kind:     hidden_group_size_y
      - .offset:         40
        .size:           2
        .value_kind:     hidden_group_size_z
      - .offset:         42
        .size:           2
        .value_kind:     hidden_remainder_x
      - .offset:         44
        .size:           2
        .value_kind:     hidden_remainder_y
      - .offset:         46
        .size:           2
        .value_kind:     hidden_remainder_z
      - .offset:         64
        .size:           8
        .value_kind:     hidden_global_offset_x
      - .offset:         72
        .size:           8
        .value_kind:     hidden_global_offset_y
      - .offset:         80
        .size:           8
        .value_kind:     hidden_global_offset_z
      - .offset:         88
        .size:           2
        .value_kind:     hidden_grid_dims
    .group_segment_fixed_size: 0
    .kernarg_segment_align: 8
    .kernarg_segment_size: 280
    .language:       OpenCL C
    .language_version:
      - 2
      - 0
    .max_flat_workgroup_size: 32
    .name:           _Z26warp_exclusive_scan_kernelI6__halfLj32ELj2EENSt9enable_ifIXsr10test_utilsE35device_test_enabled_for_warp_size_vIXT1_EEEvE4typeEPT_S5_S4_
    .private_segment_fixed_size: 0
    .sgpr_count:     18
    .sgpr_spill_count: 0
    .symbol:         _Z26warp_exclusive_scan_kernelI6__halfLj32ELj2EENSt9enable_ifIXsr10test_utilsE35device_test_enabled_for_warp_size_vIXT1_EEEvE4typeEPT_S5_S4_.kd
    .uniform_work_group_size: 1
    .uses_dynamic_stack: false
    .vgpr_count:     8
    .vgpr_spill_count: 0
    .wavefront_size: 32
    .workgroup_processor_mode: 1
  - .args:
      - .address_space:  global
        .offset:         0
        .size:           8
        .value_kind:     global_buffer
      - .address_space:  global
        .offset:         8
        .size:           8
        .value_kind:     global_buffer
      - .offset:         16
        .size:           2
        .value_kind:     by_value
      - .offset:         24
        .size:           4
        .value_kind:     hidden_block_count_x
      - .offset:         28
        .size:           4
        .value_kind:     hidden_block_count_y
      - .offset:         32
        .size:           4
        .value_kind:     hidden_block_count_z
      - .offset:         36
        .size:           2
        .value_kind:     hidden_group_size_x
      - .offset:         38
        .size:           2
        .value_kind:     hidden_group_size_y
      - .offset:         40
        .size:           2
        .value_kind:     hidden_group_size_z
      - .offset:         42
        .size:           2
        .value_kind:     hidden_remainder_x
      - .offset:         44
        .size:           2
        .value_kind:     hidden_remainder_y
      - .offset:         46
        .size:           2
        .value_kind:     hidden_remainder_z
      - .offset:         64
        .size:           8
        .value_kind:     hidden_global_offset_x
      - .offset:         72
        .size:           8
        .value_kind:     hidden_global_offset_y
      - .offset:         80
        .size:           8
        .value_kind:     hidden_global_offset_z
      - .offset:         88
        .size:           2
        .value_kind:     hidden_grid_dims
    .group_segment_fixed_size: 0
    .kernarg_segment_align: 8
    .kernarg_segment_size: 280
    .language:       OpenCL C
    .language_version:
      - 2
      - 0
    .max_flat_workgroup_size: 64
    .name:           _Z26warp_exclusive_scan_kernelI6__halfLj64ELj2EENSt9enable_ifIXsr10test_utilsE35device_test_enabled_for_warp_size_vIXT1_EEEvE4typeEPT_S5_S4_
    .private_segment_fixed_size: 0
    .sgpr_count:     18
    .sgpr_spill_count: 0
    .symbol:         _Z26warp_exclusive_scan_kernelI6__halfLj64ELj2EENSt9enable_ifIXsr10test_utilsE35device_test_enabled_for_warp_size_vIXT1_EEEvE4typeEPT_S5_S4_.kd
    .uniform_work_group_size: 1
    .uses_dynamic_stack: false
    .vgpr_count:     8
    .vgpr_spill_count: 0
    .wavefront_size: 32
    .workgroup_processor_mode: 1
  - .args:
      - .address_space:  global
        .offset:         0
        .size:           8
        .value_kind:     global_buffer
      - .address_space:  global
        .offset:         8
        .size:           8
        .value_kind:     global_buffer
      - .offset:         16
        .size:           4
        .value_kind:     by_value
    .group_segment_fixed_size: 0
    .kernarg_segment_align: 8
    .kernarg_segment_size: 20
    .language:       OpenCL C
    .language_version:
      - 2
      - 0
    .max_flat_workgroup_size: 256
    .name:           _Z26warp_exclusive_scan_kernelIfLj256ELj64EENSt9enable_ifIXntsr10test_utilsE35device_test_enabled_for_warp_size_vIXT1_EEEvE4typeEPT_S4_S3_
    .private_segment_fixed_size: 0
    .sgpr_count:     0
    .sgpr_spill_count: 0
    .symbol:         _Z26warp_exclusive_scan_kernelIfLj256ELj64EENSt9enable_ifIXntsr10test_utilsE35device_test_enabled_for_warp_size_vIXT1_EEEvE4typeEPT_S4_S3_.kd
    .uniform_work_group_size: 1
    .uses_dynamic_stack: false
    .vgpr_count:     0
    .vgpr_spill_count: 0
    .wavefront_size: 32
    .workgroup_processor_mode: 1
  - .args:
      - .address_space:  global
        .offset:         0
        .size:           8
        .value_kind:     global_buffer
      - .address_space:  global
        .offset:         8
        .size:           8
        .value_kind:     global_buffer
      - .offset:         16
        .size:           4
        .value_kind:     by_value
      - .offset:         24
        .size:           4
        .value_kind:     hidden_block_count_x
      - .offset:         28
        .size:           4
        .value_kind:     hidden_block_count_y
      - .offset:         32
        .size:           4
        .value_kind:     hidden_block_count_z
      - .offset:         36
        .size:           2
        .value_kind:     hidden_group_size_x
      - .offset:         38
        .size:           2
        .value_kind:     hidden_group_size_y
      - .offset:         40
        .size:           2
        .value_kind:     hidden_group_size_z
      - .offset:         42
        .size:           2
        .value_kind:     hidden_remainder_x
      - .offset:         44
        .size:           2
        .value_kind:     hidden_remainder_y
      - .offset:         46
        .size:           2
        .value_kind:     hidden_remainder_z
      - .offset:         64
        .size:           8
        .value_kind:     hidden_global_offset_x
      - .offset:         72
        .size:           8
        .value_kind:     hidden_global_offset_y
      - .offset:         80
        .size:           8
        .value_kind:     hidden_global_offset_z
      - .offset:         88
        .size:           2
        .value_kind:     hidden_grid_dims
    .group_segment_fixed_size: 0
    .kernarg_segment_align: 8
    .kernarg_segment_size: 280
    .language:       OpenCL C
    .language_version:
      - 2
      - 0
    .max_flat_workgroup_size: 128
    .name:           _Z26warp_exclusive_scan_kernelIfLj128ELj32EENSt9enable_ifIXsr10test_utilsE35device_test_enabled_for_warp_size_vIXT1_EEEvE4typeEPT_S4_S3_
    .private_segment_fixed_size: 0
    .sgpr_count:     18
    .sgpr_spill_count: 0
    .symbol:         _Z26warp_exclusive_scan_kernelIfLj128ELj32EENSt9enable_ifIXsr10test_utilsE35device_test_enabled_for_warp_size_vIXT1_EEEvE4typeEPT_S4_S3_.kd
    .uniform_work_group_size: 1
    .uses_dynamic_stack: false
    .vgpr_count:     7
    .vgpr_spill_count: 0
    .wavefront_size: 32
    .workgroup_processor_mode: 1
  - .args:
      - .address_space:  global
        .offset:         0
        .size:           8
        .value_kind:     global_buffer
      - .address_space:  global
        .offset:         8
        .size:           8
        .value_kind:     global_buffer
      - .offset:         16
        .size:           4
        .value_kind:     by_value
      - .offset:         24
        .size:           4
        .value_kind:     hidden_block_count_x
      - .offset:         28
        .size:           4
        .value_kind:     hidden_block_count_y
      - .offset:         32
        .size:           4
        .value_kind:     hidden_block_count_z
      - .offset:         36
        .size:           2
        .value_kind:     hidden_group_size_x
      - .offset:         38
        .size:           2
        .value_kind:     hidden_group_size_y
      - .offset:         40
        .size:           2
        .value_kind:     hidden_group_size_z
      - .offset:         42
        .size:           2
        .value_kind:     hidden_remainder_x
      - .offset:         44
        .size:           2
        .value_kind:     hidden_remainder_y
      - .offset:         46
        .size:           2
        .value_kind:     hidden_remainder_z
      - .offset:         64
        .size:           8
        .value_kind:     hidden_global_offset_x
      - .offset:         72
        .size:           8
        .value_kind:     hidden_global_offset_y
      - .offset:         80
        .size:           8
        .value_kind:     hidden_global_offset_z
      - .offset:         88
        .size:           2
        .value_kind:     hidden_grid_dims
    .group_segment_fixed_size: 0
    .kernarg_segment_align: 8
    .kernarg_segment_size: 280
    .language:       OpenCL C
    .language_version:
      - 2
      - 0
    .max_flat_workgroup_size: 64
    .name:           _Z26warp_exclusive_scan_kernelIfLj64ELj16EENSt9enable_ifIXsr10test_utilsE35device_test_enabled_for_warp_size_vIXT1_EEEvE4typeEPT_S4_S3_
    .private_segment_fixed_size: 0
    .sgpr_count:     18
    .sgpr_spill_count: 0
    .symbol:         _Z26warp_exclusive_scan_kernelIfLj64ELj16EENSt9enable_ifIXsr10test_utilsE35device_test_enabled_for_warp_size_vIXT1_EEEvE4typeEPT_S4_S3_.kd
    .uniform_work_group_size: 1
    .uses_dynamic_stack: false
    .vgpr_count:     8
    .vgpr_spill_count: 0
    .wavefront_size: 32
    .workgroup_processor_mode: 1
  - .args:
      - .address_space:  global
        .offset:         0
        .size:           8
        .value_kind:     global_buffer
      - .address_space:  global
        .offset:         8
        .size:           8
        .value_kind:     global_buffer
      - .offset:         16
        .size:           4
        .value_kind:     by_value
      - .offset:         24
        .size:           4
        .value_kind:     hidden_block_count_x
      - .offset:         28
        .size:           4
        .value_kind:     hidden_block_count_y
      - .offset:         32
        .size:           4
        .value_kind:     hidden_block_count_z
      - .offset:         36
        .size:           2
        .value_kind:     hidden_group_size_x
      - .offset:         38
        .size:           2
        .value_kind:     hidden_group_size_y
      - .offset:         40
        .size:           2
        .value_kind:     hidden_group_size_z
      - .offset:         42
        .size:           2
        .value_kind:     hidden_remainder_x
      - .offset:         44
        .size:           2
        .value_kind:     hidden_remainder_y
      - .offset:         46
        .size:           2
        .value_kind:     hidden_remainder_z
      - .offset:         64
        .size:           8
        .value_kind:     hidden_global_offset_x
      - .offset:         72
        .size:           8
        .value_kind:     hidden_global_offset_y
      - .offset:         80
        .size:           8
        .value_kind:     hidden_global_offset_z
      - .offset:         88
        .size:           2
        .value_kind:     hidden_grid_dims
    .group_segment_fixed_size: 0
    .kernarg_segment_align: 8
    .kernarg_segment_size: 280
    .language:       OpenCL C
    .language_version:
      - 2
      - 0
    .max_flat_workgroup_size: 32
    .name:           _Z26warp_exclusive_scan_kernelIfLj32ELj8EENSt9enable_ifIXsr10test_utilsE35device_test_enabled_for_warp_size_vIXT1_EEEvE4typeEPT_S4_S3_
    .private_segment_fixed_size: 0
    .sgpr_count:     18
    .sgpr_spill_count: 0
    .symbol:         _Z26warp_exclusive_scan_kernelIfLj32ELj8EENSt9enable_ifIXsr10test_utilsE35device_test_enabled_for_warp_size_vIXT1_EEEvE4typeEPT_S4_S3_.kd
    .uniform_work_group_size: 1
    .uses_dynamic_stack: false
    .vgpr_count:     8
    .vgpr_spill_count: 0
    .wavefront_size: 32
    .workgroup_processor_mode: 1
  - .args:
      - .address_space:  global
        .offset:         0
        .size:           8
        .value_kind:     global_buffer
      - .address_space:  global
        .offset:         8
        .size:           8
        .value_kind:     global_buffer
      - .offset:         16
        .size:           4
        .value_kind:     by_value
      - .offset:         24
        .size:           4
        .value_kind:     hidden_block_count_x
      - .offset:         28
        .size:           4
        .value_kind:     hidden_block_count_y
      - .offset:         32
        .size:           4
        .value_kind:     hidden_block_count_z
      - .offset:         36
        .size:           2
        .value_kind:     hidden_group_size_x
      - .offset:         38
        .size:           2
        .value_kind:     hidden_group_size_y
      - .offset:         40
        .size:           2
        .value_kind:     hidden_group_size_z
      - .offset:         42
        .size:           2
        .value_kind:     hidden_remainder_x
      - .offset:         44
        .size:           2
        .value_kind:     hidden_remainder_y
      - .offset:         46
        .size:           2
        .value_kind:     hidden_remainder_z
      - .offset:         64
        .size:           8
        .value_kind:     hidden_global_offset_x
      - .offset:         72
        .size:           8
        .value_kind:     hidden_global_offset_y
      - .offset:         80
        .size:           8
        .value_kind:     hidden_global_offset_z
      - .offset:         88
        .size:           2
        .value_kind:     hidden_grid_dims
    .group_segment_fixed_size: 0
    .kernarg_segment_align: 8
    .kernarg_segment_size: 280
    .language:       OpenCL C
    .language_version:
      - 2
      - 0
    .max_flat_workgroup_size: 64
    .name:           _Z26warp_exclusive_scan_kernelIfLj64ELj8EENSt9enable_ifIXsr10test_utilsE35device_test_enabled_for_warp_size_vIXT1_EEEvE4typeEPT_S4_S3_
    .private_segment_fixed_size: 0
    .sgpr_count:     18
    .sgpr_spill_count: 0
    .symbol:         _Z26warp_exclusive_scan_kernelIfLj64ELj8EENSt9enable_ifIXsr10test_utilsE35device_test_enabled_for_warp_size_vIXT1_EEEvE4typeEPT_S4_S3_.kd
    .uniform_work_group_size: 1
    .uses_dynamic_stack: false
    .vgpr_count:     8
    .vgpr_spill_count: 0
    .wavefront_size: 32
    .workgroup_processor_mode: 1
  - .args:
      - .address_space:  global
        .offset:         0
        .size:           8
        .value_kind:     global_buffer
      - .address_space:  global
        .offset:         8
        .size:           8
        .value_kind:     global_buffer
      - .offset:         16
        .size:           4
        .value_kind:     by_value
      - .offset:         24
        .size:           4
        .value_kind:     hidden_block_count_x
      - .offset:         28
        .size:           4
        .value_kind:     hidden_block_count_y
      - .offset:         32
        .size:           4
        .value_kind:     hidden_block_count_z
      - .offset:         36
        .size:           2
        .value_kind:     hidden_group_size_x
      - .offset:         38
        .size:           2
        .value_kind:     hidden_group_size_y
      - .offset:         40
        .size:           2
        .value_kind:     hidden_group_size_z
      - .offset:         42
        .size:           2
        .value_kind:     hidden_remainder_x
      - .offset:         44
        .size:           2
        .value_kind:     hidden_remainder_y
      - .offset:         46
        .size:           2
        .value_kind:     hidden_remainder_z
      - .offset:         64
        .size:           8
        .value_kind:     hidden_global_offset_x
      - .offset:         72
        .size:           8
        .value_kind:     hidden_global_offset_y
      - .offset:         80
        .size:           8
        .value_kind:     hidden_global_offset_z
      - .offset:         88
        .size:           2
        .value_kind:     hidden_grid_dims
    .group_segment_fixed_size: 0
    .kernarg_segment_align: 8
    .kernarg_segment_size: 280
    .language:       OpenCL C
    .language_version:
      - 2
      - 0
    .max_flat_workgroup_size: 32
    .name:           _Z26warp_exclusive_scan_kernelIfLj32ELj4EENSt9enable_ifIXsr10test_utilsE35device_test_enabled_for_warp_size_vIXT1_EEEvE4typeEPT_S4_S3_
    .private_segment_fixed_size: 0
    .sgpr_count:     18
    .sgpr_spill_count: 0
    .symbol:         _Z26warp_exclusive_scan_kernelIfLj32ELj4EENSt9enable_ifIXsr10test_utilsE35device_test_enabled_for_warp_size_vIXT1_EEEvE4typeEPT_S4_S3_.kd
    .uniform_work_group_size: 1
    .uses_dynamic_stack: false
    .vgpr_count:     8
    .vgpr_spill_count: 0
    .wavefront_size: 32
    .workgroup_processor_mode: 1
  - .args:
      - .address_space:  global
        .offset:         0
        .size:           8
        .value_kind:     global_buffer
      - .address_space:  global
        .offset:         8
        .size:           8
        .value_kind:     global_buffer
      - .offset:         16
        .size:           4
        .value_kind:     by_value
      - .offset:         24
        .size:           4
        .value_kind:     hidden_block_count_x
      - .offset:         28
        .size:           4
        .value_kind:     hidden_block_count_y
      - .offset:         32
        .size:           4
        .value_kind:     hidden_block_count_z
      - .offset:         36
        .size:           2
        .value_kind:     hidden_group_size_x
      - .offset:         38
        .size:           2
        .value_kind:     hidden_group_size_y
      - .offset:         40
        .size:           2
        .value_kind:     hidden_group_size_z
      - .offset:         42
        .size:           2
        .value_kind:     hidden_remainder_x
      - .offset:         44
        .size:           2
        .value_kind:     hidden_remainder_y
      - .offset:         46
        .size:           2
        .value_kind:     hidden_remainder_z
      - .offset:         64
        .size:           8
        .value_kind:     hidden_global_offset_x
      - .offset:         72
        .size:           8
        .value_kind:     hidden_global_offset_y
      - .offset:         80
        .size:           8
        .value_kind:     hidden_global_offset_z
      - .offset:         88
        .size:           2
        .value_kind:     hidden_grid_dims
    .group_segment_fixed_size: 0
    .kernarg_segment_align: 8
    .kernarg_segment_size: 280
    .language:       OpenCL C
    .language_version:
      - 2
      - 0
    .max_flat_workgroup_size: 64
    .name:           _Z26warp_exclusive_scan_kernelIfLj64ELj4EENSt9enable_ifIXsr10test_utilsE35device_test_enabled_for_warp_size_vIXT1_EEEvE4typeEPT_S4_S3_
    .private_segment_fixed_size: 0
    .sgpr_count:     18
    .sgpr_spill_count: 0
    .symbol:         _Z26warp_exclusive_scan_kernelIfLj64ELj4EENSt9enable_ifIXsr10test_utilsE35device_test_enabled_for_warp_size_vIXT1_EEEvE4typeEPT_S4_S3_.kd
    .uniform_work_group_size: 1
    .uses_dynamic_stack: false
    .vgpr_count:     8
    .vgpr_spill_count: 0
    .wavefront_size: 32
    .workgroup_processor_mode: 1
  - .args:
      - .address_space:  global
        .offset:         0
        .size:           8
        .value_kind:     global_buffer
      - .address_space:  global
        .offset:         8
        .size:           8
        .value_kind:     global_buffer
      - .offset:         16
        .size:           4
        .value_kind:     by_value
      - .offset:         24
        .size:           4
        .value_kind:     hidden_block_count_x
      - .offset:         28
        .size:           4
        .value_kind:     hidden_block_count_y
      - .offset:         32
        .size:           4
        .value_kind:     hidden_block_count_z
      - .offset:         36
        .size:           2
        .value_kind:     hidden_group_size_x
      - .offset:         38
        .size:           2
        .value_kind:     hidden_group_size_y
      - .offset:         40
        .size:           2
        .value_kind:     hidden_group_size_z
      - .offset:         42
        .size:           2
        .value_kind:     hidden_remainder_x
      - .offset:         44
        .size:           2
        .value_kind:     hidden_remainder_y
      - .offset:         46
        .size:           2
        .value_kind:     hidden_remainder_z
      - .offset:         64
        .size:           8
        .value_kind:     hidden_global_offset_x
      - .offset:         72
        .size:           8
        .value_kind:     hidden_global_offset_y
      - .offset:         80
        .size:           8
        .value_kind:     hidden_global_offset_z
      - .offset:         88
        .size:           2
        .value_kind:     hidden_grid_dims
    .group_segment_fixed_size: 0
    .kernarg_segment_align: 8
    .kernarg_segment_size: 280
    .language:       OpenCL C
    .language_version:
      - 2
      - 0
    .max_flat_workgroup_size: 32
    .name:           _Z26warp_exclusive_scan_kernelIfLj32ELj2EENSt9enable_ifIXsr10test_utilsE35device_test_enabled_for_warp_size_vIXT1_EEEvE4typeEPT_S4_S3_
    .private_segment_fixed_size: 0
    .sgpr_count:     18
    .sgpr_spill_count: 0
    .symbol:         _Z26warp_exclusive_scan_kernelIfLj32ELj2EENSt9enable_ifIXsr10test_utilsE35device_test_enabled_for_warp_size_vIXT1_EEEvE4typeEPT_S4_S3_.kd
    .uniform_work_group_size: 1
    .uses_dynamic_stack: false
    .vgpr_count:     8
    .vgpr_spill_count: 0
    .wavefront_size: 32
    .workgroup_processor_mode: 1
  - .args:
      - .address_space:  global
        .offset:         0
        .size:           8
        .value_kind:     global_buffer
      - .address_space:  global
        .offset:         8
        .size:           8
        .value_kind:     global_buffer
      - .offset:         16
        .size:           4
        .value_kind:     by_value
      - .offset:         24
        .size:           4
        .value_kind:     hidden_block_count_x
      - .offset:         28
        .size:           4
        .value_kind:     hidden_block_count_y
      - .offset:         32
        .size:           4
        .value_kind:     hidden_block_count_z
      - .offset:         36
        .size:           2
        .value_kind:     hidden_group_size_x
      - .offset:         38
        .size:           2
        .value_kind:     hidden_group_size_y
      - .offset:         40
        .size:           2
        .value_kind:     hidden_group_size_z
      - .offset:         42
        .size:           2
        .value_kind:     hidden_remainder_x
      - .offset:         44
        .size:           2
        .value_kind:     hidden_remainder_y
      - .offset:         46
        .size:           2
        .value_kind:     hidden_remainder_z
      - .offset:         64
        .size:           8
        .value_kind:     hidden_global_offset_x
      - .offset:         72
        .size:           8
        .value_kind:     hidden_global_offset_y
      - .offset:         80
        .size:           8
        .value_kind:     hidden_global_offset_z
      - .offset:         88
        .size:           2
        .value_kind:     hidden_grid_dims
    .group_segment_fixed_size: 0
    .kernarg_segment_align: 8
    .kernarg_segment_size: 280
    .language:       OpenCL C
    .language_version:
      - 2
      - 0
    .max_flat_workgroup_size: 64
    .name:           _Z26warp_exclusive_scan_kernelIfLj64ELj2EENSt9enable_ifIXsr10test_utilsE35device_test_enabled_for_warp_size_vIXT1_EEEvE4typeEPT_S4_S3_
    .private_segment_fixed_size: 0
    .sgpr_count:     18
    .sgpr_spill_count: 0
    .symbol:         _Z26warp_exclusive_scan_kernelIfLj64ELj2EENSt9enable_ifIXsr10test_utilsE35device_test_enabled_for_warp_size_vIXT1_EEEvE4typeEPT_S4_S3_.kd
    .uniform_work_group_size: 1
    .uses_dynamic_stack: false
    .vgpr_count:     8
    .vgpr_spill_count: 0
    .wavefront_size: 32
    .workgroup_processor_mode: 1
  - .args:
      - .address_space:  global
        .offset:         0
        .size:           8
        .value_kind:     global_buffer
      - .address_space:  global
        .offset:         8
        .size:           8
        .value_kind:     global_buffer
      - .offset:         16
        .size:           4
        .value_kind:     by_value
    .group_segment_fixed_size: 0
    .kernarg_segment_align: 8
    .kernarg_segment_size: 20
    .language:       OpenCL C
    .language_version:
      - 2
      - 0
    .max_flat_workgroup_size: 256
    .name:           _Z26warp_exclusive_scan_kernelIiLj256ELj64EENSt9enable_ifIXntsr10test_utilsE35device_test_enabled_for_warp_size_vIXT1_EEEvE4typeEPT_S4_S3_
    .private_segment_fixed_size: 0
    .sgpr_count:     0
    .sgpr_spill_count: 0
    .symbol:         _Z26warp_exclusive_scan_kernelIiLj256ELj64EENSt9enable_ifIXntsr10test_utilsE35device_test_enabled_for_warp_size_vIXT1_EEEvE4typeEPT_S4_S3_.kd
    .uniform_work_group_size: 1
    .uses_dynamic_stack: false
    .vgpr_count:     0
    .vgpr_spill_count: 0
    .wavefront_size: 32
    .workgroup_processor_mode: 1
  - .args:
      - .address_space:  global
        .offset:         0
        .size:           8
        .value_kind:     global_buffer
      - .address_space:  global
        .offset:         8
        .size:           8
        .value_kind:     global_buffer
      - .offset:         16
        .size:           4
        .value_kind:     by_value
      - .offset:         24
        .size:           4
        .value_kind:     hidden_block_count_x
      - .offset:         28
        .size:           4
        .value_kind:     hidden_block_count_y
      - .offset:         32
        .size:           4
        .value_kind:     hidden_block_count_z
      - .offset:         36
        .size:           2
        .value_kind:     hidden_group_size_x
      - .offset:         38
        .size:           2
        .value_kind:     hidden_group_size_y
      - .offset:         40
        .size:           2
        .value_kind:     hidden_group_size_z
      - .offset:         42
        .size:           2
        .value_kind:     hidden_remainder_x
      - .offset:         44
        .size:           2
        .value_kind:     hidden_remainder_y
      - .offset:         46
        .size:           2
        .value_kind:     hidden_remainder_z
      - .offset:         64
        .size:           8
        .value_kind:     hidden_global_offset_x
      - .offset:         72
        .size:           8
        .value_kind:     hidden_global_offset_y
      - .offset:         80
        .size:           8
        .value_kind:     hidden_global_offset_z
      - .offset:         88
        .size:           2
        .value_kind:     hidden_grid_dims
    .group_segment_fixed_size: 0
    .kernarg_segment_align: 8
    .kernarg_segment_size: 280
    .language:       OpenCL C
    .language_version:
      - 2
      - 0
    .max_flat_workgroup_size: 128
    .name:           _Z26warp_exclusive_scan_kernelIiLj128ELj32EENSt9enable_ifIXsr10test_utilsE35device_test_enabled_for_warp_size_vIXT1_EEEvE4typeEPT_S4_S3_
    .private_segment_fixed_size: 0
    .sgpr_count:     18
    .sgpr_spill_count: 0
    .symbol:         _Z26warp_exclusive_scan_kernelIiLj128ELj32EENSt9enable_ifIXsr10test_utilsE35device_test_enabled_for_warp_size_vIXT1_EEEvE4typeEPT_S4_S3_.kd
    .uniform_work_group_size: 1
    .uses_dynamic_stack: false
    .vgpr_count:     7
    .vgpr_spill_count: 0
    .wavefront_size: 32
    .workgroup_processor_mode: 1
  - .args:
      - .address_space:  global
        .offset:         0
        .size:           8
        .value_kind:     global_buffer
      - .address_space:  global
        .offset:         8
        .size:           8
        .value_kind:     global_buffer
      - .offset:         16
        .size:           4
        .value_kind:     by_value
      - .offset:         24
        .size:           4
        .value_kind:     hidden_block_count_x
      - .offset:         28
        .size:           4
        .value_kind:     hidden_block_count_y
      - .offset:         32
        .size:           4
        .value_kind:     hidden_block_count_z
      - .offset:         36
        .size:           2
        .value_kind:     hidden_group_size_x
      - .offset:         38
        .size:           2
        .value_kind:     hidden_group_size_y
      - .offset:         40
        .size:           2
        .value_kind:     hidden_group_size_z
      - .offset:         42
        .size:           2
        .value_kind:     hidden_remainder_x
      - .offset:         44
        .size:           2
        .value_kind:     hidden_remainder_y
      - .offset:         46
        .size:           2
        .value_kind:     hidden_remainder_z
      - .offset:         64
        .size:           8
        .value_kind:     hidden_global_offset_x
      - .offset:         72
        .size:           8
        .value_kind:     hidden_global_offset_y
      - .offset:         80
        .size:           8
        .value_kind:     hidden_global_offset_z
      - .offset:         88
        .size:           2
        .value_kind:     hidden_grid_dims
    .group_segment_fixed_size: 0
    .kernarg_segment_align: 8
    .kernarg_segment_size: 280
    .language:       OpenCL C
    .language_version:
      - 2
      - 0
    .max_flat_workgroup_size: 64
    .name:           _Z26warp_exclusive_scan_kernelIiLj64ELj16EENSt9enable_ifIXsr10test_utilsE35device_test_enabled_for_warp_size_vIXT1_EEEvE4typeEPT_S4_S3_
    .private_segment_fixed_size: 0
    .sgpr_count:     18
    .sgpr_spill_count: 0
    .symbol:         _Z26warp_exclusive_scan_kernelIiLj64ELj16EENSt9enable_ifIXsr10test_utilsE35device_test_enabled_for_warp_size_vIXT1_EEEvE4typeEPT_S4_S3_.kd
    .uniform_work_group_size: 1
    .uses_dynamic_stack: false
    .vgpr_count:     8
    .vgpr_spill_count: 0
    .wavefront_size: 32
    .workgroup_processor_mode: 1
  - .args:
      - .address_space:  global
        .offset:         0
        .size:           8
        .value_kind:     global_buffer
      - .address_space:  global
        .offset:         8
        .size:           8
        .value_kind:     global_buffer
      - .offset:         16
        .size:           4
        .value_kind:     by_value
      - .offset:         24
        .size:           4
        .value_kind:     hidden_block_count_x
      - .offset:         28
        .size:           4
        .value_kind:     hidden_block_count_y
      - .offset:         32
        .size:           4
        .value_kind:     hidden_block_count_z
      - .offset:         36
        .size:           2
        .value_kind:     hidden_group_size_x
      - .offset:         38
        .size:           2
        .value_kind:     hidden_group_size_y
      - .offset:         40
        .size:           2
        .value_kind:     hidden_group_size_z
      - .offset:         42
        .size:           2
        .value_kind:     hidden_remainder_x
      - .offset:         44
        .size:           2
        .value_kind:     hidden_remainder_y
      - .offset:         46
        .size:           2
        .value_kind:     hidden_remainder_z
      - .offset:         64
        .size:           8
        .value_kind:     hidden_global_offset_x
      - .offset:         72
        .size:           8
        .value_kind:     hidden_global_offset_y
      - .offset:         80
        .size:           8
        .value_kind:     hidden_global_offset_z
      - .offset:         88
        .size:           2
        .value_kind:     hidden_grid_dims
    .group_segment_fixed_size: 0
    .kernarg_segment_align: 8
    .kernarg_segment_size: 280
    .language:       OpenCL C
    .language_version:
      - 2
      - 0
    .max_flat_workgroup_size: 32
    .name:           _Z26warp_exclusive_scan_kernelIiLj32ELj8EENSt9enable_ifIXsr10test_utilsE35device_test_enabled_for_warp_size_vIXT1_EEEvE4typeEPT_S4_S3_
    .private_segment_fixed_size: 0
    .sgpr_count:     18
    .sgpr_spill_count: 0
    .symbol:         _Z26warp_exclusive_scan_kernelIiLj32ELj8EENSt9enable_ifIXsr10test_utilsE35device_test_enabled_for_warp_size_vIXT1_EEEvE4typeEPT_S4_S3_.kd
    .uniform_work_group_size: 1
    .uses_dynamic_stack: false
    .vgpr_count:     8
    .vgpr_spill_count: 0
    .wavefront_size: 32
    .workgroup_processor_mode: 1
  - .args:
      - .address_space:  global
        .offset:         0
        .size:           8
        .value_kind:     global_buffer
      - .address_space:  global
        .offset:         8
        .size:           8
        .value_kind:     global_buffer
      - .offset:         16
        .size:           4
        .value_kind:     by_value
      - .offset:         24
        .size:           4
        .value_kind:     hidden_block_count_x
      - .offset:         28
        .size:           4
        .value_kind:     hidden_block_count_y
      - .offset:         32
        .size:           4
        .value_kind:     hidden_block_count_z
      - .offset:         36
        .size:           2
        .value_kind:     hidden_group_size_x
      - .offset:         38
        .size:           2
        .value_kind:     hidden_group_size_y
      - .offset:         40
        .size:           2
        .value_kind:     hidden_group_size_z
      - .offset:         42
        .size:           2
        .value_kind:     hidden_remainder_x
      - .offset:         44
        .size:           2
        .value_kind:     hidden_remainder_y
      - .offset:         46
        .size:           2
        .value_kind:     hidden_remainder_z
      - .offset:         64
        .size:           8
        .value_kind:     hidden_global_offset_x
      - .offset:         72
        .size:           8
        .value_kind:     hidden_global_offset_y
      - .offset:         80
        .size:           8
        .value_kind:     hidden_global_offset_z
      - .offset:         88
        .size:           2
        .value_kind:     hidden_grid_dims
    .group_segment_fixed_size: 0
    .kernarg_segment_align: 8
    .kernarg_segment_size: 280
    .language:       OpenCL C
    .language_version:
      - 2
      - 0
    .max_flat_workgroup_size: 64
    .name:           _Z26warp_exclusive_scan_kernelIiLj64ELj8EENSt9enable_ifIXsr10test_utilsE35device_test_enabled_for_warp_size_vIXT1_EEEvE4typeEPT_S4_S3_
    .private_segment_fixed_size: 0
    .sgpr_count:     18
    .sgpr_spill_count: 0
    .symbol:         _Z26warp_exclusive_scan_kernelIiLj64ELj8EENSt9enable_ifIXsr10test_utilsE35device_test_enabled_for_warp_size_vIXT1_EEEvE4typeEPT_S4_S3_.kd
    .uniform_work_group_size: 1
    .uses_dynamic_stack: false
    .vgpr_count:     8
    .vgpr_spill_count: 0
    .wavefront_size: 32
    .workgroup_processor_mode: 1
  - .args:
      - .address_space:  global
        .offset:         0
        .size:           8
        .value_kind:     global_buffer
      - .address_space:  global
        .offset:         8
        .size:           8
        .value_kind:     global_buffer
      - .offset:         16
        .size:           4
        .value_kind:     by_value
      - .offset:         24
        .size:           4
        .value_kind:     hidden_block_count_x
      - .offset:         28
        .size:           4
        .value_kind:     hidden_block_count_y
      - .offset:         32
        .size:           4
        .value_kind:     hidden_block_count_z
      - .offset:         36
        .size:           2
        .value_kind:     hidden_group_size_x
      - .offset:         38
        .size:           2
        .value_kind:     hidden_group_size_y
      - .offset:         40
        .size:           2
        .value_kind:     hidden_group_size_z
      - .offset:         42
        .size:           2
        .value_kind:     hidden_remainder_x
      - .offset:         44
        .size:           2
        .value_kind:     hidden_remainder_y
      - .offset:         46
        .size:           2
        .value_kind:     hidden_remainder_z
      - .offset:         64
        .size:           8
        .value_kind:     hidden_global_offset_x
      - .offset:         72
        .size:           8
        .value_kind:     hidden_global_offset_y
      - .offset:         80
        .size:           8
        .value_kind:     hidden_global_offset_z
      - .offset:         88
        .size:           2
        .value_kind:     hidden_grid_dims
    .group_segment_fixed_size: 0
    .kernarg_segment_align: 8
    .kernarg_segment_size: 280
    .language:       OpenCL C
    .language_version:
      - 2
      - 0
    .max_flat_workgroup_size: 32
    .name:           _Z26warp_exclusive_scan_kernelIiLj32ELj4EENSt9enable_ifIXsr10test_utilsE35device_test_enabled_for_warp_size_vIXT1_EEEvE4typeEPT_S4_S3_
    .private_segment_fixed_size: 0
    .sgpr_count:     18
    .sgpr_spill_count: 0
    .symbol:         _Z26warp_exclusive_scan_kernelIiLj32ELj4EENSt9enable_ifIXsr10test_utilsE35device_test_enabled_for_warp_size_vIXT1_EEEvE4typeEPT_S4_S3_.kd
    .uniform_work_group_size: 1
    .uses_dynamic_stack: false
    .vgpr_count:     8
    .vgpr_spill_count: 0
    .wavefront_size: 32
    .workgroup_processor_mode: 1
  - .args:
      - .address_space:  global
        .offset:         0
        .size:           8
        .value_kind:     global_buffer
      - .address_space:  global
        .offset:         8
        .size:           8
        .value_kind:     global_buffer
      - .offset:         16
        .size:           4
        .value_kind:     by_value
      - .offset:         24
        .size:           4
        .value_kind:     hidden_block_count_x
      - .offset:         28
        .size:           4
        .value_kind:     hidden_block_count_y
      - .offset:         32
        .size:           4
        .value_kind:     hidden_block_count_z
      - .offset:         36
        .size:           2
        .value_kind:     hidden_group_size_x
      - .offset:         38
        .size:           2
        .value_kind:     hidden_group_size_y
      - .offset:         40
        .size:           2
        .value_kind:     hidden_group_size_z
      - .offset:         42
        .size:           2
        .value_kind:     hidden_remainder_x
      - .offset:         44
        .size:           2
        .value_kind:     hidden_remainder_y
      - .offset:         46
        .size:           2
        .value_kind:     hidden_remainder_z
      - .offset:         64
        .size:           8
        .value_kind:     hidden_global_offset_x
      - .offset:         72
        .size:           8
        .value_kind:     hidden_global_offset_y
      - .offset:         80
        .size:           8
        .value_kind:     hidden_global_offset_z
      - .offset:         88
        .size:           2
        .value_kind:     hidden_grid_dims
    .group_segment_fixed_size: 0
    .kernarg_segment_align: 8
    .kernarg_segment_size: 280
    .language:       OpenCL C
    .language_version:
      - 2
      - 0
    .max_flat_workgroup_size: 64
    .name:           _Z26warp_exclusive_scan_kernelIiLj64ELj4EENSt9enable_ifIXsr10test_utilsE35device_test_enabled_for_warp_size_vIXT1_EEEvE4typeEPT_S4_S3_
    .private_segment_fixed_size: 0
    .sgpr_count:     18
    .sgpr_spill_count: 0
    .symbol:         _Z26warp_exclusive_scan_kernelIiLj64ELj4EENSt9enable_ifIXsr10test_utilsE35device_test_enabled_for_warp_size_vIXT1_EEEvE4typeEPT_S4_S3_.kd
    .uniform_work_group_size: 1
    .uses_dynamic_stack: false
    .vgpr_count:     8
    .vgpr_spill_count: 0
    .wavefront_size: 32
    .workgroup_processor_mode: 1
  - .args:
      - .address_space:  global
        .offset:         0
        .size:           8
        .value_kind:     global_buffer
      - .address_space:  global
        .offset:         8
        .size:           8
        .value_kind:     global_buffer
      - .offset:         16
        .size:           4
        .value_kind:     by_value
      - .offset:         24
        .size:           4
        .value_kind:     hidden_block_count_x
      - .offset:         28
        .size:           4
        .value_kind:     hidden_block_count_y
      - .offset:         32
        .size:           4
        .value_kind:     hidden_block_count_z
      - .offset:         36
        .size:           2
        .value_kind:     hidden_group_size_x
      - .offset:         38
        .size:           2
        .value_kind:     hidden_group_size_y
      - .offset:         40
        .size:           2
        .value_kind:     hidden_group_size_z
      - .offset:         42
        .size:           2
        .value_kind:     hidden_remainder_x
      - .offset:         44
        .size:           2
        .value_kind:     hidden_remainder_y
      - .offset:         46
        .size:           2
        .value_kind:     hidden_remainder_z
      - .offset:         64
        .size:           8
        .value_kind:     hidden_global_offset_x
      - .offset:         72
        .size:           8
        .value_kind:     hidden_global_offset_y
      - .offset:         80
        .size:           8
        .value_kind:     hidden_global_offset_z
      - .offset:         88
        .size:           2
        .value_kind:     hidden_grid_dims
    .group_segment_fixed_size: 0
    .kernarg_segment_align: 8
    .kernarg_segment_size: 280
    .language:       OpenCL C
    .language_version:
      - 2
      - 0
    .max_flat_workgroup_size: 32
    .name:           _Z26warp_exclusive_scan_kernelIiLj32ELj2EENSt9enable_ifIXsr10test_utilsE35device_test_enabled_for_warp_size_vIXT1_EEEvE4typeEPT_S4_S3_
    .private_segment_fixed_size: 0
    .sgpr_count:     18
    .sgpr_spill_count: 0
    .symbol:         _Z26warp_exclusive_scan_kernelIiLj32ELj2EENSt9enable_ifIXsr10test_utilsE35device_test_enabled_for_warp_size_vIXT1_EEEvE4typeEPT_S4_S3_.kd
    .uniform_work_group_size: 1
    .uses_dynamic_stack: false
    .vgpr_count:     8
    .vgpr_spill_count: 0
    .wavefront_size: 32
    .workgroup_processor_mode: 1
  - .args:
      - .address_space:  global
        .offset:         0
        .size:           8
        .value_kind:     global_buffer
      - .address_space:  global
        .offset:         8
        .size:           8
        .value_kind:     global_buffer
      - .offset:         16
        .size:           4
        .value_kind:     by_value
      - .offset:         24
        .size:           4
        .value_kind:     hidden_block_count_x
      - .offset:         28
        .size:           4
        .value_kind:     hidden_block_count_y
      - .offset:         32
        .size:           4
        .value_kind:     hidden_block_count_z
      - .offset:         36
        .size:           2
        .value_kind:     hidden_group_size_x
      - .offset:         38
        .size:           2
        .value_kind:     hidden_group_size_y
      - .offset:         40
        .size:           2
        .value_kind:     hidden_group_size_z
      - .offset:         42
        .size:           2
        .value_kind:     hidden_remainder_x
      - .offset:         44
        .size:           2
        .value_kind:     hidden_remainder_y
      - .offset:         46
        .size:           2
        .value_kind:     hidden_remainder_z
      - .offset:         64
        .size:           8
        .value_kind:     hidden_global_offset_x
      - .offset:         72
        .size:           8
        .value_kind:     hidden_global_offset_y
      - .offset:         80
        .size:           8
        .value_kind:     hidden_global_offset_z
      - .offset:         88
        .size:           2
        .value_kind:     hidden_grid_dims
    .group_segment_fixed_size: 0
    .kernarg_segment_align: 8
    .kernarg_segment_size: 280
    .language:       OpenCL C
    .language_version:
      - 2
      - 0
    .max_flat_workgroup_size: 64
    .name:           _Z26warp_exclusive_scan_kernelIiLj64ELj2EENSt9enable_ifIXsr10test_utilsE35device_test_enabled_for_warp_size_vIXT1_EEEvE4typeEPT_S4_S3_
    .private_segment_fixed_size: 0
    .sgpr_count:     18
    .sgpr_spill_count: 0
    .symbol:         _Z26warp_exclusive_scan_kernelIiLj64ELj2EENSt9enable_ifIXsr10test_utilsE35device_test_enabled_for_warp_size_vIXT1_EEEvE4typeEPT_S4_S3_.kd
    .uniform_work_group_size: 1
    .uses_dynamic_stack: false
    .vgpr_count:     8
    .vgpr_spill_count: 0
    .wavefront_size: 32
    .workgroup_processor_mode: 1
  - .args:
      - .address_space:  global
        .offset:         0
        .size:           8
        .value_kind:     global_buffer
      - .address_space:  global
        .offset:         8
        .size:           8
        .value_kind:     global_buffer
      - .address_space:  global
        .offset:         16
        .size:           8
        .value_kind:     global_buffer
      - .offset:         24
        .size:           4
        .value_kind:     by_value
    .group_segment_fixed_size: 0
    .kernarg_segment_align: 8
    .kernarg_segment_size: 28
    .language:       OpenCL C
    .language_version:
      - 2
      - 0
    .max_flat_workgroup_size: 1
    .name:           _Z33warp_exclusive_scan_reduce_kernelIfLj1ELj61EENSt9enable_ifIXntsr10test_utilsE35device_test_enabled_for_warp_size_vIXT1_EEEvE4typeEPT_S4_S4_S3_
    .private_segment_fixed_size: 0
    .sgpr_count:     0
    .sgpr_spill_count: 0
    .symbol:         _Z33warp_exclusive_scan_reduce_kernelIfLj1ELj61EENSt9enable_ifIXntsr10test_utilsE35device_test_enabled_for_warp_size_vIXT1_EEEvE4typeEPT_S4_S4_S3_.kd
    .uniform_work_group_size: 1
    .uses_dynamic_stack: false
    .vgpr_count:     0
    .vgpr_spill_count: 0
    .wavefront_size: 32
    .workgroup_processor_mode: 1
  - .args:
      - .address_space:  global
        .offset:         0
        .size:           8
        .value_kind:     global_buffer
      - .address_space:  global
        .offset:         8
        .size:           8
        .value_kind:     global_buffer
      - .address_space:  global
        .offset:         16
        .size:           8
        .value_kind:     global_buffer
      - .offset:         24
        .size:           4
        .value_kind:     by_value
    .group_segment_fixed_size: 0
    .kernarg_segment_align: 8
    .kernarg_segment_size: 28
    .language:       OpenCL C
    .language_version:
      - 2
      - 0
    .max_flat_workgroup_size: 61
    .name:           _Z33warp_exclusive_scan_reduce_kernelIfLj61ELj61EENSt9enable_ifIXntsr10test_utilsE35device_test_enabled_for_warp_size_vIXT1_EEEvE4typeEPT_S4_S4_S3_
    .private_segment_fixed_size: 0
    .sgpr_count:     0
    .sgpr_spill_count: 0
    .symbol:         _Z33warp_exclusive_scan_reduce_kernelIfLj61ELj61EENSt9enable_ifIXntsr10test_utilsE35device_test_enabled_for_warp_size_vIXT1_EEEvE4typeEPT_S4_S4_S3_.kd
    .uniform_work_group_size: 1
    .uses_dynamic_stack: false
    .vgpr_count:     0
    .vgpr_spill_count: 0
    .wavefront_size: 32
    .workgroup_processor_mode: 1
  - .args:
      - .address_space:  global
        .offset:         0
        .size:           8
        .value_kind:     global_buffer
      - .address_space:  global
        .offset:         8
        .size:           8
        .value_kind:     global_buffer
      - .address_space:  global
        .offset:         16
        .size:           8
        .value_kind:     global_buffer
      - .offset:         24
        .size:           4
        .value_kind:     by_value
    .group_segment_fixed_size: 0
    .kernarg_segment_align: 8
    .kernarg_segment_size: 28
    .language:       OpenCL C
    .language_version:
      - 2
      - 0
    .max_flat_workgroup_size: 1
    .name:           _Z33warp_exclusive_scan_reduce_kernelIfLj1ELj37EENSt9enable_ifIXntsr10test_utilsE35device_test_enabled_for_warp_size_vIXT1_EEEvE4typeEPT_S4_S4_S3_
    .private_segment_fixed_size: 0
    .sgpr_count:     0
    .sgpr_spill_count: 0
    .symbol:         _Z33warp_exclusive_scan_reduce_kernelIfLj1ELj37EENSt9enable_ifIXntsr10test_utilsE35device_test_enabled_for_warp_size_vIXT1_EEEvE4typeEPT_S4_S4_S3_.kd
    .uniform_work_group_size: 1
    .uses_dynamic_stack: false
    .vgpr_count:     0
    .vgpr_spill_count: 0
    .wavefront_size: 32
    .workgroup_processor_mode: 1
  - .args:
      - .address_space:  global
        .offset:         0
        .size:           8
        .value_kind:     global_buffer
      - .address_space:  global
        .offset:         8
        .size:           8
        .value_kind:     global_buffer
      - .address_space:  global
        .offset:         16
        .size:           8
        .value_kind:     global_buffer
      - .offset:         24
        .size:           4
        .value_kind:     by_value
    .group_segment_fixed_size: 0
    .kernarg_segment_align: 8
    .kernarg_segment_size: 28
    .language:       OpenCL C
    .language_version:
      - 2
      - 0
    .max_flat_workgroup_size: 37
    .name:           _Z33warp_exclusive_scan_reduce_kernelIfLj37ELj37EENSt9enable_ifIXntsr10test_utilsE35device_test_enabled_for_warp_size_vIXT1_EEEvE4typeEPT_S4_S4_S3_
    .private_segment_fixed_size: 0
    .sgpr_count:     0
    .sgpr_spill_count: 0
    .symbol:         _Z33warp_exclusive_scan_reduce_kernelIfLj37ELj37EENSt9enable_ifIXntsr10test_utilsE35device_test_enabled_for_warp_size_vIXT1_EEEvE4typeEPT_S4_S4_S3_.kd
    .uniform_work_group_size: 1
    .uses_dynamic_stack: false
    .vgpr_count:     0
    .vgpr_spill_count: 0
    .wavefront_size: 32
    .workgroup_processor_mode: 1
  - .args:
      - .address_space:  global
        .offset:         0
        .size:           8
        .value_kind:     global_buffer
      - .address_space:  global
        .offset:         8
        .size:           8
        .value_kind:     global_buffer
      - .address_space:  global
        .offset:         16
        .size:           8
        .value_kind:     global_buffer
      - .offset:         24
        .size:           4
        .value_kind:     by_value
      - .offset:         32
        .size:           4
        .value_kind:     hidden_block_count_x
      - .offset:         36
        .size:           4
        .value_kind:     hidden_block_count_y
      - .offset:         40
        .size:           4
        .value_kind:     hidden_block_count_z
      - .offset:         44
        .size:           2
        .value_kind:     hidden_group_size_x
      - .offset:         46
        .size:           2
        .value_kind:     hidden_group_size_y
      - .offset:         48
        .size:           2
        .value_kind:     hidden_group_size_z
      - .offset:         50
        .size:           2
        .value_kind:     hidden_remainder_x
      - .offset:         52
        .size:           2
        .value_kind:     hidden_remainder_y
      - .offset:         54
        .size:           2
        .value_kind:     hidden_remainder_z
      - .offset:         72
        .size:           8
        .value_kind:     hidden_global_offset_x
      - .offset:         80
        .size:           8
        .value_kind:     hidden_global_offset_y
      - .offset:         88
        .size:           8
        .value_kind:     hidden_global_offset_z
      - .offset:         96
        .size:           2
        .value_kind:     hidden_grid_dims
    .group_segment_fixed_size: 120
    .kernarg_segment_align: 8
    .kernarg_segment_size: 288
    .language:       OpenCL C
    .language_version:
      - 2
      - 0
    .max_flat_workgroup_size: 30
    .name:           _Z33warp_exclusive_scan_reduce_kernelIfLj30ELj15EENSt9enable_ifIXsr10test_utilsE35device_test_enabled_for_warp_size_vIXT1_EEEvE4typeEPT_S4_S4_S3_
    .private_segment_fixed_size: 0
    .sgpr_count:     18
    .sgpr_spill_count: 0
    .symbol:         _Z33warp_exclusive_scan_reduce_kernelIfLj30ELj15EENSt9enable_ifIXsr10test_utilsE35device_test_enabled_for_warp_size_vIXT1_EEEvE4typeEPT_S4_S4_S3_.kd
    .uniform_work_group_size: 1
    .uses_dynamic_stack: false
    .vgpr_count:     10
    .vgpr_spill_count: 0
    .wavefront_size: 32
    .workgroup_processor_mode: 1
  - .args:
      - .address_space:  global
        .offset:         0
        .size:           8
        .value_kind:     global_buffer
      - .address_space:  global
        .offset:         8
        .size:           8
        .value_kind:     global_buffer
      - .address_space:  global
        .offset:         16
        .size:           8
        .value_kind:     global_buffer
      - .offset:         24
        .size:           4
        .value_kind:     by_value
      - .offset:         32
        .size:           4
        .value_kind:     hidden_block_count_x
      - .offset:         36
        .size:           4
        .value_kind:     hidden_block_count_y
      - .offset:         40
        .size:           4
        .value_kind:     hidden_block_count_z
      - .offset:         44
        .size:           2
        .value_kind:     hidden_group_size_x
      - .offset:         46
        .size:           2
        .value_kind:     hidden_group_size_y
      - .offset:         48
        .size:           2
        .value_kind:     hidden_group_size_z
      - .offset:         50
        .size:           2
        .value_kind:     hidden_remainder_x
      - .offset:         52
        .size:           2
        .value_kind:     hidden_remainder_y
      - .offset:         54
        .size:           2
        .value_kind:     hidden_remainder_z
      - .offset:         72
        .size:           8
        .value_kind:     hidden_global_offset_x
      - .offset:         80
        .size:           8
        .value_kind:     hidden_global_offset_y
      - .offset:         88
        .size:           8
        .value_kind:     hidden_global_offset_z
      - .offset:         96
        .size:           2
        .value_kind:     hidden_grid_dims
    .group_segment_fixed_size: 240
    .kernarg_segment_align: 8
    .kernarg_segment_size: 288
    .language:       OpenCL C
    .language_version:
      - 2
      - 0
    .max_flat_workgroup_size: 60
    .name:           _Z33warp_exclusive_scan_reduce_kernelIfLj60ELj15EENSt9enable_ifIXsr10test_utilsE35device_test_enabled_for_warp_size_vIXT1_EEEvE4typeEPT_S4_S4_S3_
    .private_segment_fixed_size: 0
    .sgpr_count:     18
    .sgpr_spill_count: 0
    .symbol:         _Z33warp_exclusive_scan_reduce_kernelIfLj60ELj15EENSt9enable_ifIXsr10test_utilsE35device_test_enabled_for_warp_size_vIXT1_EEEvE4typeEPT_S4_S4_S3_.kd
    .uniform_work_group_size: 1
    .uses_dynamic_stack: false
    .vgpr_count:     10
    .vgpr_spill_count: 0
    .wavefront_size: 32
    .workgroup_processor_mode: 1
  - .args:
      - .address_space:  global
        .offset:         0
        .size:           8
        .value_kind:     global_buffer
      - .address_space:  global
        .offset:         8
        .size:           8
        .value_kind:     global_buffer
      - .address_space:  global
        .offset:         16
        .size:           8
        .value_kind:     global_buffer
      - .offset:         24
        .size:           4
        .value_kind:     by_value
      - .offset:         32
        .size:           4
        .value_kind:     hidden_block_count_x
      - .offset:         36
        .size:           4
        .value_kind:     hidden_block_count_y
      - .offset:         40
        .size:           4
        .value_kind:     hidden_block_count_z
      - .offset:         44
        .size:           2
        .value_kind:     hidden_group_size_x
      - .offset:         46
        .size:           2
        .value_kind:     hidden_group_size_y
      - .offset:         48
        .size:           2
        .value_kind:     hidden_group_size_z
      - .offset:         50
        .size:           2
        .value_kind:     hidden_remainder_x
      - .offset:         52
        .size:           2
        .value_kind:     hidden_remainder_y
      - .offset:         54
        .size:           2
        .value_kind:     hidden_remainder_z
      - .offset:         72
        .size:           8
        .value_kind:     hidden_global_offset_x
      - .offset:         80
        .size:           8
        .value_kind:     hidden_global_offset_y
      - .offset:         88
        .size:           8
        .value_kind:     hidden_global_offset_z
      - .offset:         96
        .size:           2
        .value_kind:     hidden_grid_dims
    .group_segment_fixed_size: 112
    .kernarg_segment_align: 8
    .kernarg_segment_size: 288
    .language:       OpenCL C
    .language_version:
      - 2
      - 0
    .max_flat_workgroup_size: 28
    .name:           _Z33warp_exclusive_scan_reduce_kernelIfLj28ELj7EENSt9enable_ifIXsr10test_utilsE35device_test_enabled_for_warp_size_vIXT1_EEEvE4typeEPT_S4_S4_S3_
    .private_segment_fixed_size: 0
    .sgpr_count:     18
    .sgpr_spill_count: 0
    .symbol:         _Z33warp_exclusive_scan_reduce_kernelIfLj28ELj7EENSt9enable_ifIXsr10test_utilsE35device_test_enabled_for_warp_size_vIXT1_EEEvE4typeEPT_S4_S4_S3_.kd
    .uniform_work_group_size: 1
    .uses_dynamic_stack: false
    .vgpr_count:     10
    .vgpr_spill_count: 0
    .wavefront_size: 32
    .workgroup_processor_mode: 1
  - .args:
      - .address_space:  global
        .offset:         0
        .size:           8
        .value_kind:     global_buffer
      - .address_space:  global
        .offset:         8
        .size:           8
        .value_kind:     global_buffer
      - .address_space:  global
        .offset:         16
        .size:           8
        .value_kind:     global_buffer
      - .offset:         24
        .size:           4
        .value_kind:     by_value
      - .offset:         32
        .size:           4
        .value_kind:     hidden_block_count_x
      - .offset:         36
        .size:           4
        .value_kind:     hidden_block_count_y
      - .offset:         40
        .size:           4
        .value_kind:     hidden_block_count_z
      - .offset:         44
        .size:           2
        .value_kind:     hidden_group_size_x
      - .offset:         46
        .size:           2
        .value_kind:     hidden_group_size_y
      - .offset:         48
        .size:           2
        .value_kind:     hidden_group_size_z
      - .offset:         50
        .size:           2
        .value_kind:     hidden_remainder_x
      - .offset:         52
        .size:           2
        .value_kind:     hidden_remainder_y
      - .offset:         54
        .size:           2
        .value_kind:     hidden_remainder_z
      - .offset:         72
        .size:           8
        .value_kind:     hidden_global_offset_x
      - .offset:         80
        .size:           8
        .value_kind:     hidden_global_offset_y
      - .offset:         88
        .size:           8
        .value_kind:     hidden_global_offset_z
      - .offset:         96
        .size:           2
        .value_kind:     hidden_grid_dims
    .group_segment_fixed_size: 252
    .kernarg_segment_align: 8
    .kernarg_segment_size: 288
    .language:       OpenCL C
    .language_version:
      - 2
      - 0
    .max_flat_workgroup_size: 63
    .name:           _Z33warp_exclusive_scan_reduce_kernelIfLj63ELj7EENSt9enable_ifIXsr10test_utilsE35device_test_enabled_for_warp_size_vIXT1_EEEvE4typeEPT_S4_S4_S3_
    .private_segment_fixed_size: 0
    .sgpr_count:     18
    .sgpr_spill_count: 0
    .symbol:         _Z33warp_exclusive_scan_reduce_kernelIfLj63ELj7EENSt9enable_ifIXsr10test_utilsE35device_test_enabled_for_warp_size_vIXT1_EEEvE4typeEPT_S4_S4_S3_.kd
    .uniform_work_group_size: 1
    .uses_dynamic_stack: false
    .vgpr_count:     10
    .vgpr_spill_count: 0
    .wavefront_size: 32
    .workgroup_processor_mode: 1
  - .args:
      - .address_space:  global
        .offset:         0
        .size:           8
        .value_kind:     global_buffer
      - .address_space:  global
        .offset:         8
        .size:           8
        .value_kind:     global_buffer
      - .address_space:  global
        .offset:         16
        .size:           8
        .value_kind:     global_buffer
      - .offset:         24
        .size:           4
        .value_kind:     by_value
      - .offset:         32
        .size:           4
        .value_kind:     hidden_block_count_x
      - .offset:         36
        .size:           4
        .value_kind:     hidden_block_count_y
      - .offset:         40
        .size:           4
        .value_kind:     hidden_block_count_z
      - .offset:         44
        .size:           2
        .value_kind:     hidden_group_size_x
      - .offset:         46
        .size:           2
        .value_kind:     hidden_group_size_y
      - .offset:         48
        .size:           2
        .value_kind:     hidden_group_size_z
      - .offset:         50
        .size:           2
        .value_kind:     hidden_remainder_x
      - .offset:         52
        .size:           2
        .value_kind:     hidden_remainder_y
      - .offset:         54
        .size:           2
        .value_kind:     hidden_remainder_z
      - .offset:         72
        .size:           8
        .value_kind:     hidden_global_offset_x
      - .offset:         80
        .size:           8
        .value_kind:     hidden_global_offset_y
      - .offset:         88
        .size:           8
        .value_kind:     hidden_global_offset_z
      - .offset:         96
        .size:           2
        .value_kind:     hidden_grid_dims
    .group_segment_fixed_size: 120
    .kernarg_segment_align: 8
    .kernarg_segment_size: 288
    .language:       OpenCL C
    .language_version:
      - 2
      - 0
    .max_flat_workgroup_size: 30
    .name:           _Z33warp_exclusive_scan_reduce_kernelIfLj30ELj3EENSt9enable_ifIXsr10test_utilsE35device_test_enabled_for_warp_size_vIXT1_EEEvE4typeEPT_S4_S4_S3_
    .private_segment_fixed_size: 0
    .sgpr_count:     18
    .sgpr_spill_count: 0
    .symbol:         _Z33warp_exclusive_scan_reduce_kernelIfLj30ELj3EENSt9enable_ifIXsr10test_utilsE35device_test_enabled_for_warp_size_vIXT1_EEEvE4typeEPT_S4_S4_S3_.kd
    .uniform_work_group_size: 1
    .uses_dynamic_stack: false
    .vgpr_count:     10
    .vgpr_spill_count: 0
    .wavefront_size: 32
    .workgroup_processor_mode: 1
  - .args:
      - .address_space:  global
        .offset:         0
        .size:           8
        .value_kind:     global_buffer
      - .address_space:  global
        .offset:         8
        .size:           8
        .value_kind:     global_buffer
      - .address_space:  global
        .offset:         16
        .size:           8
        .value_kind:     global_buffer
      - .offset:         24
        .size:           4
        .value_kind:     by_value
      - .offset:         32
        .size:           4
        .value_kind:     hidden_block_count_x
      - .offset:         36
        .size:           4
        .value_kind:     hidden_block_count_y
      - .offset:         40
        .size:           4
        .value_kind:     hidden_block_count_z
      - .offset:         44
        .size:           2
        .value_kind:     hidden_group_size_x
      - .offset:         46
        .size:           2
        .value_kind:     hidden_group_size_y
      - .offset:         48
        .size:           2
        .value_kind:     hidden_group_size_z
      - .offset:         50
        .size:           2
        .value_kind:     hidden_remainder_x
      - .offset:         52
        .size:           2
        .value_kind:     hidden_remainder_y
      - .offset:         54
        .size:           2
        .value_kind:     hidden_remainder_z
      - .offset:         72
        .size:           8
        .value_kind:     hidden_global_offset_x
      - .offset:         80
        .size:           8
        .value_kind:     hidden_global_offset_y
      - .offset:         88
        .size:           8
        .value_kind:     hidden_global_offset_z
      - .offset:         96
        .size:           2
        .value_kind:     hidden_grid_dims
    .group_segment_fixed_size: 252
    .kernarg_segment_align: 8
    .kernarg_segment_size: 288
    .language:       OpenCL C
    .language_version:
      - 2
      - 0
    .max_flat_workgroup_size: 63
    .name:           _Z33warp_exclusive_scan_reduce_kernelIfLj63ELj3EENSt9enable_ifIXsr10test_utilsE35device_test_enabled_for_warp_size_vIXT1_EEEvE4typeEPT_S4_S4_S3_
    .private_segment_fixed_size: 0
    .sgpr_count:     18
    .sgpr_spill_count: 0
    .symbol:         _Z33warp_exclusive_scan_reduce_kernelIfLj63ELj3EENSt9enable_ifIXsr10test_utilsE35device_test_enabled_for_warp_size_vIXT1_EEEvE4typeEPT_S4_S4_S3_.kd
    .uniform_work_group_size: 1
    .uses_dynamic_stack: false
    .vgpr_count:     10
    .vgpr_spill_count: 0
    .wavefront_size: 32
    .workgroup_processor_mode: 1
  - .args:
      - .address_space:  global
        .offset:         0
        .size:           8
        .value_kind:     global_buffer
      - .address_space:  global
        .offset:         8
        .size:           8
        .value_kind:     global_buffer
      - .address_space:  global
        .offset:         16
        .size:           8
        .value_kind:     global_buffer
      - .offset:         24
        .size:           4
        .value_kind:     by_value
    .group_segment_fixed_size: 0
    .kernarg_segment_align: 8
    .kernarg_segment_size: 28
    .language:       OpenCL C
    .language_version:
      - 2
      - 0
    .max_flat_workgroup_size: 1
    .name:           _Z33warp_exclusive_scan_reduce_kernelIiLj1ELj61EENSt9enable_ifIXntsr10test_utilsE35device_test_enabled_for_warp_size_vIXT1_EEEvE4typeEPT_S4_S4_S3_
    .private_segment_fixed_size: 0
    .sgpr_count:     0
    .sgpr_spill_count: 0
    .symbol:         _Z33warp_exclusive_scan_reduce_kernelIiLj1ELj61EENSt9enable_ifIXntsr10test_utilsE35device_test_enabled_for_warp_size_vIXT1_EEEvE4typeEPT_S4_S4_S3_.kd
    .uniform_work_group_size: 1
    .uses_dynamic_stack: false
    .vgpr_count:     0
    .vgpr_spill_count: 0
    .wavefront_size: 32
    .workgroup_processor_mode: 1
  - .args:
      - .address_space:  global
        .offset:         0
        .size:           8
        .value_kind:     global_buffer
      - .address_space:  global
        .offset:         8
        .size:           8
        .value_kind:     global_buffer
      - .address_space:  global
        .offset:         16
        .size:           8
        .value_kind:     global_buffer
      - .offset:         24
        .size:           4
        .value_kind:     by_value
    .group_segment_fixed_size: 0
    .kernarg_segment_align: 8
    .kernarg_segment_size: 28
    .language:       OpenCL C
    .language_version:
      - 2
      - 0
    .max_flat_workgroup_size: 61
    .name:           _Z33warp_exclusive_scan_reduce_kernelIiLj61ELj61EENSt9enable_ifIXntsr10test_utilsE35device_test_enabled_for_warp_size_vIXT1_EEEvE4typeEPT_S4_S4_S3_
    .private_segment_fixed_size: 0
    .sgpr_count:     0
    .sgpr_spill_count: 0
    .symbol:         _Z33warp_exclusive_scan_reduce_kernelIiLj61ELj61EENSt9enable_ifIXntsr10test_utilsE35device_test_enabled_for_warp_size_vIXT1_EEEvE4typeEPT_S4_S4_S3_.kd
    .uniform_work_group_size: 1
    .uses_dynamic_stack: false
    .vgpr_count:     0
    .vgpr_spill_count: 0
    .wavefront_size: 32
    .workgroup_processor_mode: 1
  - .args:
      - .address_space:  global
        .offset:         0
        .size:           8
        .value_kind:     global_buffer
      - .address_space:  global
        .offset:         8
        .size:           8
        .value_kind:     global_buffer
      - .address_space:  global
        .offset:         16
        .size:           8
        .value_kind:     global_buffer
      - .offset:         24
        .size:           4
        .value_kind:     by_value
    .group_segment_fixed_size: 0
    .kernarg_segment_align: 8
    .kernarg_segment_size: 28
    .language:       OpenCL C
    .language_version:
      - 2
      - 0
    .max_flat_workgroup_size: 1
    .name:           _Z33warp_exclusive_scan_reduce_kernelIiLj1ELj37EENSt9enable_ifIXntsr10test_utilsE35device_test_enabled_for_warp_size_vIXT1_EEEvE4typeEPT_S4_S4_S3_
    .private_segment_fixed_size: 0
    .sgpr_count:     0
    .sgpr_spill_count: 0
    .symbol:         _Z33warp_exclusive_scan_reduce_kernelIiLj1ELj37EENSt9enable_ifIXntsr10test_utilsE35device_test_enabled_for_warp_size_vIXT1_EEEvE4typeEPT_S4_S4_S3_.kd
    .uniform_work_group_size: 1
    .uses_dynamic_stack: false
    .vgpr_count:     0
    .vgpr_spill_count: 0
    .wavefront_size: 32
    .workgroup_processor_mode: 1
  - .args:
      - .address_space:  global
        .offset:         0
        .size:           8
        .value_kind:     global_buffer
      - .address_space:  global
        .offset:         8
        .size:           8
        .value_kind:     global_buffer
      - .address_space:  global
        .offset:         16
        .size:           8
        .value_kind:     global_buffer
      - .offset:         24
        .size:           4
        .value_kind:     by_value
    .group_segment_fixed_size: 0
    .kernarg_segment_align: 8
    .kernarg_segment_size: 28
    .language:       OpenCL C
    .language_version:
      - 2
      - 0
    .max_flat_workgroup_size: 37
    .name:           _Z33warp_exclusive_scan_reduce_kernelIiLj37ELj37EENSt9enable_ifIXntsr10test_utilsE35device_test_enabled_for_warp_size_vIXT1_EEEvE4typeEPT_S4_S4_S3_
    .private_segment_fixed_size: 0
    .sgpr_count:     0
    .sgpr_spill_count: 0
    .symbol:         _Z33warp_exclusive_scan_reduce_kernelIiLj37ELj37EENSt9enable_ifIXntsr10test_utilsE35device_test_enabled_for_warp_size_vIXT1_EEEvE4typeEPT_S4_S4_S3_.kd
    .uniform_work_group_size: 1
    .uses_dynamic_stack: false
    .vgpr_count:     0
    .vgpr_spill_count: 0
    .wavefront_size: 32
    .workgroup_processor_mode: 1
  - .args:
      - .address_space:  global
        .offset:         0
        .size:           8
        .value_kind:     global_buffer
      - .address_space:  global
        .offset:         8
        .size:           8
        .value_kind:     global_buffer
      - .address_space:  global
        .offset:         16
        .size:           8
        .value_kind:     global_buffer
      - .offset:         24
        .size:           4
        .value_kind:     by_value
      - .offset:         32
        .size:           4
        .value_kind:     hidden_block_count_x
      - .offset:         36
        .size:           4
        .value_kind:     hidden_block_count_y
      - .offset:         40
        .size:           4
        .value_kind:     hidden_block_count_z
      - .offset:         44
        .size:           2
        .value_kind:     hidden_group_size_x
      - .offset:         46
        .size:           2
        .value_kind:     hidden_group_size_y
      - .offset:         48
        .size:           2
        .value_kind:     hidden_group_size_z
      - .offset:         50
        .size:           2
        .value_kind:     hidden_remainder_x
      - .offset:         52
        .size:           2
        .value_kind:     hidden_remainder_y
      - .offset:         54
        .size:           2
        .value_kind:     hidden_remainder_z
      - .offset:         72
        .size:           8
        .value_kind:     hidden_global_offset_x
      - .offset:         80
        .size:           8
        .value_kind:     hidden_global_offset_y
      - .offset:         88
        .size:           8
        .value_kind:     hidden_global_offset_z
      - .offset:         96
        .size:           2
        .value_kind:     hidden_grid_dims
    .group_segment_fixed_size: 120
    .kernarg_segment_align: 8
    .kernarg_segment_size: 288
    .language:       OpenCL C
    .language_version:
      - 2
      - 0
    .max_flat_workgroup_size: 30
    .name:           _Z33warp_exclusive_scan_reduce_kernelIiLj30ELj15EENSt9enable_ifIXsr10test_utilsE35device_test_enabled_for_warp_size_vIXT1_EEEvE4typeEPT_S4_S4_S3_
    .private_segment_fixed_size: 0
    .sgpr_count:     18
    .sgpr_spill_count: 0
    .symbol:         _Z33warp_exclusive_scan_reduce_kernelIiLj30ELj15EENSt9enable_ifIXsr10test_utilsE35device_test_enabled_for_warp_size_vIXT1_EEEvE4typeEPT_S4_S4_S3_.kd
    .uniform_work_group_size: 1
    .uses_dynamic_stack: false
    .vgpr_count:     10
    .vgpr_spill_count: 0
    .wavefront_size: 32
    .workgroup_processor_mode: 1
  - .args:
      - .address_space:  global
        .offset:         0
        .size:           8
        .value_kind:     global_buffer
      - .address_space:  global
        .offset:         8
        .size:           8
        .value_kind:     global_buffer
      - .address_space:  global
        .offset:         16
        .size:           8
        .value_kind:     global_buffer
      - .offset:         24
        .size:           4
        .value_kind:     by_value
      - .offset:         32
        .size:           4
        .value_kind:     hidden_block_count_x
      - .offset:         36
        .size:           4
        .value_kind:     hidden_block_count_y
      - .offset:         40
        .size:           4
        .value_kind:     hidden_block_count_z
      - .offset:         44
        .size:           2
        .value_kind:     hidden_group_size_x
      - .offset:         46
        .size:           2
        .value_kind:     hidden_group_size_y
      - .offset:         48
        .size:           2
        .value_kind:     hidden_group_size_z
      - .offset:         50
        .size:           2
        .value_kind:     hidden_remainder_x
      - .offset:         52
        .size:           2
        .value_kind:     hidden_remainder_y
      - .offset:         54
        .size:           2
        .value_kind:     hidden_remainder_z
      - .offset:         72
        .size:           8
        .value_kind:     hidden_global_offset_x
      - .offset:         80
        .size:           8
        .value_kind:     hidden_global_offset_y
      - .offset:         88
        .size:           8
        .value_kind:     hidden_global_offset_z
      - .offset:         96
        .size:           2
        .value_kind:     hidden_grid_dims
    .group_segment_fixed_size: 240
    .kernarg_segment_align: 8
    .kernarg_segment_size: 288
    .language:       OpenCL C
    .language_version:
      - 2
      - 0
    .max_flat_workgroup_size: 60
    .name:           _Z33warp_exclusive_scan_reduce_kernelIiLj60ELj15EENSt9enable_ifIXsr10test_utilsE35device_test_enabled_for_warp_size_vIXT1_EEEvE4typeEPT_S4_S4_S3_
    .private_segment_fixed_size: 0
    .sgpr_count:     18
    .sgpr_spill_count: 0
    .symbol:         _Z33warp_exclusive_scan_reduce_kernelIiLj60ELj15EENSt9enable_ifIXsr10test_utilsE35device_test_enabled_for_warp_size_vIXT1_EEEvE4typeEPT_S4_S4_S3_.kd
    .uniform_work_group_size: 1
    .uses_dynamic_stack: false
    .vgpr_count:     10
    .vgpr_spill_count: 0
    .wavefront_size: 32
    .workgroup_processor_mode: 1
  - .args:
      - .address_space:  global
        .offset:         0
        .size:           8
        .value_kind:     global_buffer
      - .address_space:  global
        .offset:         8
        .size:           8
        .value_kind:     global_buffer
      - .address_space:  global
        .offset:         16
        .size:           8
        .value_kind:     global_buffer
      - .offset:         24
        .size:           4
        .value_kind:     by_value
      - .offset:         32
        .size:           4
        .value_kind:     hidden_block_count_x
      - .offset:         36
        .size:           4
        .value_kind:     hidden_block_count_y
      - .offset:         40
        .size:           4
        .value_kind:     hidden_block_count_z
      - .offset:         44
        .size:           2
        .value_kind:     hidden_group_size_x
      - .offset:         46
        .size:           2
        .value_kind:     hidden_group_size_y
      - .offset:         48
        .size:           2
        .value_kind:     hidden_group_size_z
      - .offset:         50
        .size:           2
        .value_kind:     hidden_remainder_x
      - .offset:         52
        .size:           2
        .value_kind:     hidden_remainder_y
      - .offset:         54
        .size:           2
        .value_kind:     hidden_remainder_z
      - .offset:         72
        .size:           8
        .value_kind:     hidden_global_offset_x
      - .offset:         80
        .size:           8
        .value_kind:     hidden_global_offset_y
      - .offset:         88
        .size:           8
        .value_kind:     hidden_global_offset_z
      - .offset:         96
        .size:           2
        .value_kind:     hidden_grid_dims
    .group_segment_fixed_size: 112
    .kernarg_segment_align: 8
    .kernarg_segment_size: 288
    .language:       OpenCL C
    .language_version:
      - 2
      - 0
    .max_flat_workgroup_size: 28
    .name:           _Z33warp_exclusive_scan_reduce_kernelIiLj28ELj7EENSt9enable_ifIXsr10test_utilsE35device_test_enabled_for_warp_size_vIXT1_EEEvE4typeEPT_S4_S4_S3_
    .private_segment_fixed_size: 0
    .sgpr_count:     18
    .sgpr_spill_count: 0
    .symbol:         _Z33warp_exclusive_scan_reduce_kernelIiLj28ELj7EENSt9enable_ifIXsr10test_utilsE35device_test_enabled_for_warp_size_vIXT1_EEEvE4typeEPT_S4_S4_S3_.kd
    .uniform_work_group_size: 1
    .uses_dynamic_stack: false
    .vgpr_count:     10
    .vgpr_spill_count: 0
    .wavefront_size: 32
    .workgroup_processor_mode: 1
  - .args:
      - .address_space:  global
        .offset:         0
        .size:           8
        .value_kind:     global_buffer
      - .address_space:  global
        .offset:         8
        .size:           8
        .value_kind:     global_buffer
      - .address_space:  global
        .offset:         16
        .size:           8
        .value_kind:     global_buffer
      - .offset:         24
        .size:           4
        .value_kind:     by_value
      - .offset:         32
        .size:           4
        .value_kind:     hidden_block_count_x
      - .offset:         36
        .size:           4
        .value_kind:     hidden_block_count_y
      - .offset:         40
        .size:           4
        .value_kind:     hidden_block_count_z
      - .offset:         44
        .size:           2
        .value_kind:     hidden_group_size_x
      - .offset:         46
        .size:           2
        .value_kind:     hidden_group_size_y
      - .offset:         48
        .size:           2
        .value_kind:     hidden_group_size_z
      - .offset:         50
        .size:           2
        .value_kind:     hidden_remainder_x
      - .offset:         52
        .size:           2
        .value_kind:     hidden_remainder_y
      - .offset:         54
        .size:           2
        .value_kind:     hidden_remainder_z
      - .offset:         72
        .size:           8
        .value_kind:     hidden_global_offset_x
      - .offset:         80
        .size:           8
        .value_kind:     hidden_global_offset_y
      - .offset:         88
        .size:           8
        .value_kind:     hidden_global_offset_z
      - .offset:         96
        .size:           2
        .value_kind:     hidden_grid_dims
    .group_segment_fixed_size: 252
    .kernarg_segment_align: 8
    .kernarg_segment_size: 288
    .language:       OpenCL C
    .language_version:
      - 2
      - 0
    .max_flat_workgroup_size: 63
    .name:           _Z33warp_exclusive_scan_reduce_kernelIiLj63ELj7EENSt9enable_ifIXsr10test_utilsE35device_test_enabled_for_warp_size_vIXT1_EEEvE4typeEPT_S4_S4_S3_
    .private_segment_fixed_size: 0
    .sgpr_count:     18
    .sgpr_spill_count: 0
    .symbol:         _Z33warp_exclusive_scan_reduce_kernelIiLj63ELj7EENSt9enable_ifIXsr10test_utilsE35device_test_enabled_for_warp_size_vIXT1_EEEvE4typeEPT_S4_S4_S3_.kd
    .uniform_work_group_size: 1
    .uses_dynamic_stack: false
    .vgpr_count:     10
    .vgpr_spill_count: 0
    .wavefront_size: 32
    .workgroup_processor_mode: 1
  - .args:
      - .address_space:  global
        .offset:         0
        .size:           8
        .value_kind:     global_buffer
      - .address_space:  global
        .offset:         8
        .size:           8
        .value_kind:     global_buffer
      - .address_space:  global
        .offset:         16
        .size:           8
        .value_kind:     global_buffer
      - .offset:         24
        .size:           4
        .value_kind:     by_value
      - .offset:         32
        .size:           4
        .value_kind:     hidden_block_count_x
      - .offset:         36
        .size:           4
        .value_kind:     hidden_block_count_y
      - .offset:         40
        .size:           4
        .value_kind:     hidden_block_count_z
      - .offset:         44
        .size:           2
        .value_kind:     hidden_group_size_x
      - .offset:         46
        .size:           2
        .value_kind:     hidden_group_size_y
      - .offset:         48
        .size:           2
        .value_kind:     hidden_group_size_z
      - .offset:         50
        .size:           2
        .value_kind:     hidden_remainder_x
      - .offset:         52
        .size:           2
        .value_kind:     hidden_remainder_y
      - .offset:         54
        .size:           2
        .value_kind:     hidden_remainder_z
      - .offset:         72
        .size:           8
        .value_kind:     hidden_global_offset_x
      - .offset:         80
        .size:           8
        .value_kind:     hidden_global_offset_y
      - .offset:         88
        .size:           8
        .value_kind:     hidden_global_offset_z
      - .offset:         96
        .size:           2
        .value_kind:     hidden_grid_dims
    .group_segment_fixed_size: 120
    .kernarg_segment_align: 8
    .kernarg_segment_size: 288
    .language:       OpenCL C
    .language_version:
      - 2
      - 0
    .max_flat_workgroup_size: 30
    .name:           _Z33warp_exclusive_scan_reduce_kernelIiLj30ELj3EENSt9enable_ifIXsr10test_utilsE35device_test_enabled_for_warp_size_vIXT1_EEEvE4typeEPT_S4_S4_S3_
    .private_segment_fixed_size: 0
    .sgpr_count:     18
    .sgpr_spill_count: 0
    .symbol:         _Z33warp_exclusive_scan_reduce_kernelIiLj30ELj3EENSt9enable_ifIXsr10test_utilsE35device_test_enabled_for_warp_size_vIXT1_EEEvE4typeEPT_S4_S4_S3_.kd
    .uniform_work_group_size: 1
    .uses_dynamic_stack: false
    .vgpr_count:     10
    .vgpr_spill_count: 0
    .wavefront_size: 32
    .workgroup_processor_mode: 1
  - .args:
      - .address_space:  global
        .offset:         0
        .size:           8
        .value_kind:     global_buffer
      - .address_space:  global
        .offset:         8
        .size:           8
        .value_kind:     global_buffer
      - .address_space:  global
        .offset:         16
        .size:           8
        .value_kind:     global_buffer
      - .offset:         24
        .size:           4
        .value_kind:     by_value
      - .offset:         32
        .size:           4
        .value_kind:     hidden_block_count_x
      - .offset:         36
        .size:           4
        .value_kind:     hidden_block_count_y
      - .offset:         40
        .size:           4
        .value_kind:     hidden_block_count_z
      - .offset:         44
        .size:           2
        .value_kind:     hidden_group_size_x
      - .offset:         46
        .size:           2
        .value_kind:     hidden_group_size_y
      - .offset:         48
        .size:           2
        .value_kind:     hidden_group_size_z
      - .offset:         50
        .size:           2
        .value_kind:     hidden_remainder_x
      - .offset:         52
        .size:           2
        .value_kind:     hidden_remainder_y
      - .offset:         54
        .size:           2
        .value_kind:     hidden_remainder_z
      - .offset:         72
        .size:           8
        .value_kind:     hidden_global_offset_x
      - .offset:         80
        .size:           8
        .value_kind:     hidden_global_offset_y
      - .offset:         88
        .size:           8
        .value_kind:     hidden_global_offset_z
      - .offset:         96
        .size:           2
        .value_kind:     hidden_grid_dims
    .group_segment_fixed_size: 252
    .kernarg_segment_align: 8
    .kernarg_segment_size: 288
    .language:       OpenCL C
    .language_version:
      - 2
      - 0
    .max_flat_workgroup_size: 63
    .name:           _Z33warp_exclusive_scan_reduce_kernelIiLj63ELj3EENSt9enable_ifIXsr10test_utilsE35device_test_enabled_for_warp_size_vIXT1_EEEvE4typeEPT_S4_S4_S3_
    .private_segment_fixed_size: 0
    .sgpr_count:     18
    .sgpr_spill_count: 0
    .symbol:         _Z33warp_exclusive_scan_reduce_kernelIiLj63ELj3EENSt9enable_ifIXsr10test_utilsE35device_test_enabled_for_warp_size_vIXT1_EEEvE4typeEPT_S4_S4_S3_.kd
    .uniform_work_group_size: 1
    .uses_dynamic_stack: false
    .vgpr_count:     10
    .vgpr_spill_count: 0
    .wavefront_size: 32
    .workgroup_processor_mode: 1
  - .args:
      - .address_space:  global
        .offset:         0
        .size:           8
        .value_kind:     global_buffer
      - .address_space:  global
        .offset:         8
        .size:           8
        .value_kind:     global_buffer
      - .address_space:  global
        .offset:         16
        .size:           8
        .value_kind:     global_buffer
      - .offset:         24
        .size:           2
        .value_kind:     by_value
    .group_segment_fixed_size: 0
    .kernarg_segment_align: 8
    .kernarg_segment_size: 28
    .language:       OpenCL C
    .language_version:
      - 2
      - 0
    .max_flat_workgroup_size: 256
    .name:           _Z33warp_exclusive_scan_reduce_kernelI12hip_bfloat16Lj256ELj64EENSt9enable_ifIXntsr10test_utilsE35device_test_enabled_for_warp_size_vIXT1_EEEvE4typeEPT_S5_S5_S4_
    .private_segment_fixed_size: 0
    .sgpr_count:     0
    .sgpr_spill_count: 0
    .symbol:         _Z33warp_exclusive_scan_reduce_kernelI12hip_bfloat16Lj256ELj64EENSt9enable_ifIXntsr10test_utilsE35device_test_enabled_for_warp_size_vIXT1_EEEvE4typeEPT_S5_S5_S4_.kd
    .uniform_work_group_size: 1
    .uses_dynamic_stack: false
    .vgpr_count:     0
    .vgpr_spill_count: 0
    .wavefront_size: 32
    .workgroup_processor_mode: 1
  - .args:
      - .address_space:  global
        .offset:         0
        .size:           8
        .value_kind:     global_buffer
      - .address_space:  global
        .offset:         8
        .size:           8
        .value_kind:     global_buffer
      - .address_space:  global
        .offset:         16
        .size:           8
        .value_kind:     global_buffer
      - .offset:         24
        .size:           2
        .value_kind:     by_value
      - .offset:         32
        .size:           4
        .value_kind:     hidden_block_count_x
      - .offset:         36
        .size:           4
        .value_kind:     hidden_block_count_y
      - .offset:         40
        .size:           4
        .value_kind:     hidden_block_count_z
      - .offset:         44
        .size:           2
        .value_kind:     hidden_group_size_x
      - .offset:         46
        .size:           2
        .value_kind:     hidden_group_size_y
      - .offset:         48
        .size:           2
        .value_kind:     hidden_group_size_z
      - .offset:         50
        .size:           2
        .value_kind:     hidden_remainder_x
      - .offset:         52
        .size:           2
        .value_kind:     hidden_remainder_y
      - .offset:         54
        .size:           2
        .value_kind:     hidden_remainder_z
      - .offset:         72
        .size:           8
        .value_kind:     hidden_global_offset_x
      - .offset:         80
        .size:           8
        .value_kind:     hidden_global_offset_y
      - .offset:         88
        .size:           8
        .value_kind:     hidden_global_offset_z
      - .offset:         96
        .size:           2
        .value_kind:     hidden_grid_dims
    .group_segment_fixed_size: 0
    .kernarg_segment_align: 8
    .kernarg_segment_size: 288
    .language:       OpenCL C
    .language_version:
      - 2
      - 0
    .max_flat_workgroup_size: 128
    .name:           _Z33warp_exclusive_scan_reduce_kernelI12hip_bfloat16Lj128ELj32EENSt9enable_ifIXsr10test_utilsE35device_test_enabled_for_warp_size_vIXT1_EEEvE4typeEPT_S5_S5_S4_
    .private_segment_fixed_size: 0
    .sgpr_count:     18
    .sgpr_spill_count: 0
    .symbol:         _Z33warp_exclusive_scan_reduce_kernelI12hip_bfloat16Lj128ELj32EENSt9enable_ifIXsr10test_utilsE35device_test_enabled_for_warp_size_vIXT1_EEEvE4typeEPT_S5_S5_S4_.kd
    .uniform_work_group_size: 1
    .uses_dynamic_stack: false
    .vgpr_count:     11
    .vgpr_spill_count: 0
    .wavefront_size: 32
    .workgroup_processor_mode: 1
  - .args:
      - .address_space:  global
        .offset:         0
        .size:           8
        .value_kind:     global_buffer
      - .address_space:  global
        .offset:         8
        .size:           8
        .value_kind:     global_buffer
      - .address_space:  global
        .offset:         16
        .size:           8
        .value_kind:     global_buffer
      - .offset:         24
        .size:           2
        .value_kind:     by_value
      - .offset:         32
        .size:           4
        .value_kind:     hidden_block_count_x
      - .offset:         36
        .size:           4
        .value_kind:     hidden_block_count_y
      - .offset:         40
        .size:           4
        .value_kind:     hidden_block_count_z
      - .offset:         44
        .size:           2
        .value_kind:     hidden_group_size_x
      - .offset:         46
        .size:           2
        .value_kind:     hidden_group_size_y
      - .offset:         48
        .size:           2
        .value_kind:     hidden_group_size_z
      - .offset:         50
        .size:           2
        .value_kind:     hidden_remainder_x
      - .offset:         52
        .size:           2
        .value_kind:     hidden_remainder_y
      - .offset:         54
        .size:           2
        .value_kind:     hidden_remainder_z
      - .offset:         72
        .size:           8
        .value_kind:     hidden_global_offset_x
      - .offset:         80
        .size:           8
        .value_kind:     hidden_global_offset_y
      - .offset:         88
        .size:           8
        .value_kind:     hidden_global_offset_z
      - .offset:         96
        .size:           2
        .value_kind:     hidden_grid_dims
    .group_segment_fixed_size: 0
    .kernarg_segment_align: 8
    .kernarg_segment_size: 288
    .language:       OpenCL C
    .language_version:
      - 2
      - 0
    .max_flat_workgroup_size: 64
    .name:           _Z33warp_exclusive_scan_reduce_kernelI12hip_bfloat16Lj64ELj16EENSt9enable_ifIXsr10test_utilsE35device_test_enabled_for_warp_size_vIXT1_EEEvE4typeEPT_S5_S5_S4_
    .private_segment_fixed_size: 0
    .sgpr_count:     18
    .sgpr_spill_count: 0
    .symbol:         _Z33warp_exclusive_scan_reduce_kernelI12hip_bfloat16Lj64ELj16EENSt9enable_ifIXsr10test_utilsE35device_test_enabled_for_warp_size_vIXT1_EEEvE4typeEPT_S5_S5_S4_.kd
    .uniform_work_group_size: 1
    .uses_dynamic_stack: false
    .vgpr_count:     11
    .vgpr_spill_count: 0
    .wavefront_size: 32
    .workgroup_processor_mode: 1
  - .args:
      - .address_space:  global
        .offset:         0
        .size:           8
        .value_kind:     global_buffer
      - .address_space:  global
        .offset:         8
        .size:           8
        .value_kind:     global_buffer
      - .address_space:  global
        .offset:         16
        .size:           8
        .value_kind:     global_buffer
      - .offset:         24
        .size:           2
        .value_kind:     by_value
      - .offset:         32
        .size:           4
        .value_kind:     hidden_block_count_x
      - .offset:         36
        .size:           4
        .value_kind:     hidden_block_count_y
      - .offset:         40
        .size:           4
        .value_kind:     hidden_block_count_z
      - .offset:         44
        .size:           2
        .value_kind:     hidden_group_size_x
      - .offset:         46
        .size:           2
        .value_kind:     hidden_group_size_y
      - .offset:         48
        .size:           2
        .value_kind:     hidden_group_size_z
      - .offset:         50
        .size:           2
        .value_kind:     hidden_remainder_x
      - .offset:         52
        .size:           2
        .value_kind:     hidden_remainder_y
      - .offset:         54
        .size:           2
        .value_kind:     hidden_remainder_z
      - .offset:         72
        .size:           8
        .value_kind:     hidden_global_offset_x
      - .offset:         80
        .size:           8
        .value_kind:     hidden_global_offset_y
      - .offset:         88
        .size:           8
        .value_kind:     hidden_global_offset_z
      - .offset:         96
        .size:           2
        .value_kind:     hidden_grid_dims
    .group_segment_fixed_size: 0
    .kernarg_segment_align: 8
    .kernarg_segment_size: 288
    .language:       OpenCL C
    .language_version:
      - 2
      - 0
    .max_flat_workgroup_size: 32
    .name:           _Z33warp_exclusive_scan_reduce_kernelI12hip_bfloat16Lj32ELj8EENSt9enable_ifIXsr10test_utilsE35device_test_enabled_for_warp_size_vIXT1_EEEvE4typeEPT_S5_S5_S4_
    .private_segment_fixed_size: 0
    .sgpr_count:     18
    .sgpr_spill_count: 0
    .symbol:         _Z33warp_exclusive_scan_reduce_kernelI12hip_bfloat16Lj32ELj8EENSt9enable_ifIXsr10test_utilsE35device_test_enabled_for_warp_size_vIXT1_EEEvE4typeEPT_S5_S5_S4_.kd
    .uniform_work_group_size: 1
    .uses_dynamic_stack: false
    .vgpr_count:     11
    .vgpr_spill_count: 0
    .wavefront_size: 32
    .workgroup_processor_mode: 1
  - .args:
      - .address_space:  global
        .offset:         0
        .size:           8
        .value_kind:     global_buffer
      - .address_space:  global
        .offset:         8
        .size:           8
        .value_kind:     global_buffer
      - .address_space:  global
        .offset:         16
        .size:           8
        .value_kind:     global_buffer
      - .offset:         24
        .size:           2
        .value_kind:     by_value
      - .offset:         32
        .size:           4
        .value_kind:     hidden_block_count_x
      - .offset:         36
        .size:           4
        .value_kind:     hidden_block_count_y
      - .offset:         40
        .size:           4
        .value_kind:     hidden_block_count_z
      - .offset:         44
        .size:           2
        .value_kind:     hidden_group_size_x
      - .offset:         46
        .size:           2
        .value_kind:     hidden_group_size_y
      - .offset:         48
        .size:           2
        .value_kind:     hidden_group_size_z
      - .offset:         50
        .size:           2
        .value_kind:     hidden_remainder_x
      - .offset:         52
        .size:           2
        .value_kind:     hidden_remainder_y
      - .offset:         54
        .size:           2
        .value_kind:     hidden_remainder_z
      - .offset:         72
        .size:           8
        .value_kind:     hidden_global_offset_x
      - .offset:         80
        .size:           8
        .value_kind:     hidden_global_offset_y
      - .offset:         88
        .size:           8
        .value_kind:     hidden_global_offset_z
      - .offset:         96
        .size:           2
        .value_kind:     hidden_grid_dims
    .group_segment_fixed_size: 0
    .kernarg_segment_align: 8
    .kernarg_segment_size: 288
    .language:       OpenCL C
    .language_version:
      - 2
      - 0
    .max_flat_workgroup_size: 64
    .name:           _Z33warp_exclusive_scan_reduce_kernelI12hip_bfloat16Lj64ELj8EENSt9enable_ifIXsr10test_utilsE35device_test_enabled_for_warp_size_vIXT1_EEEvE4typeEPT_S5_S5_S4_
    .private_segment_fixed_size: 0
    .sgpr_count:     18
    .sgpr_spill_count: 0
    .symbol:         _Z33warp_exclusive_scan_reduce_kernelI12hip_bfloat16Lj64ELj8EENSt9enable_ifIXsr10test_utilsE35device_test_enabled_for_warp_size_vIXT1_EEEvE4typeEPT_S5_S5_S4_.kd
    .uniform_work_group_size: 1
    .uses_dynamic_stack: false
    .vgpr_count:     11
    .vgpr_spill_count: 0
    .wavefront_size: 32
    .workgroup_processor_mode: 1
  - .args:
      - .address_space:  global
        .offset:         0
        .size:           8
        .value_kind:     global_buffer
      - .address_space:  global
        .offset:         8
        .size:           8
        .value_kind:     global_buffer
      - .address_space:  global
        .offset:         16
        .size:           8
        .value_kind:     global_buffer
      - .offset:         24
        .size:           2
        .value_kind:     by_value
      - .offset:         32
        .size:           4
        .value_kind:     hidden_block_count_x
      - .offset:         36
        .size:           4
        .value_kind:     hidden_block_count_y
      - .offset:         40
        .size:           4
        .value_kind:     hidden_block_count_z
      - .offset:         44
        .size:           2
        .value_kind:     hidden_group_size_x
      - .offset:         46
        .size:           2
        .value_kind:     hidden_group_size_y
      - .offset:         48
        .size:           2
        .value_kind:     hidden_group_size_z
      - .offset:         50
        .size:           2
        .value_kind:     hidden_remainder_x
      - .offset:         52
        .size:           2
        .value_kind:     hidden_remainder_y
      - .offset:         54
        .size:           2
        .value_kind:     hidden_remainder_z
      - .offset:         72
        .size:           8
        .value_kind:     hidden_global_offset_x
      - .offset:         80
        .size:           8
        .value_kind:     hidden_global_offset_y
      - .offset:         88
        .size:           8
        .value_kind:     hidden_global_offset_z
      - .offset:         96
        .size:           2
        .value_kind:     hidden_grid_dims
    .group_segment_fixed_size: 0
    .kernarg_segment_align: 8
    .kernarg_segment_size: 288
    .language:       OpenCL C
    .language_version:
      - 2
      - 0
    .max_flat_workgroup_size: 32
    .name:           _Z33warp_exclusive_scan_reduce_kernelI12hip_bfloat16Lj32ELj4EENSt9enable_ifIXsr10test_utilsE35device_test_enabled_for_warp_size_vIXT1_EEEvE4typeEPT_S5_S5_S4_
    .private_segment_fixed_size: 0
    .sgpr_count:     18
    .sgpr_spill_count: 0
    .symbol:         _Z33warp_exclusive_scan_reduce_kernelI12hip_bfloat16Lj32ELj4EENSt9enable_ifIXsr10test_utilsE35device_test_enabled_for_warp_size_vIXT1_EEEvE4typeEPT_S5_S5_S4_.kd
    .uniform_work_group_size: 1
    .uses_dynamic_stack: false
    .vgpr_count:     10
    .vgpr_spill_count: 0
    .wavefront_size: 32
    .workgroup_processor_mode: 1
  - .args:
      - .address_space:  global
        .offset:         0
        .size:           8
        .value_kind:     global_buffer
      - .address_space:  global
        .offset:         8
        .size:           8
        .value_kind:     global_buffer
      - .address_space:  global
        .offset:         16
        .size:           8
        .value_kind:     global_buffer
      - .offset:         24
        .size:           2
        .value_kind:     by_value
      - .offset:         32
        .size:           4
        .value_kind:     hidden_block_count_x
      - .offset:         36
        .size:           4
        .value_kind:     hidden_block_count_y
      - .offset:         40
        .size:           4
        .value_kind:     hidden_block_count_z
      - .offset:         44
        .size:           2
        .value_kind:     hidden_group_size_x
      - .offset:         46
        .size:           2
        .value_kind:     hidden_group_size_y
      - .offset:         48
        .size:           2
        .value_kind:     hidden_group_size_z
      - .offset:         50
        .size:           2
        .value_kind:     hidden_remainder_x
      - .offset:         52
        .size:           2
        .value_kind:     hidden_remainder_y
      - .offset:         54
        .size:           2
        .value_kind:     hidden_remainder_z
      - .offset:         72
        .size:           8
        .value_kind:     hidden_global_offset_x
      - .offset:         80
        .size:           8
        .value_kind:     hidden_global_offset_y
      - .offset:         88
        .size:           8
        .value_kind:     hidden_global_offset_z
      - .offset:         96
        .size:           2
        .value_kind:     hidden_grid_dims
    .group_segment_fixed_size: 0
    .kernarg_segment_align: 8
    .kernarg_segment_size: 288
    .language:       OpenCL C
    .language_version:
      - 2
      - 0
    .max_flat_workgroup_size: 64
    .name:           _Z33warp_exclusive_scan_reduce_kernelI12hip_bfloat16Lj64ELj4EENSt9enable_ifIXsr10test_utilsE35device_test_enabled_for_warp_size_vIXT1_EEEvE4typeEPT_S5_S5_S4_
    .private_segment_fixed_size: 0
    .sgpr_count:     18
    .sgpr_spill_count: 0
    .symbol:         _Z33warp_exclusive_scan_reduce_kernelI12hip_bfloat16Lj64ELj4EENSt9enable_ifIXsr10test_utilsE35device_test_enabled_for_warp_size_vIXT1_EEEvE4typeEPT_S5_S5_S4_.kd
    .uniform_work_group_size: 1
    .uses_dynamic_stack: false
    .vgpr_count:     10
    .vgpr_spill_count: 0
    .wavefront_size: 32
    .workgroup_processor_mode: 1
  - .args:
      - .address_space:  global
        .offset:         0
        .size:           8
        .value_kind:     global_buffer
      - .address_space:  global
        .offset:         8
        .size:           8
        .value_kind:     global_buffer
      - .address_space:  global
        .offset:         16
        .size:           8
        .value_kind:     global_buffer
      - .offset:         24
        .size:           2
        .value_kind:     by_value
      - .offset:         32
        .size:           4
        .value_kind:     hidden_block_count_x
      - .offset:         36
        .size:           4
        .value_kind:     hidden_block_count_y
      - .offset:         40
        .size:           4
        .value_kind:     hidden_block_count_z
      - .offset:         44
        .size:           2
        .value_kind:     hidden_group_size_x
      - .offset:         46
        .size:           2
        .value_kind:     hidden_group_size_y
      - .offset:         48
        .size:           2
        .value_kind:     hidden_group_size_z
      - .offset:         50
        .size:           2
        .value_kind:     hidden_remainder_x
      - .offset:         52
        .size:           2
        .value_kind:     hidden_remainder_y
      - .offset:         54
        .size:           2
        .value_kind:     hidden_remainder_z
      - .offset:         72
        .size:           8
        .value_kind:     hidden_global_offset_x
      - .offset:         80
        .size:           8
        .value_kind:     hidden_global_offset_y
      - .offset:         88
        .size:           8
        .value_kind:     hidden_global_offset_z
      - .offset:         96
        .size:           2
        .value_kind:     hidden_grid_dims
    .group_segment_fixed_size: 0
    .kernarg_segment_align: 8
    .kernarg_segment_size: 288
    .language:       OpenCL C
    .language_version:
      - 2
      - 0
    .max_flat_workgroup_size: 32
    .name:           _Z33warp_exclusive_scan_reduce_kernelI12hip_bfloat16Lj32ELj2EENSt9enable_ifIXsr10test_utilsE35device_test_enabled_for_warp_size_vIXT1_EEEvE4typeEPT_S5_S5_S4_
    .private_segment_fixed_size: 0
    .sgpr_count:     18
    .sgpr_spill_count: 0
    .symbol:         _Z33warp_exclusive_scan_reduce_kernelI12hip_bfloat16Lj32ELj2EENSt9enable_ifIXsr10test_utilsE35device_test_enabled_for_warp_size_vIXT1_EEEvE4typeEPT_S5_S5_S4_.kd
    .uniform_work_group_size: 1
    .uses_dynamic_stack: false
    .vgpr_count:     9
    .vgpr_spill_count: 0
    .wavefront_size: 32
    .workgroup_processor_mode: 1
  - .args:
      - .address_space:  global
        .offset:         0
        .size:           8
        .value_kind:     global_buffer
      - .address_space:  global
        .offset:         8
        .size:           8
        .value_kind:     global_buffer
      - .address_space:  global
        .offset:         16
        .size:           8
        .value_kind:     global_buffer
      - .offset:         24
        .size:           2
        .value_kind:     by_value
      - .offset:         32
        .size:           4
        .value_kind:     hidden_block_count_x
      - .offset:         36
        .size:           4
        .value_kind:     hidden_block_count_y
      - .offset:         40
        .size:           4
        .value_kind:     hidden_block_count_z
      - .offset:         44
        .size:           2
        .value_kind:     hidden_group_size_x
      - .offset:         46
        .size:           2
        .value_kind:     hidden_group_size_y
      - .offset:         48
        .size:           2
        .value_kind:     hidden_group_size_z
      - .offset:         50
        .size:           2
        .value_kind:     hidden_remainder_x
      - .offset:         52
        .size:           2
        .value_kind:     hidden_remainder_y
      - .offset:         54
        .size:           2
        .value_kind:     hidden_remainder_z
      - .offset:         72
        .size:           8
        .value_kind:     hidden_global_offset_x
      - .offset:         80
        .size:           8
        .value_kind:     hidden_global_offset_y
      - .offset:         88
        .size:           8
        .value_kind:     hidden_global_offset_z
      - .offset:         96
        .size:           2
        .value_kind:     hidden_grid_dims
    .group_segment_fixed_size: 0
    .kernarg_segment_align: 8
    .kernarg_segment_size: 288
    .language:       OpenCL C
    .language_version:
      - 2
      - 0
    .max_flat_workgroup_size: 64
    .name:           _Z33warp_exclusive_scan_reduce_kernelI12hip_bfloat16Lj64ELj2EENSt9enable_ifIXsr10test_utilsE35device_test_enabled_for_warp_size_vIXT1_EEEvE4typeEPT_S5_S5_S4_
    .private_segment_fixed_size: 0
    .sgpr_count:     18
    .sgpr_spill_count: 0
    .symbol:         _Z33warp_exclusive_scan_reduce_kernelI12hip_bfloat16Lj64ELj2EENSt9enable_ifIXsr10test_utilsE35device_test_enabled_for_warp_size_vIXT1_EEEvE4typeEPT_S5_S5_S4_.kd
    .uniform_work_group_size: 1
    .uses_dynamic_stack: false
    .vgpr_count:     9
    .vgpr_spill_count: 0
    .wavefront_size: 32
    .workgroup_processor_mode: 1
  - .args:
      - .address_space:  global
        .offset:         0
        .size:           8
        .value_kind:     global_buffer
      - .address_space:  global
        .offset:         8
        .size:           8
        .value_kind:     global_buffer
      - .address_space:  global
        .offset:         16
        .size:           8
        .value_kind:     global_buffer
      - .offset:         24
        .size:           2
        .value_kind:     by_value
    .group_segment_fixed_size: 0
    .kernarg_segment_align: 8
    .kernarg_segment_size: 28
    .language:       OpenCL C
    .language_version:
      - 2
      - 0
    .max_flat_workgroup_size: 256
    .name:           _Z33warp_exclusive_scan_reduce_kernelI6__halfLj256ELj64EENSt9enable_ifIXntsr10test_utilsE35device_test_enabled_for_warp_size_vIXT1_EEEvE4typeEPT_S5_S5_S4_
    .private_segment_fixed_size: 0
    .sgpr_count:     0
    .sgpr_spill_count: 0
    .symbol:         _Z33warp_exclusive_scan_reduce_kernelI6__halfLj256ELj64EENSt9enable_ifIXntsr10test_utilsE35device_test_enabled_for_warp_size_vIXT1_EEEvE4typeEPT_S5_S5_S4_.kd
    .uniform_work_group_size: 1
    .uses_dynamic_stack: false
    .vgpr_count:     0
    .vgpr_spill_count: 0
    .wavefront_size: 32
    .workgroup_processor_mode: 1
  - .args:
      - .address_space:  global
        .offset:         0
        .size:           8
        .value_kind:     global_buffer
      - .address_space:  global
        .offset:         8
        .size:           8
        .value_kind:     global_buffer
      - .address_space:  global
        .offset:         16
        .size:           8
        .value_kind:     global_buffer
      - .offset:         24
        .size:           2
        .value_kind:     by_value
      - .offset:         32
        .size:           4
        .value_kind:     hidden_block_count_x
      - .offset:         36
        .size:           4
        .value_kind:     hidden_block_count_y
      - .offset:         40
        .size:           4
        .value_kind:     hidden_block_count_z
      - .offset:         44
        .size:           2
        .value_kind:     hidden_group_size_x
      - .offset:         46
        .size:           2
        .value_kind:     hidden_group_size_y
      - .offset:         48
        .size:           2
        .value_kind:     hidden_group_size_z
      - .offset:         50
        .size:           2
        .value_kind:     hidden_remainder_x
      - .offset:         52
        .size:           2
        .value_kind:     hidden_remainder_y
      - .offset:         54
        .size:           2
        .value_kind:     hidden_remainder_z
      - .offset:         72
        .size:           8
        .value_kind:     hidden_global_offset_x
      - .offset:         80
        .size:           8
        .value_kind:     hidden_global_offset_y
      - .offset:         88
        .size:           8
        .value_kind:     hidden_global_offset_z
      - .offset:         96
        .size:           2
        .value_kind:     hidden_grid_dims
    .group_segment_fixed_size: 0
    .kernarg_segment_align: 8
    .kernarg_segment_size: 288
    .language:       OpenCL C
    .language_version:
      - 2
      - 0
    .max_flat_workgroup_size: 128
    .name:           _Z33warp_exclusive_scan_reduce_kernelI6__halfLj128ELj32EENSt9enable_ifIXsr10test_utilsE35device_test_enabled_for_warp_size_vIXT1_EEEvE4typeEPT_S5_S5_S4_
    .private_segment_fixed_size: 0
    .sgpr_count:     18
    .sgpr_spill_count: 0
    .symbol:         _Z33warp_exclusive_scan_reduce_kernelI6__halfLj128ELj32EENSt9enable_ifIXsr10test_utilsE35device_test_enabled_for_warp_size_vIXT1_EEEvE4typeEPT_S5_S5_S4_.kd
    .uniform_work_group_size: 1
    .uses_dynamic_stack: false
    .vgpr_count:     10
    .vgpr_spill_count: 0
    .wavefront_size: 32
    .workgroup_processor_mode: 1
  - .args:
      - .address_space:  global
        .offset:         0
        .size:           8
        .value_kind:     global_buffer
      - .address_space:  global
        .offset:         8
        .size:           8
        .value_kind:     global_buffer
      - .address_space:  global
        .offset:         16
        .size:           8
        .value_kind:     global_buffer
      - .offset:         24
        .size:           2
        .value_kind:     by_value
      - .offset:         32
        .size:           4
        .value_kind:     hidden_block_count_x
      - .offset:         36
        .size:           4
        .value_kind:     hidden_block_count_y
      - .offset:         40
        .size:           4
        .value_kind:     hidden_block_count_z
      - .offset:         44
        .size:           2
        .value_kind:     hidden_group_size_x
      - .offset:         46
        .size:           2
        .value_kind:     hidden_group_size_y
      - .offset:         48
        .size:           2
        .value_kind:     hidden_group_size_z
      - .offset:         50
        .size:           2
        .value_kind:     hidden_remainder_x
      - .offset:         52
        .size:           2
        .value_kind:     hidden_remainder_y
      - .offset:         54
        .size:           2
        .value_kind:     hidden_remainder_z
      - .offset:         72
        .size:           8
        .value_kind:     hidden_global_offset_x
      - .offset:         80
        .size:           8
        .value_kind:     hidden_global_offset_y
      - .offset:         88
        .size:           8
        .value_kind:     hidden_global_offset_z
      - .offset:         96
        .size:           2
        .value_kind:     hidden_grid_dims
    .group_segment_fixed_size: 0
    .kernarg_segment_align: 8
    .kernarg_segment_size: 288
    .language:       OpenCL C
    .language_version:
      - 2
      - 0
    .max_flat_workgroup_size: 64
    .name:           _Z33warp_exclusive_scan_reduce_kernelI6__halfLj64ELj16EENSt9enable_ifIXsr10test_utilsE35device_test_enabled_for_warp_size_vIXT1_EEEvE4typeEPT_S5_S5_S4_
    .private_segment_fixed_size: 0
    .sgpr_count:     18
    .sgpr_spill_count: 0
    .symbol:         _Z33warp_exclusive_scan_reduce_kernelI6__halfLj64ELj16EENSt9enable_ifIXsr10test_utilsE35device_test_enabled_for_warp_size_vIXT1_EEEvE4typeEPT_S5_S5_S4_.kd
    .uniform_work_group_size: 1
    .uses_dynamic_stack: false
    .vgpr_count:     10
    .vgpr_spill_count: 0
    .wavefront_size: 32
    .workgroup_processor_mode: 1
  - .args:
      - .address_space:  global
        .offset:         0
        .size:           8
        .value_kind:     global_buffer
      - .address_space:  global
        .offset:         8
        .size:           8
        .value_kind:     global_buffer
      - .address_space:  global
        .offset:         16
        .size:           8
        .value_kind:     global_buffer
      - .offset:         24
        .size:           2
        .value_kind:     by_value
      - .offset:         32
        .size:           4
        .value_kind:     hidden_block_count_x
      - .offset:         36
        .size:           4
        .value_kind:     hidden_block_count_y
      - .offset:         40
        .size:           4
        .value_kind:     hidden_block_count_z
      - .offset:         44
        .size:           2
        .value_kind:     hidden_group_size_x
      - .offset:         46
        .size:           2
        .value_kind:     hidden_group_size_y
      - .offset:         48
        .size:           2
        .value_kind:     hidden_group_size_z
      - .offset:         50
        .size:           2
        .value_kind:     hidden_remainder_x
      - .offset:         52
        .size:           2
        .value_kind:     hidden_remainder_y
      - .offset:         54
        .size:           2
        .value_kind:     hidden_remainder_z
      - .offset:         72
        .size:           8
        .value_kind:     hidden_global_offset_x
      - .offset:         80
        .size:           8
        .value_kind:     hidden_global_offset_y
      - .offset:         88
        .size:           8
        .value_kind:     hidden_global_offset_z
      - .offset:         96
        .size:           2
        .value_kind:     hidden_grid_dims
    .group_segment_fixed_size: 0
    .kernarg_segment_align: 8
    .kernarg_segment_size: 288
    .language:       OpenCL C
    .language_version:
      - 2
      - 0
    .max_flat_workgroup_size: 32
    .name:           _Z33warp_exclusive_scan_reduce_kernelI6__halfLj32ELj8EENSt9enable_ifIXsr10test_utilsE35device_test_enabled_for_warp_size_vIXT1_EEEvE4typeEPT_S5_S5_S4_
    .private_segment_fixed_size: 0
    .sgpr_count:     18
    .sgpr_spill_count: 0
    .symbol:         _Z33warp_exclusive_scan_reduce_kernelI6__halfLj32ELj8EENSt9enable_ifIXsr10test_utilsE35device_test_enabled_for_warp_size_vIXT1_EEEvE4typeEPT_S5_S5_S4_.kd
    .uniform_work_group_size: 1
    .uses_dynamic_stack: false
    .vgpr_count:     10
    .vgpr_spill_count: 0
    .wavefront_size: 32
    .workgroup_processor_mode: 1
  - .args:
      - .address_space:  global
        .offset:         0
        .size:           8
        .value_kind:     global_buffer
      - .address_space:  global
        .offset:         8
        .size:           8
        .value_kind:     global_buffer
      - .address_space:  global
        .offset:         16
        .size:           8
        .value_kind:     global_buffer
      - .offset:         24
        .size:           2
        .value_kind:     by_value
      - .offset:         32
        .size:           4
        .value_kind:     hidden_block_count_x
      - .offset:         36
        .size:           4
        .value_kind:     hidden_block_count_y
      - .offset:         40
        .size:           4
        .value_kind:     hidden_block_count_z
      - .offset:         44
        .size:           2
        .value_kind:     hidden_group_size_x
      - .offset:         46
        .size:           2
        .value_kind:     hidden_group_size_y
      - .offset:         48
        .size:           2
        .value_kind:     hidden_group_size_z
      - .offset:         50
        .size:           2
        .value_kind:     hidden_remainder_x
      - .offset:         52
        .size:           2
        .value_kind:     hidden_remainder_y
      - .offset:         54
        .size:           2
        .value_kind:     hidden_remainder_z
      - .offset:         72
        .size:           8
        .value_kind:     hidden_global_offset_x
      - .offset:         80
        .size:           8
        .value_kind:     hidden_global_offset_y
      - .offset:         88
        .size:           8
        .value_kind:     hidden_global_offset_z
      - .offset:         96
        .size:           2
        .value_kind:     hidden_grid_dims
    .group_segment_fixed_size: 0
    .kernarg_segment_align: 8
    .kernarg_segment_size: 288
    .language:       OpenCL C
    .language_version:
      - 2
      - 0
    .max_flat_workgroup_size: 64
    .name:           _Z33warp_exclusive_scan_reduce_kernelI6__halfLj64ELj8EENSt9enable_ifIXsr10test_utilsE35device_test_enabled_for_warp_size_vIXT1_EEEvE4typeEPT_S5_S5_S4_
    .private_segment_fixed_size: 0
    .sgpr_count:     18
    .sgpr_spill_count: 0
    .symbol:         _Z33warp_exclusive_scan_reduce_kernelI6__halfLj64ELj8EENSt9enable_ifIXsr10test_utilsE35device_test_enabled_for_warp_size_vIXT1_EEEvE4typeEPT_S5_S5_S4_.kd
    .uniform_work_group_size: 1
    .uses_dynamic_stack: false
    .vgpr_count:     10
    .vgpr_spill_count: 0
    .wavefront_size: 32
    .workgroup_processor_mode: 1
  - .args:
      - .address_space:  global
        .offset:         0
        .size:           8
        .value_kind:     global_buffer
      - .address_space:  global
        .offset:         8
        .size:           8
        .value_kind:     global_buffer
      - .address_space:  global
        .offset:         16
        .size:           8
        .value_kind:     global_buffer
      - .offset:         24
        .size:           2
        .value_kind:     by_value
      - .offset:         32
        .size:           4
        .value_kind:     hidden_block_count_x
      - .offset:         36
        .size:           4
        .value_kind:     hidden_block_count_y
      - .offset:         40
        .size:           4
        .value_kind:     hidden_block_count_z
      - .offset:         44
        .size:           2
        .value_kind:     hidden_group_size_x
      - .offset:         46
        .size:           2
        .value_kind:     hidden_group_size_y
      - .offset:         48
        .size:           2
        .value_kind:     hidden_group_size_z
      - .offset:         50
        .size:           2
        .value_kind:     hidden_remainder_x
      - .offset:         52
        .size:           2
        .value_kind:     hidden_remainder_y
      - .offset:         54
        .size:           2
        .value_kind:     hidden_remainder_z
      - .offset:         72
        .size:           8
        .value_kind:     hidden_global_offset_x
      - .offset:         80
        .size:           8
        .value_kind:     hidden_global_offset_y
      - .offset:         88
        .size:           8
        .value_kind:     hidden_global_offset_z
      - .offset:         96
        .size:           2
        .value_kind:     hidden_grid_dims
    .group_segment_fixed_size: 0
    .kernarg_segment_align: 8
    .kernarg_segment_size: 288
    .language:       OpenCL C
    .language_version:
      - 2
      - 0
    .max_flat_workgroup_size: 32
    .name:           _Z33warp_exclusive_scan_reduce_kernelI6__halfLj32ELj4EENSt9enable_ifIXsr10test_utilsE35device_test_enabled_for_warp_size_vIXT1_EEEvE4typeEPT_S5_S5_S4_
    .private_segment_fixed_size: 0
    .sgpr_count:     18
    .sgpr_spill_count: 0
    .symbol:         _Z33warp_exclusive_scan_reduce_kernelI6__halfLj32ELj4EENSt9enable_ifIXsr10test_utilsE35device_test_enabled_for_warp_size_vIXT1_EEEvE4typeEPT_S5_S5_S4_.kd
    .uniform_work_group_size: 1
    .uses_dynamic_stack: false
    .vgpr_count:     10
    .vgpr_spill_count: 0
    .wavefront_size: 32
    .workgroup_processor_mode: 1
  - .args:
      - .address_space:  global
        .offset:         0
        .size:           8
        .value_kind:     global_buffer
      - .address_space:  global
        .offset:         8
        .size:           8
        .value_kind:     global_buffer
      - .address_space:  global
        .offset:         16
        .size:           8
        .value_kind:     global_buffer
      - .offset:         24
        .size:           2
        .value_kind:     by_value
      - .offset:         32
        .size:           4
        .value_kind:     hidden_block_count_x
      - .offset:         36
        .size:           4
        .value_kind:     hidden_block_count_y
      - .offset:         40
        .size:           4
        .value_kind:     hidden_block_count_z
      - .offset:         44
        .size:           2
        .value_kind:     hidden_group_size_x
      - .offset:         46
        .size:           2
        .value_kind:     hidden_group_size_y
      - .offset:         48
        .size:           2
        .value_kind:     hidden_group_size_z
      - .offset:         50
        .size:           2
        .value_kind:     hidden_remainder_x
      - .offset:         52
        .size:           2
        .value_kind:     hidden_remainder_y
      - .offset:         54
        .size:           2
        .value_kind:     hidden_remainder_z
      - .offset:         72
        .size:           8
        .value_kind:     hidden_global_offset_x
      - .offset:         80
        .size:           8
        .value_kind:     hidden_global_offset_y
      - .offset:         88
        .size:           8
        .value_kind:     hidden_global_offset_z
      - .offset:         96
        .size:           2
        .value_kind:     hidden_grid_dims
    .group_segment_fixed_size: 0
    .kernarg_segment_align: 8
    .kernarg_segment_size: 288
    .language:       OpenCL C
    .language_version:
      - 2
      - 0
    .max_flat_workgroup_size: 64
    .name:           _Z33warp_exclusive_scan_reduce_kernelI6__halfLj64ELj4EENSt9enable_ifIXsr10test_utilsE35device_test_enabled_for_warp_size_vIXT1_EEEvE4typeEPT_S5_S5_S4_
    .private_segment_fixed_size: 0
    .sgpr_count:     18
    .sgpr_spill_count: 0
    .symbol:         _Z33warp_exclusive_scan_reduce_kernelI6__halfLj64ELj4EENSt9enable_ifIXsr10test_utilsE35device_test_enabled_for_warp_size_vIXT1_EEEvE4typeEPT_S5_S5_S4_.kd
    .uniform_work_group_size: 1
    .uses_dynamic_stack: false
    .vgpr_count:     10
    .vgpr_spill_count: 0
    .wavefront_size: 32
    .workgroup_processor_mode: 1
  - .args:
      - .address_space:  global
        .offset:         0
        .size:           8
        .value_kind:     global_buffer
      - .address_space:  global
        .offset:         8
        .size:           8
        .value_kind:     global_buffer
      - .address_space:  global
        .offset:         16
        .size:           8
        .value_kind:     global_buffer
      - .offset:         24
        .size:           2
        .value_kind:     by_value
      - .offset:         32
        .size:           4
        .value_kind:     hidden_block_count_x
      - .offset:         36
        .size:           4
        .value_kind:     hidden_block_count_y
      - .offset:         40
        .size:           4
        .value_kind:     hidden_block_count_z
      - .offset:         44
        .size:           2
        .value_kind:     hidden_group_size_x
      - .offset:         46
        .size:           2
        .value_kind:     hidden_group_size_y
      - .offset:         48
        .size:           2
        .value_kind:     hidden_group_size_z
      - .offset:         50
        .size:           2
        .value_kind:     hidden_remainder_x
      - .offset:         52
        .size:           2
        .value_kind:     hidden_remainder_y
      - .offset:         54
        .size:           2
        .value_kind:     hidden_remainder_z
      - .offset:         72
        .size:           8
        .value_kind:     hidden_global_offset_x
      - .offset:         80
        .size:           8
        .value_kind:     hidden_global_offset_y
      - .offset:         88
        .size:           8
        .value_kind:     hidden_global_offset_z
      - .offset:         96
        .size:           2
        .value_kind:     hidden_grid_dims
    .group_segment_fixed_size: 0
    .kernarg_segment_align: 8
    .kernarg_segment_size: 288
    .language:       OpenCL C
    .language_version:
      - 2
      - 0
    .max_flat_workgroup_size: 32
    .name:           _Z33warp_exclusive_scan_reduce_kernelI6__halfLj32ELj2EENSt9enable_ifIXsr10test_utilsE35device_test_enabled_for_warp_size_vIXT1_EEEvE4typeEPT_S5_S5_S4_
    .private_segment_fixed_size: 0
    .sgpr_count:     18
    .sgpr_spill_count: 0
    .symbol:         _Z33warp_exclusive_scan_reduce_kernelI6__halfLj32ELj2EENSt9enable_ifIXsr10test_utilsE35device_test_enabled_for_warp_size_vIXT1_EEEvE4typeEPT_S5_S5_S4_.kd
    .uniform_work_group_size: 1
    .uses_dynamic_stack: false
    .vgpr_count:     10
    .vgpr_spill_count: 0
    .wavefront_size: 32
    .workgroup_processor_mode: 1
  - .args:
      - .address_space:  global
        .offset:         0
        .size:           8
        .value_kind:     global_buffer
      - .address_space:  global
        .offset:         8
        .size:           8
        .value_kind:     global_buffer
      - .address_space:  global
        .offset:         16
        .size:           8
        .value_kind:     global_buffer
      - .offset:         24
        .size:           2
        .value_kind:     by_value
      - .offset:         32
        .size:           4
        .value_kind:     hidden_block_count_x
      - .offset:         36
        .size:           4
        .value_kind:     hidden_block_count_y
      - .offset:         40
        .size:           4
        .value_kind:     hidden_block_count_z
      - .offset:         44
        .size:           2
        .value_kind:     hidden_group_size_x
      - .offset:         46
        .size:           2
        .value_kind:     hidden_group_size_y
      - .offset:         48
        .size:           2
        .value_kind:     hidden_group_size_z
      - .offset:         50
        .size:           2
        .value_kind:     hidden_remainder_x
      - .offset:         52
        .size:           2
        .value_kind:     hidden_remainder_y
      - .offset:         54
        .size:           2
        .value_kind:     hidden_remainder_z
      - .offset:         72
        .size:           8
        .value_kind:     hidden_global_offset_x
      - .offset:         80
        .size:           8
        .value_kind:     hidden_global_offset_y
      - .offset:         88
        .size:           8
        .value_kind:     hidden_global_offset_z
      - .offset:         96
        .size:           2
        .value_kind:     hidden_grid_dims
    .group_segment_fixed_size: 0
    .kernarg_segment_align: 8
    .kernarg_segment_size: 288
    .language:       OpenCL C
    .language_version:
      - 2
      - 0
    .max_flat_workgroup_size: 64
    .name:           _Z33warp_exclusive_scan_reduce_kernelI6__halfLj64ELj2EENSt9enable_ifIXsr10test_utilsE35device_test_enabled_for_warp_size_vIXT1_EEEvE4typeEPT_S5_S5_S4_
    .private_segment_fixed_size: 0
    .sgpr_count:     18
    .sgpr_spill_count: 0
    .symbol:         _Z33warp_exclusive_scan_reduce_kernelI6__halfLj64ELj2EENSt9enable_ifIXsr10test_utilsE35device_test_enabled_for_warp_size_vIXT1_EEEvE4typeEPT_S5_S5_S4_.kd
    .uniform_work_group_size: 1
    .uses_dynamic_stack: false
    .vgpr_count:     10
    .vgpr_spill_count: 0
    .wavefront_size: 32
    .workgroup_processor_mode: 1
  - .args:
      - .address_space:  global
        .offset:         0
        .size:           8
        .value_kind:     global_buffer
      - .address_space:  global
        .offset:         8
        .size:           8
        .value_kind:     global_buffer
      - .address_space:  global
        .offset:         16
        .size:           8
        .value_kind:     global_buffer
      - .offset:         24
        .size:           4
        .value_kind:     by_value
    .group_segment_fixed_size: 0
    .kernarg_segment_align: 8
    .kernarg_segment_size: 28
    .language:       OpenCL C
    .language_version:
      - 2
      - 0
    .max_flat_workgroup_size: 256
    .name:           _Z33warp_exclusive_scan_reduce_kernelIfLj256ELj64EENSt9enable_ifIXntsr10test_utilsE35device_test_enabled_for_warp_size_vIXT1_EEEvE4typeEPT_S4_S4_S3_
    .private_segment_fixed_size: 0
    .sgpr_count:     0
    .sgpr_spill_count: 0
    .symbol:         _Z33warp_exclusive_scan_reduce_kernelIfLj256ELj64EENSt9enable_ifIXntsr10test_utilsE35device_test_enabled_for_warp_size_vIXT1_EEEvE4typeEPT_S4_S4_S3_.kd
    .uniform_work_group_size: 1
    .uses_dynamic_stack: false
    .vgpr_count:     0
    .vgpr_spill_count: 0
    .wavefront_size: 32
    .workgroup_processor_mode: 1
  - .args:
      - .address_space:  global
        .offset:         0
        .size:           8
        .value_kind:     global_buffer
      - .address_space:  global
        .offset:         8
        .size:           8
        .value_kind:     global_buffer
      - .address_space:  global
        .offset:         16
        .size:           8
        .value_kind:     global_buffer
      - .offset:         24
        .size:           4
        .value_kind:     by_value
      - .offset:         32
        .size:           4
        .value_kind:     hidden_block_count_x
      - .offset:         36
        .size:           4
        .value_kind:     hidden_block_count_y
      - .offset:         40
        .size:           4
        .value_kind:     hidden_block_count_z
      - .offset:         44
        .size:           2
        .value_kind:     hidden_group_size_x
      - .offset:         46
        .size:           2
        .value_kind:     hidden_group_size_y
      - .offset:         48
        .size:           2
        .value_kind:     hidden_group_size_z
      - .offset:         50
        .size:           2
        .value_kind:     hidden_remainder_x
      - .offset:         52
        .size:           2
        .value_kind:     hidden_remainder_y
      - .offset:         54
        .size:           2
        .value_kind:     hidden_remainder_z
      - .offset:         72
        .size:           8
        .value_kind:     hidden_global_offset_x
      - .offset:         80
        .size:           8
        .value_kind:     hidden_global_offset_y
      - .offset:         88
        .size:           8
        .value_kind:     hidden_global_offset_z
      - .offset:         96
        .size:           2
        .value_kind:     hidden_grid_dims
    .group_segment_fixed_size: 0
    .kernarg_segment_align: 8
    .kernarg_segment_size: 288
    .language:       OpenCL C
    .language_version:
      - 2
      - 0
    .max_flat_workgroup_size: 128
    .name:           _Z33warp_exclusive_scan_reduce_kernelIfLj128ELj32EENSt9enable_ifIXsr10test_utilsE35device_test_enabled_for_warp_size_vIXT1_EEEvE4typeEPT_S4_S4_S3_
    .private_segment_fixed_size: 0
    .sgpr_count:     18
    .sgpr_spill_count: 0
    .symbol:         _Z33warp_exclusive_scan_reduce_kernelIfLj128ELj32EENSt9enable_ifIXsr10test_utilsE35device_test_enabled_for_warp_size_vIXT1_EEEvE4typeEPT_S4_S4_S3_.kd
    .uniform_work_group_size: 1
    .uses_dynamic_stack: false
    .vgpr_count:     10
    .vgpr_spill_count: 0
    .wavefront_size: 32
    .workgroup_processor_mode: 1
  - .args:
      - .address_space:  global
        .offset:         0
        .size:           8
        .value_kind:     global_buffer
      - .address_space:  global
        .offset:         8
        .size:           8
        .value_kind:     global_buffer
      - .address_space:  global
        .offset:         16
        .size:           8
        .value_kind:     global_buffer
      - .offset:         24
        .size:           4
        .value_kind:     by_value
      - .offset:         32
        .size:           4
        .value_kind:     hidden_block_count_x
      - .offset:         36
        .size:           4
        .value_kind:     hidden_block_count_y
      - .offset:         40
        .size:           4
        .value_kind:     hidden_block_count_z
      - .offset:         44
        .size:           2
        .value_kind:     hidden_group_size_x
      - .offset:         46
        .size:           2
        .value_kind:     hidden_group_size_y
      - .offset:         48
        .size:           2
        .value_kind:     hidden_group_size_z
      - .offset:         50
        .size:           2
        .value_kind:     hidden_remainder_x
      - .offset:         52
        .size:           2
        .value_kind:     hidden_remainder_y
      - .offset:         54
        .size:           2
        .value_kind:     hidden_remainder_z
      - .offset:         72
        .size:           8
        .value_kind:     hidden_global_offset_x
      - .offset:         80
        .size:           8
        .value_kind:     hidden_global_offset_y
      - .offset:         88
        .size:           8
        .value_kind:     hidden_global_offset_z
      - .offset:         96
        .size:           2
        .value_kind:     hidden_grid_dims
    .group_segment_fixed_size: 0
    .kernarg_segment_align: 8
    .kernarg_segment_size: 288
    .language:       OpenCL C
    .language_version:
      - 2
      - 0
    .max_flat_workgroup_size: 64
    .name:           _Z33warp_exclusive_scan_reduce_kernelIfLj64ELj16EENSt9enable_ifIXsr10test_utilsE35device_test_enabled_for_warp_size_vIXT1_EEEvE4typeEPT_S4_S4_S3_
    .private_segment_fixed_size: 0
    .sgpr_count:     18
    .sgpr_spill_count: 0
    .symbol:         _Z33warp_exclusive_scan_reduce_kernelIfLj64ELj16EENSt9enable_ifIXsr10test_utilsE35device_test_enabled_for_warp_size_vIXT1_EEEvE4typeEPT_S4_S4_S3_.kd
    .uniform_work_group_size: 1
    .uses_dynamic_stack: false
    .vgpr_count:     10
    .vgpr_spill_count: 0
    .wavefront_size: 32
    .workgroup_processor_mode: 1
  - .args:
      - .address_space:  global
        .offset:         0
        .size:           8
        .value_kind:     global_buffer
      - .address_space:  global
        .offset:         8
        .size:           8
        .value_kind:     global_buffer
      - .address_space:  global
        .offset:         16
        .size:           8
        .value_kind:     global_buffer
      - .offset:         24
        .size:           4
        .value_kind:     by_value
      - .offset:         32
        .size:           4
        .value_kind:     hidden_block_count_x
      - .offset:         36
        .size:           4
        .value_kind:     hidden_block_count_y
      - .offset:         40
        .size:           4
        .value_kind:     hidden_block_count_z
      - .offset:         44
        .size:           2
        .value_kind:     hidden_group_size_x
      - .offset:         46
        .size:           2
        .value_kind:     hidden_group_size_y
      - .offset:         48
        .size:           2
        .value_kind:     hidden_group_size_z
      - .offset:         50
        .size:           2
        .value_kind:     hidden_remainder_x
      - .offset:         52
        .size:           2
        .value_kind:     hidden_remainder_y
      - .offset:         54
        .size:           2
        .value_kind:     hidden_remainder_z
      - .offset:         72
        .size:           8
        .value_kind:     hidden_global_offset_x
      - .offset:         80
        .size:           8
        .value_kind:     hidden_global_offset_y
      - .offset:         88
        .size:           8
        .value_kind:     hidden_global_offset_z
      - .offset:         96
        .size:           2
        .value_kind:     hidden_grid_dims
    .group_segment_fixed_size: 0
    .kernarg_segment_align: 8
    .kernarg_segment_size: 288
    .language:       OpenCL C
    .language_version:
      - 2
      - 0
    .max_flat_workgroup_size: 32
    .name:           _Z33warp_exclusive_scan_reduce_kernelIfLj32ELj8EENSt9enable_ifIXsr10test_utilsE35device_test_enabled_for_warp_size_vIXT1_EEEvE4typeEPT_S4_S4_S3_
    .private_segment_fixed_size: 0
    .sgpr_count:     18
    .sgpr_spill_count: 0
    .symbol:         _Z33warp_exclusive_scan_reduce_kernelIfLj32ELj8EENSt9enable_ifIXsr10test_utilsE35device_test_enabled_for_warp_size_vIXT1_EEEvE4typeEPT_S4_S4_S3_.kd
    .uniform_work_group_size: 1
    .uses_dynamic_stack: false
    .vgpr_count:     10
    .vgpr_spill_count: 0
    .wavefront_size: 32
    .workgroup_processor_mode: 1
  - .args:
      - .address_space:  global
        .offset:         0
        .size:           8
        .value_kind:     global_buffer
      - .address_space:  global
        .offset:         8
        .size:           8
        .value_kind:     global_buffer
      - .address_space:  global
        .offset:         16
        .size:           8
        .value_kind:     global_buffer
      - .offset:         24
        .size:           4
        .value_kind:     by_value
      - .offset:         32
        .size:           4
        .value_kind:     hidden_block_count_x
      - .offset:         36
        .size:           4
        .value_kind:     hidden_block_count_y
      - .offset:         40
        .size:           4
        .value_kind:     hidden_block_count_z
      - .offset:         44
        .size:           2
        .value_kind:     hidden_group_size_x
      - .offset:         46
        .size:           2
        .value_kind:     hidden_group_size_y
      - .offset:         48
        .size:           2
        .value_kind:     hidden_group_size_z
      - .offset:         50
        .size:           2
        .value_kind:     hidden_remainder_x
      - .offset:         52
        .size:           2
        .value_kind:     hidden_remainder_y
      - .offset:         54
        .size:           2
        .value_kind:     hidden_remainder_z
      - .offset:         72
        .size:           8
        .value_kind:     hidden_global_offset_x
      - .offset:         80
        .size:           8
        .value_kind:     hidden_global_offset_y
      - .offset:         88
        .size:           8
        .value_kind:     hidden_global_offset_z
      - .offset:         96
        .size:           2
        .value_kind:     hidden_grid_dims
    .group_segment_fixed_size: 0
    .kernarg_segment_align: 8
    .kernarg_segment_size: 288
    .language:       OpenCL C
    .language_version:
      - 2
      - 0
    .max_flat_workgroup_size: 64
    .name:           _Z33warp_exclusive_scan_reduce_kernelIfLj64ELj8EENSt9enable_ifIXsr10test_utilsE35device_test_enabled_for_warp_size_vIXT1_EEEvE4typeEPT_S4_S4_S3_
    .private_segment_fixed_size: 0
    .sgpr_count:     18
    .sgpr_spill_count: 0
    .symbol:         _Z33warp_exclusive_scan_reduce_kernelIfLj64ELj8EENSt9enable_ifIXsr10test_utilsE35device_test_enabled_for_warp_size_vIXT1_EEEvE4typeEPT_S4_S4_S3_.kd
    .uniform_work_group_size: 1
    .uses_dynamic_stack: false
    .vgpr_count:     10
    .vgpr_spill_count: 0
    .wavefront_size: 32
    .workgroup_processor_mode: 1
  - .args:
      - .address_space:  global
        .offset:         0
        .size:           8
        .value_kind:     global_buffer
      - .address_space:  global
        .offset:         8
        .size:           8
        .value_kind:     global_buffer
      - .address_space:  global
        .offset:         16
        .size:           8
        .value_kind:     global_buffer
      - .offset:         24
        .size:           4
        .value_kind:     by_value
      - .offset:         32
        .size:           4
        .value_kind:     hidden_block_count_x
      - .offset:         36
        .size:           4
        .value_kind:     hidden_block_count_y
      - .offset:         40
        .size:           4
        .value_kind:     hidden_block_count_z
      - .offset:         44
        .size:           2
        .value_kind:     hidden_group_size_x
      - .offset:         46
        .size:           2
        .value_kind:     hidden_group_size_y
      - .offset:         48
        .size:           2
        .value_kind:     hidden_group_size_z
      - .offset:         50
        .size:           2
        .value_kind:     hidden_remainder_x
      - .offset:         52
        .size:           2
        .value_kind:     hidden_remainder_y
      - .offset:         54
        .size:           2
        .value_kind:     hidden_remainder_z
      - .offset:         72
        .size:           8
        .value_kind:     hidden_global_offset_x
      - .offset:         80
        .size:           8
        .value_kind:     hidden_global_offset_y
      - .offset:         88
        .size:           8
        .value_kind:     hidden_global_offset_z
      - .offset:         96
        .size:           2
        .value_kind:     hidden_grid_dims
    .group_segment_fixed_size: 0
    .kernarg_segment_align: 8
    .kernarg_segment_size: 288
    .language:       OpenCL C
    .language_version:
      - 2
      - 0
    .max_flat_workgroup_size: 32
    .name:           _Z33warp_exclusive_scan_reduce_kernelIfLj32ELj4EENSt9enable_ifIXsr10test_utilsE35device_test_enabled_for_warp_size_vIXT1_EEEvE4typeEPT_S4_S4_S3_
    .private_segment_fixed_size: 0
    .sgpr_count:     18
    .sgpr_spill_count: 0
    .symbol:         _Z33warp_exclusive_scan_reduce_kernelIfLj32ELj4EENSt9enable_ifIXsr10test_utilsE35device_test_enabled_for_warp_size_vIXT1_EEEvE4typeEPT_S4_S4_S3_.kd
    .uniform_work_group_size: 1
    .uses_dynamic_stack: false
    .vgpr_count:     10
    .vgpr_spill_count: 0
    .wavefront_size: 32
    .workgroup_processor_mode: 1
  - .args:
      - .address_space:  global
        .offset:         0
        .size:           8
        .value_kind:     global_buffer
      - .address_space:  global
        .offset:         8
        .size:           8
        .value_kind:     global_buffer
      - .address_space:  global
        .offset:         16
        .size:           8
        .value_kind:     global_buffer
      - .offset:         24
        .size:           4
        .value_kind:     by_value
      - .offset:         32
        .size:           4
        .value_kind:     hidden_block_count_x
      - .offset:         36
        .size:           4
        .value_kind:     hidden_block_count_y
      - .offset:         40
        .size:           4
        .value_kind:     hidden_block_count_z
      - .offset:         44
        .size:           2
        .value_kind:     hidden_group_size_x
      - .offset:         46
        .size:           2
        .value_kind:     hidden_group_size_y
      - .offset:         48
        .size:           2
        .value_kind:     hidden_group_size_z
      - .offset:         50
        .size:           2
        .value_kind:     hidden_remainder_x
      - .offset:         52
        .size:           2
        .value_kind:     hidden_remainder_y
      - .offset:         54
        .size:           2
        .value_kind:     hidden_remainder_z
      - .offset:         72
        .size:           8
        .value_kind:     hidden_global_offset_x
      - .offset:         80
        .size:           8
        .value_kind:     hidden_global_offset_y
      - .offset:         88
        .size:           8
        .value_kind:     hidden_global_offset_z
      - .offset:         96
        .size:           2
        .value_kind:     hidden_grid_dims
    .group_segment_fixed_size: 0
    .kernarg_segment_align: 8
    .kernarg_segment_size: 288
    .language:       OpenCL C
    .language_version:
      - 2
      - 0
    .max_flat_workgroup_size: 64
    .name:           _Z33warp_exclusive_scan_reduce_kernelIfLj64ELj4EENSt9enable_ifIXsr10test_utilsE35device_test_enabled_for_warp_size_vIXT1_EEEvE4typeEPT_S4_S4_S3_
    .private_segment_fixed_size: 0
    .sgpr_count:     18
    .sgpr_spill_count: 0
    .symbol:         _Z33warp_exclusive_scan_reduce_kernelIfLj64ELj4EENSt9enable_ifIXsr10test_utilsE35device_test_enabled_for_warp_size_vIXT1_EEEvE4typeEPT_S4_S4_S3_.kd
    .uniform_work_group_size: 1
    .uses_dynamic_stack: false
    .vgpr_count:     10
    .vgpr_spill_count: 0
    .wavefront_size: 32
    .workgroup_processor_mode: 1
  - .args:
      - .address_space:  global
        .offset:         0
        .size:           8
        .value_kind:     global_buffer
      - .address_space:  global
        .offset:         8
        .size:           8
        .value_kind:     global_buffer
      - .address_space:  global
        .offset:         16
        .size:           8
        .value_kind:     global_buffer
      - .offset:         24
        .size:           4
        .value_kind:     by_value
      - .offset:         32
        .size:           4
        .value_kind:     hidden_block_count_x
      - .offset:         36
        .size:           4
        .value_kind:     hidden_block_count_y
      - .offset:         40
        .size:           4
        .value_kind:     hidden_block_count_z
      - .offset:         44
        .size:           2
        .value_kind:     hidden_group_size_x
      - .offset:         46
        .size:           2
        .value_kind:     hidden_group_size_y
      - .offset:         48
        .size:           2
        .value_kind:     hidden_group_size_z
      - .offset:         50
        .size:           2
        .value_kind:     hidden_remainder_x
      - .offset:         52
        .size:           2
        .value_kind:     hidden_remainder_y
      - .offset:         54
        .size:           2
        .value_kind:     hidden_remainder_z
      - .offset:         72
        .size:           8
        .value_kind:     hidden_global_offset_x
      - .offset:         80
        .size:           8
        .value_kind:     hidden_global_offset_y
      - .offset:         88
        .size:           8
        .value_kind:     hidden_global_offset_z
      - .offset:         96
        .size:           2
        .value_kind:     hidden_grid_dims
    .group_segment_fixed_size: 0
    .kernarg_segment_align: 8
    .kernarg_segment_size: 288
    .language:       OpenCL C
    .language_version:
      - 2
      - 0
    .max_flat_workgroup_size: 32
    .name:           _Z33warp_exclusive_scan_reduce_kernelIfLj32ELj2EENSt9enable_ifIXsr10test_utilsE35device_test_enabled_for_warp_size_vIXT1_EEEvE4typeEPT_S4_S4_S3_
    .private_segment_fixed_size: 0
    .sgpr_count:     18
    .sgpr_spill_count: 0
    .symbol:         _Z33warp_exclusive_scan_reduce_kernelIfLj32ELj2EENSt9enable_ifIXsr10test_utilsE35device_test_enabled_for_warp_size_vIXT1_EEEvE4typeEPT_S4_S4_S3_.kd
    .uniform_work_group_size: 1
    .uses_dynamic_stack: false
    .vgpr_count:     11
    .vgpr_spill_count: 0
    .wavefront_size: 32
    .workgroup_processor_mode: 1
  - .args:
      - .address_space:  global
        .offset:         0
        .size:           8
        .value_kind:     global_buffer
      - .address_space:  global
        .offset:         8
        .size:           8
        .value_kind:     global_buffer
      - .address_space:  global
        .offset:         16
        .size:           8
        .value_kind:     global_buffer
      - .offset:         24
        .size:           4
        .value_kind:     by_value
      - .offset:         32
        .size:           4
        .value_kind:     hidden_block_count_x
      - .offset:         36
        .size:           4
        .value_kind:     hidden_block_count_y
      - .offset:         40
        .size:           4
        .value_kind:     hidden_block_count_z
      - .offset:         44
        .size:           2
        .value_kind:     hidden_group_size_x
      - .offset:         46
        .size:           2
        .value_kind:     hidden_group_size_y
      - .offset:         48
        .size:           2
        .value_kind:     hidden_group_size_z
      - .offset:         50
        .size:           2
        .value_kind:     hidden_remainder_x
      - .offset:         52
        .size:           2
        .value_kind:     hidden_remainder_y
      - .offset:         54
        .size:           2
        .value_kind:     hidden_remainder_z
      - .offset:         72
        .size:           8
        .value_kind:     hidden_global_offset_x
      - .offset:         80
        .size:           8
        .value_kind:     hidden_global_offset_y
      - .offset:         88
        .size:           8
        .value_kind:     hidden_global_offset_z
      - .offset:         96
        .size:           2
        .value_kind:     hidden_grid_dims
    .group_segment_fixed_size: 0
    .kernarg_segment_align: 8
    .kernarg_segment_size: 288
    .language:       OpenCL C
    .language_version:
      - 2
      - 0
    .max_flat_workgroup_size: 64
    .name:           _Z33warp_exclusive_scan_reduce_kernelIfLj64ELj2EENSt9enable_ifIXsr10test_utilsE35device_test_enabled_for_warp_size_vIXT1_EEEvE4typeEPT_S4_S4_S3_
    .private_segment_fixed_size: 0
    .sgpr_count:     18
    .sgpr_spill_count: 0
    .symbol:         _Z33warp_exclusive_scan_reduce_kernelIfLj64ELj2EENSt9enable_ifIXsr10test_utilsE35device_test_enabled_for_warp_size_vIXT1_EEEvE4typeEPT_S4_S4_S3_.kd
    .uniform_work_group_size: 1
    .uses_dynamic_stack: false
    .vgpr_count:     11
    .vgpr_spill_count: 0
    .wavefront_size: 32
    .workgroup_processor_mode: 1
  - .args:
      - .address_space:  global
        .offset:         0
        .size:           8
        .value_kind:     global_buffer
      - .address_space:  global
        .offset:         8
        .size:           8
        .value_kind:     global_buffer
      - .address_space:  global
        .offset:         16
        .size:           8
        .value_kind:     global_buffer
      - .offset:         24
        .size:           4
        .value_kind:     by_value
    .group_segment_fixed_size: 0
    .kernarg_segment_align: 8
    .kernarg_segment_size: 28
    .language:       OpenCL C
    .language_version:
      - 2
      - 0
    .max_flat_workgroup_size: 256
    .name:           _Z33warp_exclusive_scan_reduce_kernelIiLj256ELj64EENSt9enable_ifIXntsr10test_utilsE35device_test_enabled_for_warp_size_vIXT1_EEEvE4typeEPT_S4_S4_S3_
    .private_segment_fixed_size: 0
    .sgpr_count:     0
    .sgpr_spill_count: 0
    .symbol:         _Z33warp_exclusive_scan_reduce_kernelIiLj256ELj64EENSt9enable_ifIXntsr10test_utilsE35device_test_enabled_for_warp_size_vIXT1_EEEvE4typeEPT_S4_S4_S3_.kd
    .uniform_work_group_size: 1
    .uses_dynamic_stack: false
    .vgpr_count:     0
    .vgpr_spill_count: 0
    .wavefront_size: 32
    .workgroup_processor_mode: 1
  - .args:
      - .address_space:  global
        .offset:         0
        .size:           8
        .value_kind:     global_buffer
      - .address_space:  global
        .offset:         8
        .size:           8
        .value_kind:     global_buffer
      - .address_space:  global
        .offset:         16
        .size:           8
        .value_kind:     global_buffer
      - .offset:         24
        .size:           4
        .value_kind:     by_value
      - .offset:         32
        .size:           4
        .value_kind:     hidden_block_count_x
      - .offset:         36
        .size:           4
        .value_kind:     hidden_block_count_y
      - .offset:         40
        .size:           4
        .value_kind:     hidden_block_count_z
      - .offset:         44
        .size:           2
        .value_kind:     hidden_group_size_x
      - .offset:         46
        .size:           2
        .value_kind:     hidden_group_size_y
      - .offset:         48
        .size:           2
        .value_kind:     hidden_group_size_z
      - .offset:         50
        .size:           2
        .value_kind:     hidden_remainder_x
      - .offset:         52
        .size:           2
        .value_kind:     hidden_remainder_y
      - .offset:         54
        .size:           2
        .value_kind:     hidden_remainder_z
      - .offset:         72
        .size:           8
        .value_kind:     hidden_global_offset_x
      - .offset:         80
        .size:           8
        .value_kind:     hidden_global_offset_y
      - .offset:         88
        .size:           8
        .value_kind:     hidden_global_offset_z
      - .offset:         96
        .size:           2
        .value_kind:     hidden_grid_dims
    .group_segment_fixed_size: 0
    .kernarg_segment_align: 8
    .kernarg_segment_size: 288
    .language:       OpenCL C
    .language_version:
      - 2
      - 0
    .max_flat_workgroup_size: 128
    .name:           _Z33warp_exclusive_scan_reduce_kernelIiLj128ELj32EENSt9enable_ifIXsr10test_utilsE35device_test_enabled_for_warp_size_vIXT1_EEEvE4typeEPT_S4_S4_S3_
    .private_segment_fixed_size: 0
    .sgpr_count:     18
    .sgpr_spill_count: 0
    .symbol:         _Z33warp_exclusive_scan_reduce_kernelIiLj128ELj32EENSt9enable_ifIXsr10test_utilsE35device_test_enabled_for_warp_size_vIXT1_EEEvE4typeEPT_S4_S4_S3_.kd
    .uniform_work_group_size: 1
    .uses_dynamic_stack: false
    .vgpr_count:     10
    .vgpr_spill_count: 0
    .wavefront_size: 32
    .workgroup_processor_mode: 1
  - .args:
      - .address_space:  global
        .offset:         0
        .size:           8
        .value_kind:     global_buffer
      - .address_space:  global
        .offset:         8
        .size:           8
        .value_kind:     global_buffer
      - .address_space:  global
        .offset:         16
        .size:           8
        .value_kind:     global_buffer
      - .offset:         24
        .size:           4
        .value_kind:     by_value
      - .offset:         32
        .size:           4
        .value_kind:     hidden_block_count_x
      - .offset:         36
        .size:           4
        .value_kind:     hidden_block_count_y
      - .offset:         40
        .size:           4
        .value_kind:     hidden_block_count_z
      - .offset:         44
        .size:           2
        .value_kind:     hidden_group_size_x
      - .offset:         46
        .size:           2
        .value_kind:     hidden_group_size_y
      - .offset:         48
        .size:           2
        .value_kind:     hidden_group_size_z
      - .offset:         50
        .size:           2
        .value_kind:     hidden_remainder_x
      - .offset:         52
        .size:           2
        .value_kind:     hidden_remainder_y
      - .offset:         54
        .size:           2
        .value_kind:     hidden_remainder_z
      - .offset:         72
        .size:           8
        .value_kind:     hidden_global_offset_x
      - .offset:         80
        .size:           8
        .value_kind:     hidden_global_offset_y
      - .offset:         88
        .size:           8
        .value_kind:     hidden_global_offset_z
      - .offset:         96
        .size:           2
        .value_kind:     hidden_grid_dims
    .group_segment_fixed_size: 0
    .kernarg_segment_align: 8
    .kernarg_segment_size: 288
    .language:       OpenCL C
    .language_version:
      - 2
      - 0
    .max_flat_workgroup_size: 64
    .name:           _Z33warp_exclusive_scan_reduce_kernelIiLj64ELj16EENSt9enable_ifIXsr10test_utilsE35device_test_enabled_for_warp_size_vIXT1_EEEvE4typeEPT_S4_S4_S3_
    .private_segment_fixed_size: 0
    .sgpr_count:     18
    .sgpr_spill_count: 0
    .symbol:         _Z33warp_exclusive_scan_reduce_kernelIiLj64ELj16EENSt9enable_ifIXsr10test_utilsE35device_test_enabled_for_warp_size_vIXT1_EEEvE4typeEPT_S4_S4_S3_.kd
    .uniform_work_group_size: 1
    .uses_dynamic_stack: false
    .vgpr_count:     10
    .vgpr_spill_count: 0
    .wavefront_size: 32
    .workgroup_processor_mode: 1
  - .args:
      - .address_space:  global
        .offset:         0
        .size:           8
        .value_kind:     global_buffer
      - .address_space:  global
        .offset:         8
        .size:           8
        .value_kind:     global_buffer
      - .address_space:  global
        .offset:         16
        .size:           8
        .value_kind:     global_buffer
      - .offset:         24
        .size:           4
        .value_kind:     by_value
      - .offset:         32
        .size:           4
        .value_kind:     hidden_block_count_x
      - .offset:         36
        .size:           4
        .value_kind:     hidden_block_count_y
      - .offset:         40
        .size:           4
        .value_kind:     hidden_block_count_z
      - .offset:         44
        .size:           2
        .value_kind:     hidden_group_size_x
      - .offset:         46
        .size:           2
        .value_kind:     hidden_group_size_y
      - .offset:         48
        .size:           2
        .value_kind:     hidden_group_size_z
      - .offset:         50
        .size:           2
        .value_kind:     hidden_remainder_x
      - .offset:         52
        .size:           2
        .value_kind:     hidden_remainder_y
      - .offset:         54
        .size:           2
        .value_kind:     hidden_remainder_z
      - .offset:         72
        .size:           8
        .value_kind:     hidden_global_offset_x
      - .offset:         80
        .size:           8
        .value_kind:     hidden_global_offset_y
      - .offset:         88
        .size:           8
        .value_kind:     hidden_global_offset_z
      - .offset:         96
        .size:           2
        .value_kind:     hidden_grid_dims
    .group_segment_fixed_size: 0
    .kernarg_segment_align: 8
    .kernarg_segment_size: 288
    .language:       OpenCL C
    .language_version:
      - 2
      - 0
    .max_flat_workgroup_size: 32
    .name:           _Z33warp_exclusive_scan_reduce_kernelIiLj32ELj8EENSt9enable_ifIXsr10test_utilsE35device_test_enabled_for_warp_size_vIXT1_EEEvE4typeEPT_S4_S4_S3_
    .private_segment_fixed_size: 0
    .sgpr_count:     18
    .sgpr_spill_count: 0
    .symbol:         _Z33warp_exclusive_scan_reduce_kernelIiLj32ELj8EENSt9enable_ifIXsr10test_utilsE35device_test_enabled_for_warp_size_vIXT1_EEEvE4typeEPT_S4_S4_S3_.kd
    .uniform_work_group_size: 1
    .uses_dynamic_stack: false
    .vgpr_count:     10
    .vgpr_spill_count: 0
    .wavefront_size: 32
    .workgroup_processor_mode: 1
  - .args:
      - .address_space:  global
        .offset:         0
        .size:           8
        .value_kind:     global_buffer
      - .address_space:  global
        .offset:         8
        .size:           8
        .value_kind:     global_buffer
      - .address_space:  global
        .offset:         16
        .size:           8
        .value_kind:     global_buffer
      - .offset:         24
        .size:           4
        .value_kind:     by_value
      - .offset:         32
        .size:           4
        .value_kind:     hidden_block_count_x
      - .offset:         36
        .size:           4
        .value_kind:     hidden_block_count_y
      - .offset:         40
        .size:           4
        .value_kind:     hidden_block_count_z
      - .offset:         44
        .size:           2
        .value_kind:     hidden_group_size_x
      - .offset:         46
        .size:           2
        .value_kind:     hidden_group_size_y
      - .offset:         48
        .size:           2
        .value_kind:     hidden_group_size_z
      - .offset:         50
        .size:           2
        .value_kind:     hidden_remainder_x
      - .offset:         52
        .size:           2
        .value_kind:     hidden_remainder_y
      - .offset:         54
        .size:           2
        .value_kind:     hidden_remainder_z
      - .offset:         72
        .size:           8
        .value_kind:     hidden_global_offset_x
      - .offset:         80
        .size:           8
        .value_kind:     hidden_global_offset_y
      - .offset:         88
        .size:           8
        .value_kind:     hidden_global_offset_z
      - .offset:         96
        .size:           2
        .value_kind:     hidden_grid_dims
    .group_segment_fixed_size: 0
    .kernarg_segment_align: 8
    .kernarg_segment_size: 288
    .language:       OpenCL C
    .language_version:
      - 2
      - 0
    .max_flat_workgroup_size: 64
    .name:           _Z33warp_exclusive_scan_reduce_kernelIiLj64ELj8EENSt9enable_ifIXsr10test_utilsE35device_test_enabled_for_warp_size_vIXT1_EEEvE4typeEPT_S4_S4_S3_
    .private_segment_fixed_size: 0
    .sgpr_count:     18
    .sgpr_spill_count: 0
    .symbol:         _Z33warp_exclusive_scan_reduce_kernelIiLj64ELj8EENSt9enable_ifIXsr10test_utilsE35device_test_enabled_for_warp_size_vIXT1_EEEvE4typeEPT_S4_S4_S3_.kd
    .uniform_work_group_size: 1
    .uses_dynamic_stack: false
    .vgpr_count:     10
    .vgpr_spill_count: 0
    .wavefront_size: 32
    .workgroup_processor_mode: 1
  - .args:
      - .address_space:  global
        .offset:         0
        .size:           8
        .value_kind:     global_buffer
      - .address_space:  global
        .offset:         8
        .size:           8
        .value_kind:     global_buffer
      - .address_space:  global
        .offset:         16
        .size:           8
        .value_kind:     global_buffer
      - .offset:         24
        .size:           4
        .value_kind:     by_value
      - .offset:         32
        .size:           4
        .value_kind:     hidden_block_count_x
      - .offset:         36
        .size:           4
        .value_kind:     hidden_block_count_y
      - .offset:         40
        .size:           4
        .value_kind:     hidden_block_count_z
      - .offset:         44
        .size:           2
        .value_kind:     hidden_group_size_x
      - .offset:         46
        .size:           2
        .value_kind:     hidden_group_size_y
      - .offset:         48
        .size:           2
        .value_kind:     hidden_group_size_z
      - .offset:         50
        .size:           2
        .value_kind:     hidden_remainder_x
      - .offset:         52
        .size:           2
        .value_kind:     hidden_remainder_y
      - .offset:         54
        .size:           2
        .value_kind:     hidden_remainder_z
      - .offset:         72
        .size:           8
        .value_kind:     hidden_global_offset_x
      - .offset:         80
        .size:           8
        .value_kind:     hidden_global_offset_y
      - .offset:         88
        .size:           8
        .value_kind:     hidden_global_offset_z
      - .offset:         96
        .size:           2
        .value_kind:     hidden_grid_dims
    .group_segment_fixed_size: 0
    .kernarg_segment_align: 8
    .kernarg_segment_size: 288
    .language:       OpenCL C
    .language_version:
      - 2
      - 0
    .max_flat_workgroup_size: 32
    .name:           _Z33warp_exclusive_scan_reduce_kernelIiLj32ELj4EENSt9enable_ifIXsr10test_utilsE35device_test_enabled_for_warp_size_vIXT1_EEEvE4typeEPT_S4_S4_S3_
    .private_segment_fixed_size: 0
    .sgpr_count:     18
    .sgpr_spill_count: 0
    .symbol:         _Z33warp_exclusive_scan_reduce_kernelIiLj32ELj4EENSt9enable_ifIXsr10test_utilsE35device_test_enabled_for_warp_size_vIXT1_EEEvE4typeEPT_S4_S4_S3_.kd
    .uniform_work_group_size: 1
    .uses_dynamic_stack: false
    .vgpr_count:     10
    .vgpr_spill_count: 0
    .wavefront_size: 32
    .workgroup_processor_mode: 1
  - .args:
      - .address_space:  global
        .offset:         0
        .size:           8
        .value_kind:     global_buffer
      - .address_space:  global
        .offset:         8
        .size:           8
        .value_kind:     global_buffer
      - .address_space:  global
        .offset:         16
        .size:           8
        .value_kind:     global_buffer
      - .offset:         24
        .size:           4
        .value_kind:     by_value
      - .offset:         32
        .size:           4
        .value_kind:     hidden_block_count_x
      - .offset:         36
        .size:           4
        .value_kind:     hidden_block_count_y
      - .offset:         40
        .size:           4
        .value_kind:     hidden_block_count_z
      - .offset:         44
        .size:           2
        .value_kind:     hidden_group_size_x
      - .offset:         46
        .size:           2
        .value_kind:     hidden_group_size_y
      - .offset:         48
        .size:           2
        .value_kind:     hidden_group_size_z
      - .offset:         50
        .size:           2
        .value_kind:     hidden_remainder_x
      - .offset:         52
        .size:           2
        .value_kind:     hidden_remainder_y
      - .offset:         54
        .size:           2
        .value_kind:     hidden_remainder_z
      - .offset:         72
        .size:           8
        .value_kind:     hidden_global_offset_x
      - .offset:         80
        .size:           8
        .value_kind:     hidden_global_offset_y
      - .offset:         88
        .size:           8
        .value_kind:     hidden_global_offset_z
      - .offset:         96
        .size:           2
        .value_kind:     hidden_grid_dims
    .group_segment_fixed_size: 0
    .kernarg_segment_align: 8
    .kernarg_segment_size: 288
    .language:       OpenCL C
    .language_version:
      - 2
      - 0
    .max_flat_workgroup_size: 64
    .name:           _Z33warp_exclusive_scan_reduce_kernelIiLj64ELj4EENSt9enable_ifIXsr10test_utilsE35device_test_enabled_for_warp_size_vIXT1_EEEvE4typeEPT_S4_S4_S3_
    .private_segment_fixed_size: 0
    .sgpr_count:     18
    .sgpr_spill_count: 0
    .symbol:         _Z33warp_exclusive_scan_reduce_kernelIiLj64ELj4EENSt9enable_ifIXsr10test_utilsE35device_test_enabled_for_warp_size_vIXT1_EEEvE4typeEPT_S4_S4_S3_.kd
    .uniform_work_group_size: 1
    .uses_dynamic_stack: false
    .vgpr_count:     10
    .vgpr_spill_count: 0
    .wavefront_size: 32
    .workgroup_processor_mode: 1
  - .args:
      - .address_space:  global
        .offset:         0
        .size:           8
        .value_kind:     global_buffer
      - .address_space:  global
        .offset:         8
        .size:           8
        .value_kind:     global_buffer
      - .address_space:  global
        .offset:         16
        .size:           8
        .value_kind:     global_buffer
      - .offset:         24
        .size:           4
        .value_kind:     by_value
      - .offset:         32
        .size:           4
        .value_kind:     hidden_block_count_x
      - .offset:         36
        .size:           4
        .value_kind:     hidden_block_count_y
      - .offset:         40
        .size:           4
        .value_kind:     hidden_block_count_z
      - .offset:         44
        .size:           2
        .value_kind:     hidden_group_size_x
      - .offset:         46
        .size:           2
        .value_kind:     hidden_group_size_y
      - .offset:         48
        .size:           2
        .value_kind:     hidden_group_size_z
      - .offset:         50
        .size:           2
        .value_kind:     hidden_remainder_x
      - .offset:         52
        .size:           2
        .value_kind:     hidden_remainder_y
      - .offset:         54
        .size:           2
        .value_kind:     hidden_remainder_z
      - .offset:         72
        .size:           8
        .value_kind:     hidden_global_offset_x
      - .offset:         80
        .size:           8
        .value_kind:     hidden_global_offset_y
      - .offset:         88
        .size:           8
        .value_kind:     hidden_global_offset_z
      - .offset:         96
        .size:           2
        .value_kind:     hidden_grid_dims
    .group_segment_fixed_size: 0
    .kernarg_segment_align: 8
    .kernarg_segment_size: 288
    .language:       OpenCL C
    .language_version:
      - 2
      - 0
    .max_flat_workgroup_size: 32
    .name:           _Z33warp_exclusive_scan_reduce_kernelIiLj32ELj2EENSt9enable_ifIXsr10test_utilsE35device_test_enabled_for_warp_size_vIXT1_EEEvE4typeEPT_S4_S4_S3_
    .private_segment_fixed_size: 0
    .sgpr_count:     18
    .sgpr_spill_count: 0
    .symbol:         _Z33warp_exclusive_scan_reduce_kernelIiLj32ELj2EENSt9enable_ifIXsr10test_utilsE35device_test_enabled_for_warp_size_vIXT1_EEEvE4typeEPT_S4_S4_S3_.kd
    .uniform_work_group_size: 1
    .uses_dynamic_stack: false
    .vgpr_count:     11
    .vgpr_spill_count: 0
    .wavefront_size: 32
    .workgroup_processor_mode: 1
  - .args:
      - .address_space:  global
        .offset:         0
        .size:           8
        .value_kind:     global_buffer
      - .address_space:  global
        .offset:         8
        .size:           8
        .value_kind:     global_buffer
      - .address_space:  global
        .offset:         16
        .size:           8
        .value_kind:     global_buffer
      - .offset:         24
        .size:           4
        .value_kind:     by_value
      - .offset:         32
        .size:           4
        .value_kind:     hidden_block_count_x
      - .offset:         36
        .size:           4
        .value_kind:     hidden_block_count_y
      - .offset:         40
        .size:           4
        .value_kind:     hidden_block_count_z
      - .offset:         44
        .size:           2
        .value_kind:     hidden_group_size_x
      - .offset:         46
        .size:           2
        .value_kind:     hidden_group_size_y
      - .offset:         48
        .size:           2
        .value_kind:     hidden_group_size_z
      - .offset:         50
        .size:           2
        .value_kind:     hidden_remainder_x
      - .offset:         52
        .size:           2
        .value_kind:     hidden_remainder_y
      - .offset:         54
        .size:           2
        .value_kind:     hidden_remainder_z
      - .offset:         72
        .size:           8
        .value_kind:     hidden_global_offset_x
      - .offset:         80
        .size:           8
        .value_kind:     hidden_global_offset_y
      - .offset:         88
        .size:           8
        .value_kind:     hidden_global_offset_z
      - .offset:         96
        .size:           2
        .value_kind:     hidden_grid_dims
    .group_segment_fixed_size: 0
    .kernarg_segment_align: 8
    .kernarg_segment_size: 288
    .language:       OpenCL C
    .language_version:
      - 2
      - 0
    .max_flat_workgroup_size: 64
    .name:           _Z33warp_exclusive_scan_reduce_kernelIiLj64ELj2EENSt9enable_ifIXsr10test_utilsE35device_test_enabled_for_warp_size_vIXT1_EEEvE4typeEPT_S4_S4_S3_
    .private_segment_fixed_size: 0
    .sgpr_count:     18
    .sgpr_spill_count: 0
    .symbol:         _Z33warp_exclusive_scan_reduce_kernelIiLj64ELj2EENSt9enable_ifIXsr10test_utilsE35device_test_enabled_for_warp_size_vIXT1_EEEvE4typeEPT_S4_S4_S3_.kd
    .uniform_work_group_size: 1
    .uses_dynamic_stack: false
    .vgpr_count:     11
    .vgpr_spill_count: 0
    .wavefront_size: 32
    .workgroup_processor_mode: 1
  - .args:
      - .address_space:  global
        .offset:         0
        .size:           8
        .value_kind:     global_buffer
      - .address_space:  global
        .offset:         8
        .size:           8
        .value_kind:     global_buffer
      - .address_space:  global
        .offset:         16
        .size:           8
        .value_kind:     global_buffer
      - .offset:         24
        .size:           4
        .value_kind:     by_value
    .group_segment_fixed_size: 0
    .kernarg_segment_align: 8
    .kernarg_segment_size: 28
    .language:       OpenCL C
    .language_version:
      - 2
      - 0
    .max_flat_workgroup_size: 1
    .name:           _Z16warp_scan_kernelIfLj1ELj61EENSt9enable_ifIXntsr10test_utilsE35device_test_enabled_for_warp_size_vIXT1_EEEvE4typeEPT_S4_S4_S3_
    .private_segment_fixed_size: 0
    .sgpr_count:     0
    .sgpr_spill_count: 0
    .symbol:         _Z16warp_scan_kernelIfLj1ELj61EENSt9enable_ifIXntsr10test_utilsE35device_test_enabled_for_warp_size_vIXT1_EEEvE4typeEPT_S4_S4_S3_.kd
    .uniform_work_group_size: 1
    .uses_dynamic_stack: false
    .vgpr_count:     0
    .vgpr_spill_count: 0
    .wavefront_size: 32
    .workgroup_processor_mode: 1
  - .args:
      - .address_space:  global
        .offset:         0
        .size:           8
        .value_kind:     global_buffer
      - .address_space:  global
        .offset:         8
        .size:           8
        .value_kind:     global_buffer
      - .address_space:  global
        .offset:         16
        .size:           8
        .value_kind:     global_buffer
      - .offset:         24
        .size:           4
        .value_kind:     by_value
    .group_segment_fixed_size: 0
    .kernarg_segment_align: 8
    .kernarg_segment_size: 28
    .language:       OpenCL C
    .language_version:
      - 2
      - 0
    .max_flat_workgroup_size: 61
    .name:           _Z16warp_scan_kernelIfLj61ELj61EENSt9enable_ifIXntsr10test_utilsE35device_test_enabled_for_warp_size_vIXT1_EEEvE4typeEPT_S4_S4_S3_
    .private_segment_fixed_size: 0
    .sgpr_count:     0
    .sgpr_spill_count: 0
    .symbol:         _Z16warp_scan_kernelIfLj61ELj61EENSt9enable_ifIXntsr10test_utilsE35device_test_enabled_for_warp_size_vIXT1_EEEvE4typeEPT_S4_S4_S3_.kd
    .uniform_work_group_size: 1
    .uses_dynamic_stack: false
    .vgpr_count:     0
    .vgpr_spill_count: 0
    .wavefront_size: 32
    .workgroup_processor_mode: 1
  - .args:
      - .address_space:  global
        .offset:         0
        .size:           8
        .value_kind:     global_buffer
      - .address_space:  global
        .offset:         8
        .size:           8
        .value_kind:     global_buffer
      - .address_space:  global
        .offset:         16
        .size:           8
        .value_kind:     global_buffer
      - .offset:         24
        .size:           4
        .value_kind:     by_value
    .group_segment_fixed_size: 0
    .kernarg_segment_align: 8
    .kernarg_segment_size: 28
    .language:       OpenCL C
    .language_version:
      - 2
      - 0
    .max_flat_workgroup_size: 1
    .name:           _Z16warp_scan_kernelIfLj1ELj37EENSt9enable_ifIXntsr10test_utilsE35device_test_enabled_for_warp_size_vIXT1_EEEvE4typeEPT_S4_S4_S3_
    .private_segment_fixed_size: 0
    .sgpr_count:     0
    .sgpr_spill_count: 0
    .symbol:         _Z16warp_scan_kernelIfLj1ELj37EENSt9enable_ifIXntsr10test_utilsE35device_test_enabled_for_warp_size_vIXT1_EEEvE4typeEPT_S4_S4_S3_.kd
    .uniform_work_group_size: 1
    .uses_dynamic_stack: false
    .vgpr_count:     0
    .vgpr_spill_count: 0
    .wavefront_size: 32
    .workgroup_processor_mode: 1
  - .args:
      - .address_space:  global
        .offset:         0
        .size:           8
        .value_kind:     global_buffer
      - .address_space:  global
        .offset:         8
        .size:           8
        .value_kind:     global_buffer
      - .address_space:  global
        .offset:         16
        .size:           8
        .value_kind:     global_buffer
      - .offset:         24
        .size:           4
        .value_kind:     by_value
    .group_segment_fixed_size: 0
    .kernarg_segment_align: 8
    .kernarg_segment_size: 28
    .language:       OpenCL C
    .language_version:
      - 2
      - 0
    .max_flat_workgroup_size: 37
    .name:           _Z16warp_scan_kernelIfLj37ELj37EENSt9enable_ifIXntsr10test_utilsE35device_test_enabled_for_warp_size_vIXT1_EEEvE4typeEPT_S4_S4_S3_
    .private_segment_fixed_size: 0
    .sgpr_count:     0
    .sgpr_spill_count: 0
    .symbol:         _Z16warp_scan_kernelIfLj37ELj37EENSt9enable_ifIXntsr10test_utilsE35device_test_enabled_for_warp_size_vIXT1_EEEvE4typeEPT_S4_S4_S3_.kd
    .uniform_work_group_size: 1
    .uses_dynamic_stack: false
    .vgpr_count:     0
    .vgpr_spill_count: 0
    .wavefront_size: 32
    .workgroup_processor_mode: 1
  - .args:
      - .address_space:  global
        .offset:         0
        .size:           8
        .value_kind:     global_buffer
      - .address_space:  global
        .offset:         8
        .size:           8
        .value_kind:     global_buffer
      - .address_space:  global
        .offset:         16
        .size:           8
        .value_kind:     global_buffer
      - .offset:         24
        .size:           4
        .value_kind:     by_value
      - .offset:         32
        .size:           4
        .value_kind:     hidden_block_count_x
      - .offset:         36
        .size:           4
        .value_kind:     hidden_block_count_y
      - .offset:         40
        .size:           4
        .value_kind:     hidden_block_count_z
      - .offset:         44
        .size:           2
        .value_kind:     hidden_group_size_x
      - .offset:         46
        .size:           2
        .value_kind:     hidden_group_size_y
      - .offset:         48
        .size:           2
        .value_kind:     hidden_group_size_z
      - .offset:         50
        .size:           2
        .value_kind:     hidden_remainder_x
      - .offset:         52
        .size:           2
        .value_kind:     hidden_remainder_y
      - .offset:         54
        .size:           2
        .value_kind:     hidden_remainder_z
      - .offset:         72
        .size:           8
        .value_kind:     hidden_global_offset_x
      - .offset:         80
        .size:           8
        .value_kind:     hidden_global_offset_y
      - .offset:         88
        .size:           8
        .value_kind:     hidden_global_offset_z
      - .offset:         96
        .size:           2
        .value_kind:     hidden_grid_dims
    .group_segment_fixed_size: 120
    .kernarg_segment_align: 8
    .kernarg_segment_size: 288
    .language:       OpenCL C
    .language_version:
      - 2
      - 0
    .max_flat_workgroup_size: 30
    .name:           _Z16warp_scan_kernelIfLj30ELj15EENSt9enable_ifIXsr10test_utilsE35device_test_enabled_for_warp_size_vIXT1_EEEvE4typeEPT_S4_S4_S3_
    .private_segment_fixed_size: 0
    .sgpr_count:     18
    .sgpr_spill_count: 0
    .symbol:         _Z16warp_scan_kernelIfLj30ELj15EENSt9enable_ifIXsr10test_utilsE35device_test_enabled_for_warp_size_vIXT1_EEEvE4typeEPT_S4_S4_S3_.kd
    .uniform_work_group_size: 1
    .uses_dynamic_stack: false
    .vgpr_count:     7
    .vgpr_spill_count: 0
    .wavefront_size: 32
    .workgroup_processor_mode: 1
  - .args:
      - .address_space:  global
        .offset:         0
        .size:           8
        .value_kind:     global_buffer
      - .address_space:  global
        .offset:         8
        .size:           8
        .value_kind:     global_buffer
      - .address_space:  global
        .offset:         16
        .size:           8
        .value_kind:     global_buffer
      - .offset:         24
        .size:           4
        .value_kind:     by_value
      - .offset:         32
        .size:           4
        .value_kind:     hidden_block_count_x
      - .offset:         36
        .size:           4
        .value_kind:     hidden_block_count_y
      - .offset:         40
        .size:           4
        .value_kind:     hidden_block_count_z
      - .offset:         44
        .size:           2
        .value_kind:     hidden_group_size_x
      - .offset:         46
        .size:           2
        .value_kind:     hidden_group_size_y
      - .offset:         48
        .size:           2
        .value_kind:     hidden_group_size_z
      - .offset:         50
        .size:           2
        .value_kind:     hidden_remainder_x
      - .offset:         52
        .size:           2
        .value_kind:     hidden_remainder_y
      - .offset:         54
        .size:           2
        .value_kind:     hidden_remainder_z
      - .offset:         72
        .size:           8
        .value_kind:     hidden_global_offset_x
      - .offset:         80
        .size:           8
        .value_kind:     hidden_global_offset_y
      - .offset:         88
        .size:           8
        .value_kind:     hidden_global_offset_z
      - .offset:         96
        .size:           2
        .value_kind:     hidden_grid_dims
    .group_segment_fixed_size: 240
    .kernarg_segment_align: 8
    .kernarg_segment_size: 288
    .language:       OpenCL C
    .language_version:
      - 2
      - 0
    .max_flat_workgroup_size: 60
    .name:           _Z16warp_scan_kernelIfLj60ELj15EENSt9enable_ifIXsr10test_utilsE35device_test_enabled_for_warp_size_vIXT1_EEEvE4typeEPT_S4_S4_S3_
    .private_segment_fixed_size: 0
    .sgpr_count:     18
    .sgpr_spill_count: 0
    .symbol:         _Z16warp_scan_kernelIfLj60ELj15EENSt9enable_ifIXsr10test_utilsE35device_test_enabled_for_warp_size_vIXT1_EEEvE4typeEPT_S4_S4_S3_.kd
    .uniform_work_group_size: 1
    .uses_dynamic_stack: false
    .vgpr_count:     7
    .vgpr_spill_count: 0
    .wavefront_size: 32
    .workgroup_processor_mode: 1
  - .args:
      - .address_space:  global
        .offset:         0
        .size:           8
        .value_kind:     global_buffer
      - .address_space:  global
        .offset:         8
        .size:           8
        .value_kind:     global_buffer
      - .address_space:  global
        .offset:         16
        .size:           8
        .value_kind:     global_buffer
      - .offset:         24
        .size:           4
        .value_kind:     by_value
      - .offset:         32
        .size:           4
        .value_kind:     hidden_block_count_x
      - .offset:         36
        .size:           4
        .value_kind:     hidden_block_count_y
      - .offset:         40
        .size:           4
        .value_kind:     hidden_block_count_z
      - .offset:         44
        .size:           2
        .value_kind:     hidden_group_size_x
      - .offset:         46
        .size:           2
        .value_kind:     hidden_group_size_y
      - .offset:         48
        .size:           2
        .value_kind:     hidden_group_size_z
      - .offset:         50
        .size:           2
        .value_kind:     hidden_remainder_x
      - .offset:         52
        .size:           2
        .value_kind:     hidden_remainder_y
      - .offset:         54
        .size:           2
        .value_kind:     hidden_remainder_z
      - .offset:         72
        .size:           8
        .value_kind:     hidden_global_offset_x
      - .offset:         80
        .size:           8
        .value_kind:     hidden_global_offset_y
      - .offset:         88
        .size:           8
        .value_kind:     hidden_global_offset_z
      - .offset:         96
        .size:           2
        .value_kind:     hidden_grid_dims
    .group_segment_fixed_size: 112
    .kernarg_segment_align: 8
    .kernarg_segment_size: 288
    .language:       OpenCL C
    .language_version:
      - 2
      - 0
    .max_flat_workgroup_size: 28
    .name:           _Z16warp_scan_kernelIfLj28ELj7EENSt9enable_ifIXsr10test_utilsE35device_test_enabled_for_warp_size_vIXT1_EEEvE4typeEPT_S4_S4_S3_
    .private_segment_fixed_size: 0
    .sgpr_count:     18
    .sgpr_spill_count: 0
    .symbol:         _Z16warp_scan_kernelIfLj28ELj7EENSt9enable_ifIXsr10test_utilsE35device_test_enabled_for_warp_size_vIXT1_EEEvE4typeEPT_S4_S4_S3_.kd
    .uniform_work_group_size: 1
    .uses_dynamic_stack: false
    .vgpr_count:     7
    .vgpr_spill_count: 0
    .wavefront_size: 32
    .workgroup_processor_mode: 1
  - .args:
      - .address_space:  global
        .offset:         0
        .size:           8
        .value_kind:     global_buffer
      - .address_space:  global
        .offset:         8
        .size:           8
        .value_kind:     global_buffer
      - .address_space:  global
        .offset:         16
        .size:           8
        .value_kind:     global_buffer
      - .offset:         24
        .size:           4
        .value_kind:     by_value
      - .offset:         32
        .size:           4
        .value_kind:     hidden_block_count_x
      - .offset:         36
        .size:           4
        .value_kind:     hidden_block_count_y
      - .offset:         40
        .size:           4
        .value_kind:     hidden_block_count_z
      - .offset:         44
        .size:           2
        .value_kind:     hidden_group_size_x
      - .offset:         46
        .size:           2
        .value_kind:     hidden_group_size_y
      - .offset:         48
        .size:           2
        .value_kind:     hidden_group_size_z
      - .offset:         50
        .size:           2
        .value_kind:     hidden_remainder_x
      - .offset:         52
        .size:           2
        .value_kind:     hidden_remainder_y
      - .offset:         54
        .size:           2
        .value_kind:     hidden_remainder_z
      - .offset:         72
        .size:           8
        .value_kind:     hidden_global_offset_x
      - .offset:         80
        .size:           8
        .value_kind:     hidden_global_offset_y
      - .offset:         88
        .size:           8
        .value_kind:     hidden_global_offset_z
      - .offset:         96
        .size:           2
        .value_kind:     hidden_grid_dims
    .group_segment_fixed_size: 252
    .kernarg_segment_align: 8
    .kernarg_segment_size: 288
    .language:       OpenCL C
    .language_version:
      - 2
      - 0
    .max_flat_workgroup_size: 63
    .name:           _Z16warp_scan_kernelIfLj63ELj7EENSt9enable_ifIXsr10test_utilsE35device_test_enabled_for_warp_size_vIXT1_EEEvE4typeEPT_S4_S4_S3_
    .private_segment_fixed_size: 0
    .sgpr_count:     18
    .sgpr_spill_count: 0
    .symbol:         _Z16warp_scan_kernelIfLj63ELj7EENSt9enable_ifIXsr10test_utilsE35device_test_enabled_for_warp_size_vIXT1_EEEvE4typeEPT_S4_S4_S3_.kd
    .uniform_work_group_size: 1
    .uses_dynamic_stack: false
    .vgpr_count:     7
    .vgpr_spill_count: 0
    .wavefront_size: 32
    .workgroup_processor_mode: 1
  - .args:
      - .address_space:  global
        .offset:         0
        .size:           8
        .value_kind:     global_buffer
      - .address_space:  global
        .offset:         8
        .size:           8
        .value_kind:     global_buffer
      - .address_space:  global
        .offset:         16
        .size:           8
        .value_kind:     global_buffer
      - .offset:         24
        .size:           4
        .value_kind:     by_value
      - .offset:         32
        .size:           4
        .value_kind:     hidden_block_count_x
      - .offset:         36
        .size:           4
        .value_kind:     hidden_block_count_y
      - .offset:         40
        .size:           4
        .value_kind:     hidden_block_count_z
      - .offset:         44
        .size:           2
        .value_kind:     hidden_group_size_x
      - .offset:         46
        .size:           2
        .value_kind:     hidden_group_size_y
      - .offset:         48
        .size:           2
        .value_kind:     hidden_group_size_z
      - .offset:         50
        .size:           2
        .value_kind:     hidden_remainder_x
      - .offset:         52
        .size:           2
        .value_kind:     hidden_remainder_y
      - .offset:         54
        .size:           2
        .value_kind:     hidden_remainder_z
      - .offset:         72
        .size:           8
        .value_kind:     hidden_global_offset_x
      - .offset:         80
        .size:           8
        .value_kind:     hidden_global_offset_y
      - .offset:         88
        .size:           8
        .value_kind:     hidden_global_offset_z
      - .offset:         96
        .size:           2
        .value_kind:     hidden_grid_dims
    .group_segment_fixed_size: 120
    .kernarg_segment_align: 8
    .kernarg_segment_size: 288
    .language:       OpenCL C
    .language_version:
      - 2
      - 0
    .max_flat_workgroup_size: 30
    .name:           _Z16warp_scan_kernelIfLj30ELj3EENSt9enable_ifIXsr10test_utilsE35device_test_enabled_for_warp_size_vIXT1_EEEvE4typeEPT_S4_S4_S3_
    .private_segment_fixed_size: 0
    .sgpr_count:     18
    .sgpr_spill_count: 0
    .symbol:         _Z16warp_scan_kernelIfLj30ELj3EENSt9enable_ifIXsr10test_utilsE35device_test_enabled_for_warp_size_vIXT1_EEEvE4typeEPT_S4_S4_S3_.kd
    .uniform_work_group_size: 1
    .uses_dynamic_stack: false
    .vgpr_count:     7
    .vgpr_spill_count: 0
    .wavefront_size: 32
    .workgroup_processor_mode: 1
  - .args:
      - .address_space:  global
        .offset:         0
        .size:           8
        .value_kind:     global_buffer
      - .address_space:  global
        .offset:         8
        .size:           8
        .value_kind:     global_buffer
      - .address_space:  global
        .offset:         16
        .size:           8
        .value_kind:     global_buffer
      - .offset:         24
        .size:           4
        .value_kind:     by_value
      - .offset:         32
        .size:           4
        .value_kind:     hidden_block_count_x
      - .offset:         36
        .size:           4
        .value_kind:     hidden_block_count_y
      - .offset:         40
        .size:           4
        .value_kind:     hidden_block_count_z
      - .offset:         44
        .size:           2
        .value_kind:     hidden_group_size_x
      - .offset:         46
        .size:           2
        .value_kind:     hidden_group_size_y
      - .offset:         48
        .size:           2
        .value_kind:     hidden_group_size_z
      - .offset:         50
        .size:           2
        .value_kind:     hidden_remainder_x
      - .offset:         52
        .size:           2
        .value_kind:     hidden_remainder_y
      - .offset:         54
        .size:           2
        .value_kind:     hidden_remainder_z
      - .offset:         72
        .size:           8
        .value_kind:     hidden_global_offset_x
      - .offset:         80
        .size:           8
        .value_kind:     hidden_global_offset_y
      - .offset:         88
        .size:           8
        .value_kind:     hidden_global_offset_z
      - .offset:         96
        .size:           2
        .value_kind:     hidden_grid_dims
    .group_segment_fixed_size: 252
    .kernarg_segment_align: 8
    .kernarg_segment_size: 288
    .language:       OpenCL C
    .language_version:
      - 2
      - 0
    .max_flat_workgroup_size: 63
    .name:           _Z16warp_scan_kernelIfLj63ELj3EENSt9enable_ifIXsr10test_utilsE35device_test_enabled_for_warp_size_vIXT1_EEEvE4typeEPT_S4_S4_S3_
    .private_segment_fixed_size: 0
    .sgpr_count:     18
    .sgpr_spill_count: 0
    .symbol:         _Z16warp_scan_kernelIfLj63ELj3EENSt9enable_ifIXsr10test_utilsE35device_test_enabled_for_warp_size_vIXT1_EEEvE4typeEPT_S4_S4_S3_.kd
    .uniform_work_group_size: 1
    .uses_dynamic_stack: false
    .vgpr_count:     7
    .vgpr_spill_count: 0
    .wavefront_size: 32
    .workgroup_processor_mode: 1
  - .args:
      - .address_space:  global
        .offset:         0
        .size:           8
        .value_kind:     global_buffer
      - .address_space:  global
        .offset:         8
        .size:           8
        .value_kind:     global_buffer
      - .address_space:  global
        .offset:         16
        .size:           8
        .value_kind:     global_buffer
      - .offset:         24
        .size:           4
        .value_kind:     by_value
    .group_segment_fixed_size: 0
    .kernarg_segment_align: 8
    .kernarg_segment_size: 28
    .language:       OpenCL C
    .language_version:
      - 2
      - 0
    .max_flat_workgroup_size: 1
    .name:           _Z16warp_scan_kernelIiLj1ELj61EENSt9enable_ifIXntsr10test_utilsE35device_test_enabled_for_warp_size_vIXT1_EEEvE4typeEPT_S4_S4_S3_
    .private_segment_fixed_size: 0
    .sgpr_count:     0
    .sgpr_spill_count: 0
    .symbol:         _Z16warp_scan_kernelIiLj1ELj61EENSt9enable_ifIXntsr10test_utilsE35device_test_enabled_for_warp_size_vIXT1_EEEvE4typeEPT_S4_S4_S3_.kd
    .uniform_work_group_size: 1
    .uses_dynamic_stack: false
    .vgpr_count:     0
    .vgpr_spill_count: 0
    .wavefront_size: 32
    .workgroup_processor_mode: 1
  - .args:
      - .address_space:  global
        .offset:         0
        .size:           8
        .value_kind:     global_buffer
      - .address_space:  global
        .offset:         8
        .size:           8
        .value_kind:     global_buffer
      - .address_space:  global
        .offset:         16
        .size:           8
        .value_kind:     global_buffer
      - .offset:         24
        .size:           4
        .value_kind:     by_value
    .group_segment_fixed_size: 0
    .kernarg_segment_align: 8
    .kernarg_segment_size: 28
    .language:       OpenCL C
    .language_version:
      - 2
      - 0
    .max_flat_workgroup_size: 61
    .name:           _Z16warp_scan_kernelIiLj61ELj61EENSt9enable_ifIXntsr10test_utilsE35device_test_enabled_for_warp_size_vIXT1_EEEvE4typeEPT_S4_S4_S3_
    .private_segment_fixed_size: 0
    .sgpr_count:     0
    .sgpr_spill_count: 0
    .symbol:         _Z16warp_scan_kernelIiLj61ELj61EENSt9enable_ifIXntsr10test_utilsE35device_test_enabled_for_warp_size_vIXT1_EEEvE4typeEPT_S4_S4_S3_.kd
    .uniform_work_group_size: 1
    .uses_dynamic_stack: false
    .vgpr_count:     0
    .vgpr_spill_count: 0
    .wavefront_size: 32
    .workgroup_processor_mode: 1
  - .args:
      - .address_space:  global
        .offset:         0
        .size:           8
        .value_kind:     global_buffer
      - .address_space:  global
        .offset:         8
        .size:           8
        .value_kind:     global_buffer
      - .address_space:  global
        .offset:         16
        .size:           8
        .value_kind:     global_buffer
      - .offset:         24
        .size:           4
        .value_kind:     by_value
    .group_segment_fixed_size: 0
    .kernarg_segment_align: 8
    .kernarg_segment_size: 28
    .language:       OpenCL C
    .language_version:
      - 2
      - 0
    .max_flat_workgroup_size: 1
    .name:           _Z16warp_scan_kernelIiLj1ELj37EENSt9enable_ifIXntsr10test_utilsE35device_test_enabled_for_warp_size_vIXT1_EEEvE4typeEPT_S4_S4_S3_
    .private_segment_fixed_size: 0
    .sgpr_count:     0
    .sgpr_spill_count: 0
    .symbol:         _Z16warp_scan_kernelIiLj1ELj37EENSt9enable_ifIXntsr10test_utilsE35device_test_enabled_for_warp_size_vIXT1_EEEvE4typeEPT_S4_S4_S3_.kd
    .uniform_work_group_size: 1
    .uses_dynamic_stack: false
    .vgpr_count:     0
    .vgpr_spill_count: 0
    .wavefront_size: 32
    .workgroup_processor_mode: 1
  - .args:
      - .address_space:  global
        .offset:         0
        .size:           8
        .value_kind:     global_buffer
      - .address_space:  global
        .offset:         8
        .size:           8
        .value_kind:     global_buffer
      - .address_space:  global
        .offset:         16
        .size:           8
        .value_kind:     global_buffer
      - .offset:         24
        .size:           4
        .value_kind:     by_value
    .group_segment_fixed_size: 0
    .kernarg_segment_align: 8
    .kernarg_segment_size: 28
    .language:       OpenCL C
    .language_version:
      - 2
      - 0
    .max_flat_workgroup_size: 37
    .name:           _Z16warp_scan_kernelIiLj37ELj37EENSt9enable_ifIXntsr10test_utilsE35device_test_enabled_for_warp_size_vIXT1_EEEvE4typeEPT_S4_S4_S3_
    .private_segment_fixed_size: 0
    .sgpr_count:     0
    .sgpr_spill_count: 0
    .symbol:         _Z16warp_scan_kernelIiLj37ELj37EENSt9enable_ifIXntsr10test_utilsE35device_test_enabled_for_warp_size_vIXT1_EEEvE4typeEPT_S4_S4_S3_.kd
    .uniform_work_group_size: 1
    .uses_dynamic_stack: false
    .vgpr_count:     0
    .vgpr_spill_count: 0
    .wavefront_size: 32
    .workgroup_processor_mode: 1
  - .args:
      - .address_space:  global
        .offset:         0
        .size:           8
        .value_kind:     global_buffer
      - .address_space:  global
        .offset:         8
        .size:           8
        .value_kind:     global_buffer
      - .address_space:  global
        .offset:         16
        .size:           8
        .value_kind:     global_buffer
      - .offset:         24
        .size:           4
        .value_kind:     by_value
      - .offset:         32
        .size:           4
        .value_kind:     hidden_block_count_x
      - .offset:         36
        .size:           4
        .value_kind:     hidden_block_count_y
      - .offset:         40
        .size:           4
        .value_kind:     hidden_block_count_z
      - .offset:         44
        .size:           2
        .value_kind:     hidden_group_size_x
      - .offset:         46
        .size:           2
        .value_kind:     hidden_group_size_y
      - .offset:         48
        .size:           2
        .value_kind:     hidden_group_size_z
      - .offset:         50
        .size:           2
        .value_kind:     hidden_remainder_x
      - .offset:         52
        .size:           2
        .value_kind:     hidden_remainder_y
      - .offset:         54
        .size:           2
        .value_kind:     hidden_remainder_z
      - .offset:         72
        .size:           8
        .value_kind:     hidden_global_offset_x
      - .offset:         80
        .size:           8
        .value_kind:     hidden_global_offset_y
      - .offset:         88
        .size:           8
        .value_kind:     hidden_global_offset_z
      - .offset:         96
        .size:           2
        .value_kind:     hidden_grid_dims
    .group_segment_fixed_size: 120
    .kernarg_segment_align: 8
    .kernarg_segment_size: 288
    .language:       OpenCL C
    .language_version:
      - 2
      - 0
    .max_flat_workgroup_size: 30
    .name:           _Z16warp_scan_kernelIiLj30ELj15EENSt9enable_ifIXsr10test_utilsE35device_test_enabled_for_warp_size_vIXT1_EEEvE4typeEPT_S4_S4_S3_
    .private_segment_fixed_size: 0
    .sgpr_count:     18
    .sgpr_spill_count: 0
    .symbol:         _Z16warp_scan_kernelIiLj30ELj15EENSt9enable_ifIXsr10test_utilsE35device_test_enabled_for_warp_size_vIXT1_EEEvE4typeEPT_S4_S4_S3_.kd
    .uniform_work_group_size: 1
    .uses_dynamic_stack: false
    .vgpr_count:     7
    .vgpr_spill_count: 0
    .wavefront_size: 32
    .workgroup_processor_mode: 1
  - .args:
      - .address_space:  global
        .offset:         0
        .size:           8
        .value_kind:     global_buffer
      - .address_space:  global
        .offset:         8
        .size:           8
        .value_kind:     global_buffer
      - .address_space:  global
        .offset:         16
        .size:           8
        .value_kind:     global_buffer
      - .offset:         24
        .size:           4
        .value_kind:     by_value
      - .offset:         32
        .size:           4
        .value_kind:     hidden_block_count_x
      - .offset:         36
        .size:           4
        .value_kind:     hidden_block_count_y
      - .offset:         40
        .size:           4
        .value_kind:     hidden_block_count_z
      - .offset:         44
        .size:           2
        .value_kind:     hidden_group_size_x
      - .offset:         46
        .size:           2
        .value_kind:     hidden_group_size_y
      - .offset:         48
        .size:           2
        .value_kind:     hidden_group_size_z
      - .offset:         50
        .size:           2
        .value_kind:     hidden_remainder_x
      - .offset:         52
        .size:           2
        .value_kind:     hidden_remainder_y
      - .offset:         54
        .size:           2
        .value_kind:     hidden_remainder_z
      - .offset:         72
        .size:           8
        .value_kind:     hidden_global_offset_x
      - .offset:         80
        .size:           8
        .value_kind:     hidden_global_offset_y
      - .offset:         88
        .size:           8
        .value_kind:     hidden_global_offset_z
      - .offset:         96
        .size:           2
        .value_kind:     hidden_grid_dims
    .group_segment_fixed_size: 240
    .kernarg_segment_align: 8
    .kernarg_segment_size: 288
    .language:       OpenCL C
    .language_version:
      - 2
      - 0
    .max_flat_workgroup_size: 60
    .name:           _Z16warp_scan_kernelIiLj60ELj15EENSt9enable_ifIXsr10test_utilsE35device_test_enabled_for_warp_size_vIXT1_EEEvE4typeEPT_S4_S4_S3_
    .private_segment_fixed_size: 0
    .sgpr_count:     18
    .sgpr_spill_count: 0
    .symbol:         _Z16warp_scan_kernelIiLj60ELj15EENSt9enable_ifIXsr10test_utilsE35device_test_enabled_for_warp_size_vIXT1_EEEvE4typeEPT_S4_S4_S3_.kd
    .uniform_work_group_size: 1
    .uses_dynamic_stack: false
    .vgpr_count:     7
    .vgpr_spill_count: 0
    .wavefront_size: 32
    .workgroup_processor_mode: 1
  - .args:
      - .address_space:  global
        .offset:         0
        .size:           8
        .value_kind:     global_buffer
      - .address_space:  global
        .offset:         8
        .size:           8
        .value_kind:     global_buffer
      - .address_space:  global
        .offset:         16
        .size:           8
        .value_kind:     global_buffer
      - .offset:         24
        .size:           4
        .value_kind:     by_value
      - .offset:         32
        .size:           4
        .value_kind:     hidden_block_count_x
      - .offset:         36
        .size:           4
        .value_kind:     hidden_block_count_y
      - .offset:         40
        .size:           4
        .value_kind:     hidden_block_count_z
      - .offset:         44
        .size:           2
        .value_kind:     hidden_group_size_x
      - .offset:         46
        .size:           2
        .value_kind:     hidden_group_size_y
      - .offset:         48
        .size:           2
        .value_kind:     hidden_group_size_z
      - .offset:         50
        .size:           2
        .value_kind:     hidden_remainder_x
      - .offset:         52
        .size:           2
        .value_kind:     hidden_remainder_y
      - .offset:         54
        .size:           2
        .value_kind:     hidden_remainder_z
      - .offset:         72
        .size:           8
        .value_kind:     hidden_global_offset_x
      - .offset:         80
        .size:           8
        .value_kind:     hidden_global_offset_y
      - .offset:         88
        .size:           8
        .value_kind:     hidden_global_offset_z
      - .offset:         96
        .size:           2
        .value_kind:     hidden_grid_dims
    .group_segment_fixed_size: 112
    .kernarg_segment_align: 8
    .kernarg_segment_size: 288
    .language:       OpenCL C
    .language_version:
      - 2
      - 0
    .max_flat_workgroup_size: 28
    .name:           _Z16warp_scan_kernelIiLj28ELj7EENSt9enable_ifIXsr10test_utilsE35device_test_enabled_for_warp_size_vIXT1_EEEvE4typeEPT_S4_S4_S3_
    .private_segment_fixed_size: 0
    .sgpr_count:     18
    .sgpr_spill_count: 0
    .symbol:         _Z16warp_scan_kernelIiLj28ELj7EENSt9enable_ifIXsr10test_utilsE35device_test_enabled_for_warp_size_vIXT1_EEEvE4typeEPT_S4_S4_S3_.kd
    .uniform_work_group_size: 1
    .uses_dynamic_stack: false
    .vgpr_count:     7
    .vgpr_spill_count: 0
    .wavefront_size: 32
    .workgroup_processor_mode: 1
  - .args:
      - .address_space:  global
        .offset:         0
        .size:           8
        .value_kind:     global_buffer
      - .address_space:  global
        .offset:         8
        .size:           8
        .value_kind:     global_buffer
      - .address_space:  global
        .offset:         16
        .size:           8
        .value_kind:     global_buffer
      - .offset:         24
        .size:           4
        .value_kind:     by_value
      - .offset:         32
        .size:           4
        .value_kind:     hidden_block_count_x
      - .offset:         36
        .size:           4
        .value_kind:     hidden_block_count_y
      - .offset:         40
        .size:           4
        .value_kind:     hidden_block_count_z
      - .offset:         44
        .size:           2
        .value_kind:     hidden_group_size_x
      - .offset:         46
        .size:           2
        .value_kind:     hidden_group_size_y
      - .offset:         48
        .size:           2
        .value_kind:     hidden_group_size_z
      - .offset:         50
        .size:           2
        .value_kind:     hidden_remainder_x
      - .offset:         52
        .size:           2
        .value_kind:     hidden_remainder_y
      - .offset:         54
        .size:           2
        .value_kind:     hidden_remainder_z
      - .offset:         72
        .size:           8
        .value_kind:     hidden_global_offset_x
      - .offset:         80
        .size:           8
        .value_kind:     hidden_global_offset_y
      - .offset:         88
        .size:           8
        .value_kind:     hidden_global_offset_z
      - .offset:         96
        .size:           2
        .value_kind:     hidden_grid_dims
    .group_segment_fixed_size: 252
    .kernarg_segment_align: 8
    .kernarg_segment_size: 288
    .language:       OpenCL C
    .language_version:
      - 2
      - 0
    .max_flat_workgroup_size: 63
    .name:           _Z16warp_scan_kernelIiLj63ELj7EENSt9enable_ifIXsr10test_utilsE35device_test_enabled_for_warp_size_vIXT1_EEEvE4typeEPT_S4_S4_S3_
    .private_segment_fixed_size: 0
    .sgpr_count:     18
    .sgpr_spill_count: 0
    .symbol:         _Z16warp_scan_kernelIiLj63ELj7EENSt9enable_ifIXsr10test_utilsE35device_test_enabled_for_warp_size_vIXT1_EEEvE4typeEPT_S4_S4_S3_.kd
    .uniform_work_group_size: 1
    .uses_dynamic_stack: false
    .vgpr_count:     7
    .vgpr_spill_count: 0
    .wavefront_size: 32
    .workgroup_processor_mode: 1
  - .args:
      - .address_space:  global
        .offset:         0
        .size:           8
        .value_kind:     global_buffer
      - .address_space:  global
        .offset:         8
        .size:           8
        .value_kind:     global_buffer
      - .address_space:  global
        .offset:         16
        .size:           8
        .value_kind:     global_buffer
      - .offset:         24
        .size:           4
        .value_kind:     by_value
      - .offset:         32
        .size:           4
        .value_kind:     hidden_block_count_x
      - .offset:         36
        .size:           4
        .value_kind:     hidden_block_count_y
      - .offset:         40
        .size:           4
        .value_kind:     hidden_block_count_z
      - .offset:         44
        .size:           2
        .value_kind:     hidden_group_size_x
      - .offset:         46
        .size:           2
        .value_kind:     hidden_group_size_y
      - .offset:         48
        .size:           2
        .value_kind:     hidden_group_size_z
      - .offset:         50
        .size:           2
        .value_kind:     hidden_remainder_x
      - .offset:         52
        .size:           2
        .value_kind:     hidden_remainder_y
      - .offset:         54
        .size:           2
        .value_kind:     hidden_remainder_z
      - .offset:         72
        .size:           8
        .value_kind:     hidden_global_offset_x
      - .offset:         80
        .size:           8
        .value_kind:     hidden_global_offset_y
      - .offset:         88
        .size:           8
        .value_kind:     hidden_global_offset_z
      - .offset:         96
        .size:           2
        .value_kind:     hidden_grid_dims
    .group_segment_fixed_size: 120
    .kernarg_segment_align: 8
    .kernarg_segment_size: 288
    .language:       OpenCL C
    .language_version:
      - 2
      - 0
    .max_flat_workgroup_size: 30
    .name:           _Z16warp_scan_kernelIiLj30ELj3EENSt9enable_ifIXsr10test_utilsE35device_test_enabled_for_warp_size_vIXT1_EEEvE4typeEPT_S4_S4_S3_
    .private_segment_fixed_size: 0
    .sgpr_count:     18
    .sgpr_spill_count: 0
    .symbol:         _Z16warp_scan_kernelIiLj30ELj3EENSt9enable_ifIXsr10test_utilsE35device_test_enabled_for_warp_size_vIXT1_EEEvE4typeEPT_S4_S4_S3_.kd
    .uniform_work_group_size: 1
    .uses_dynamic_stack: false
    .vgpr_count:     7
    .vgpr_spill_count: 0
    .wavefront_size: 32
    .workgroup_processor_mode: 1
  - .args:
      - .address_space:  global
        .offset:         0
        .size:           8
        .value_kind:     global_buffer
      - .address_space:  global
        .offset:         8
        .size:           8
        .value_kind:     global_buffer
      - .address_space:  global
        .offset:         16
        .size:           8
        .value_kind:     global_buffer
      - .offset:         24
        .size:           4
        .value_kind:     by_value
      - .offset:         32
        .size:           4
        .value_kind:     hidden_block_count_x
      - .offset:         36
        .size:           4
        .value_kind:     hidden_block_count_y
      - .offset:         40
        .size:           4
        .value_kind:     hidden_block_count_z
      - .offset:         44
        .size:           2
        .value_kind:     hidden_group_size_x
      - .offset:         46
        .size:           2
        .value_kind:     hidden_group_size_y
      - .offset:         48
        .size:           2
        .value_kind:     hidden_group_size_z
      - .offset:         50
        .size:           2
        .value_kind:     hidden_remainder_x
      - .offset:         52
        .size:           2
        .value_kind:     hidden_remainder_y
      - .offset:         54
        .size:           2
        .value_kind:     hidden_remainder_z
      - .offset:         72
        .size:           8
        .value_kind:     hidden_global_offset_x
      - .offset:         80
        .size:           8
        .value_kind:     hidden_global_offset_y
      - .offset:         88
        .size:           8
        .value_kind:     hidden_global_offset_z
      - .offset:         96
        .size:           2
        .value_kind:     hidden_grid_dims
    .group_segment_fixed_size: 252
    .kernarg_segment_align: 8
    .kernarg_segment_size: 288
    .language:       OpenCL C
    .language_version:
      - 2
      - 0
    .max_flat_workgroup_size: 63
    .name:           _Z16warp_scan_kernelIiLj63ELj3EENSt9enable_ifIXsr10test_utilsE35device_test_enabled_for_warp_size_vIXT1_EEEvE4typeEPT_S4_S4_S3_
    .private_segment_fixed_size: 0
    .sgpr_count:     18
    .sgpr_spill_count: 0
    .symbol:         _Z16warp_scan_kernelIiLj63ELj3EENSt9enable_ifIXsr10test_utilsE35device_test_enabled_for_warp_size_vIXT1_EEEvE4typeEPT_S4_S4_S3_.kd
    .uniform_work_group_size: 1
    .uses_dynamic_stack: false
    .vgpr_count:     7
    .vgpr_spill_count: 0
    .wavefront_size: 32
    .workgroup_processor_mode: 1
  - .args:
      - .address_space:  global
        .offset:         0
        .size:           8
        .value_kind:     global_buffer
      - .address_space:  global
        .offset:         8
        .size:           8
        .value_kind:     global_buffer
      - .address_space:  global
        .offset:         16
        .size:           8
        .value_kind:     global_buffer
      - .offset:         24
        .size:           2
        .value_kind:     by_value
    .group_segment_fixed_size: 0
    .kernarg_segment_align: 8
    .kernarg_segment_size: 28
    .language:       OpenCL C
    .language_version:
      - 2
      - 0
    .max_flat_workgroup_size: 256
    .name:           _Z16warp_scan_kernelI12hip_bfloat16Lj256ELj64EENSt9enable_ifIXntsr10test_utilsE35device_test_enabled_for_warp_size_vIXT1_EEEvE4typeEPT_S5_S5_S4_
    .private_segment_fixed_size: 0
    .sgpr_count:     0
    .sgpr_spill_count: 0
    .symbol:         _Z16warp_scan_kernelI12hip_bfloat16Lj256ELj64EENSt9enable_ifIXntsr10test_utilsE35device_test_enabled_for_warp_size_vIXT1_EEEvE4typeEPT_S5_S5_S4_.kd
    .uniform_work_group_size: 1
    .uses_dynamic_stack: false
    .vgpr_count:     0
    .vgpr_spill_count: 0
    .wavefront_size: 32
    .workgroup_processor_mode: 1
  - .args:
      - .address_space:  global
        .offset:         0
        .size:           8
        .value_kind:     global_buffer
      - .address_space:  global
        .offset:         8
        .size:           8
        .value_kind:     global_buffer
      - .address_space:  global
        .offset:         16
        .size:           8
        .value_kind:     global_buffer
      - .offset:         24
        .size:           2
        .value_kind:     by_value
      - .offset:         32
        .size:           4
        .value_kind:     hidden_block_count_x
      - .offset:         36
        .size:           4
        .value_kind:     hidden_block_count_y
      - .offset:         40
        .size:           4
        .value_kind:     hidden_block_count_z
      - .offset:         44
        .size:           2
        .value_kind:     hidden_group_size_x
      - .offset:         46
        .size:           2
        .value_kind:     hidden_group_size_y
      - .offset:         48
        .size:           2
        .value_kind:     hidden_group_size_z
      - .offset:         50
        .size:           2
        .value_kind:     hidden_remainder_x
      - .offset:         52
        .size:           2
        .value_kind:     hidden_remainder_y
      - .offset:         54
        .size:           2
        .value_kind:     hidden_remainder_z
      - .offset:         72
        .size:           8
        .value_kind:     hidden_global_offset_x
      - .offset:         80
        .size:           8
        .value_kind:     hidden_global_offset_y
      - .offset:         88
        .size:           8
        .value_kind:     hidden_global_offset_z
      - .offset:         96
        .size:           2
        .value_kind:     hidden_grid_dims
    .group_segment_fixed_size: 0
    .kernarg_segment_align: 8
    .kernarg_segment_size: 288
    .language:       OpenCL C
    .language_version:
      - 2
      - 0
    .max_flat_workgroup_size: 128
    .name:           _Z16warp_scan_kernelI12hip_bfloat16Lj128ELj32EENSt9enable_ifIXsr10test_utilsE35device_test_enabled_for_warp_size_vIXT1_EEEvE4typeEPT_S5_S5_S4_
    .private_segment_fixed_size: 0
    .sgpr_count:     18
    .sgpr_spill_count: 0
    .symbol:         _Z16warp_scan_kernelI12hip_bfloat16Lj128ELj32EENSt9enable_ifIXsr10test_utilsE35device_test_enabled_for_warp_size_vIXT1_EEEvE4typeEPT_S5_S5_S4_.kd
    .uniform_work_group_size: 1
    .uses_dynamic_stack: false
    .vgpr_count:     9
    .vgpr_spill_count: 0
    .wavefront_size: 32
    .workgroup_processor_mode: 1
  - .args:
      - .address_space:  global
        .offset:         0
        .size:           8
        .value_kind:     global_buffer
      - .address_space:  global
        .offset:         8
        .size:           8
        .value_kind:     global_buffer
      - .address_space:  global
        .offset:         16
        .size:           8
        .value_kind:     global_buffer
      - .offset:         24
        .size:           2
        .value_kind:     by_value
      - .offset:         32
        .size:           4
        .value_kind:     hidden_block_count_x
      - .offset:         36
        .size:           4
        .value_kind:     hidden_block_count_y
      - .offset:         40
        .size:           4
        .value_kind:     hidden_block_count_z
      - .offset:         44
        .size:           2
        .value_kind:     hidden_group_size_x
      - .offset:         46
        .size:           2
        .value_kind:     hidden_group_size_y
      - .offset:         48
        .size:           2
        .value_kind:     hidden_group_size_z
      - .offset:         50
        .size:           2
        .value_kind:     hidden_remainder_x
      - .offset:         52
        .size:           2
        .value_kind:     hidden_remainder_y
      - .offset:         54
        .size:           2
        .value_kind:     hidden_remainder_z
      - .offset:         72
        .size:           8
        .value_kind:     hidden_global_offset_x
      - .offset:         80
        .size:           8
        .value_kind:     hidden_global_offset_y
      - .offset:         88
        .size:           8
        .value_kind:     hidden_global_offset_z
      - .offset:         96
        .size:           2
        .value_kind:     hidden_grid_dims
    .group_segment_fixed_size: 0
    .kernarg_segment_align: 8
    .kernarg_segment_size: 288
    .language:       OpenCL C
    .language_version:
      - 2
      - 0
    .max_flat_workgroup_size: 64
    .name:           _Z16warp_scan_kernelI12hip_bfloat16Lj64ELj16EENSt9enable_ifIXsr10test_utilsE35device_test_enabled_for_warp_size_vIXT1_EEEvE4typeEPT_S5_S5_S4_
    .private_segment_fixed_size: 0
    .sgpr_count:     18
    .sgpr_spill_count: 0
    .symbol:         _Z16warp_scan_kernelI12hip_bfloat16Lj64ELj16EENSt9enable_ifIXsr10test_utilsE35device_test_enabled_for_warp_size_vIXT1_EEEvE4typeEPT_S5_S5_S4_.kd
    .uniform_work_group_size: 1
    .uses_dynamic_stack: false
    .vgpr_count:     10
    .vgpr_spill_count: 0
    .wavefront_size: 32
    .workgroup_processor_mode: 1
  - .args:
      - .address_space:  global
        .offset:         0
        .size:           8
        .value_kind:     global_buffer
      - .address_space:  global
        .offset:         8
        .size:           8
        .value_kind:     global_buffer
      - .address_space:  global
        .offset:         16
        .size:           8
        .value_kind:     global_buffer
      - .offset:         24
        .size:           2
        .value_kind:     by_value
      - .offset:         32
        .size:           4
        .value_kind:     hidden_block_count_x
      - .offset:         36
        .size:           4
        .value_kind:     hidden_block_count_y
      - .offset:         40
        .size:           4
        .value_kind:     hidden_block_count_z
      - .offset:         44
        .size:           2
        .value_kind:     hidden_group_size_x
      - .offset:         46
        .size:           2
        .value_kind:     hidden_group_size_y
      - .offset:         48
        .size:           2
        .value_kind:     hidden_group_size_z
      - .offset:         50
        .size:           2
        .value_kind:     hidden_remainder_x
      - .offset:         52
        .size:           2
        .value_kind:     hidden_remainder_y
      - .offset:         54
        .size:           2
        .value_kind:     hidden_remainder_z
      - .offset:         72
        .size:           8
        .value_kind:     hidden_global_offset_x
      - .offset:         80
        .size:           8
        .value_kind:     hidden_global_offset_y
      - .offset:         88
        .size:           8
        .value_kind:     hidden_global_offset_z
      - .offset:         96
        .size:           2
        .value_kind:     hidden_grid_dims
    .group_segment_fixed_size: 0
    .kernarg_segment_align: 8
    .kernarg_segment_size: 288
    .language:       OpenCL C
    .language_version:
      - 2
      - 0
    .max_flat_workgroup_size: 32
    .name:           _Z16warp_scan_kernelI12hip_bfloat16Lj32ELj8EENSt9enable_ifIXsr10test_utilsE35device_test_enabled_for_warp_size_vIXT1_EEEvE4typeEPT_S5_S5_S4_
    .private_segment_fixed_size: 0
    .sgpr_count:     18
    .sgpr_spill_count: 0
    .symbol:         _Z16warp_scan_kernelI12hip_bfloat16Lj32ELj8EENSt9enable_ifIXsr10test_utilsE35device_test_enabled_for_warp_size_vIXT1_EEEvE4typeEPT_S5_S5_S4_.kd
    .uniform_work_group_size: 1
    .uses_dynamic_stack: false
    .vgpr_count:     10
    .vgpr_spill_count: 0
    .wavefront_size: 32
    .workgroup_processor_mode: 1
  - .args:
      - .address_space:  global
        .offset:         0
        .size:           8
        .value_kind:     global_buffer
      - .address_space:  global
        .offset:         8
        .size:           8
        .value_kind:     global_buffer
      - .address_space:  global
        .offset:         16
        .size:           8
        .value_kind:     global_buffer
      - .offset:         24
        .size:           2
        .value_kind:     by_value
      - .offset:         32
        .size:           4
        .value_kind:     hidden_block_count_x
      - .offset:         36
        .size:           4
        .value_kind:     hidden_block_count_y
      - .offset:         40
        .size:           4
        .value_kind:     hidden_block_count_z
      - .offset:         44
        .size:           2
        .value_kind:     hidden_group_size_x
      - .offset:         46
        .size:           2
        .value_kind:     hidden_group_size_y
      - .offset:         48
        .size:           2
        .value_kind:     hidden_group_size_z
      - .offset:         50
        .size:           2
        .value_kind:     hidden_remainder_x
      - .offset:         52
        .size:           2
        .value_kind:     hidden_remainder_y
      - .offset:         54
        .size:           2
        .value_kind:     hidden_remainder_z
      - .offset:         72
        .size:           8
        .value_kind:     hidden_global_offset_x
      - .offset:         80
        .size:           8
        .value_kind:     hidden_global_offset_y
      - .offset:         88
        .size:           8
        .value_kind:     hidden_global_offset_z
      - .offset:         96
        .size:           2
        .value_kind:     hidden_grid_dims
    .group_segment_fixed_size: 0
    .kernarg_segment_align: 8
    .kernarg_segment_size: 288
    .language:       OpenCL C
    .language_version:
      - 2
      - 0
    .max_flat_workgroup_size: 64
    .name:           _Z16warp_scan_kernelI12hip_bfloat16Lj64ELj8EENSt9enable_ifIXsr10test_utilsE35device_test_enabled_for_warp_size_vIXT1_EEEvE4typeEPT_S5_S5_S4_
    .private_segment_fixed_size: 0
    .sgpr_count:     18
    .sgpr_spill_count: 0
    .symbol:         _Z16warp_scan_kernelI12hip_bfloat16Lj64ELj8EENSt9enable_ifIXsr10test_utilsE35device_test_enabled_for_warp_size_vIXT1_EEEvE4typeEPT_S5_S5_S4_.kd
    .uniform_work_group_size: 1
    .uses_dynamic_stack: false
    .vgpr_count:     10
    .vgpr_spill_count: 0
    .wavefront_size: 32
    .workgroup_processor_mode: 1
  - .args:
      - .address_space:  global
        .offset:         0
        .size:           8
        .value_kind:     global_buffer
      - .address_space:  global
        .offset:         8
        .size:           8
        .value_kind:     global_buffer
      - .address_space:  global
        .offset:         16
        .size:           8
        .value_kind:     global_buffer
      - .offset:         24
        .size:           2
        .value_kind:     by_value
      - .offset:         32
        .size:           4
        .value_kind:     hidden_block_count_x
      - .offset:         36
        .size:           4
        .value_kind:     hidden_block_count_y
      - .offset:         40
        .size:           4
        .value_kind:     hidden_block_count_z
      - .offset:         44
        .size:           2
        .value_kind:     hidden_group_size_x
      - .offset:         46
        .size:           2
        .value_kind:     hidden_group_size_y
      - .offset:         48
        .size:           2
        .value_kind:     hidden_group_size_z
      - .offset:         50
        .size:           2
        .value_kind:     hidden_remainder_x
      - .offset:         52
        .size:           2
        .value_kind:     hidden_remainder_y
      - .offset:         54
        .size:           2
        .value_kind:     hidden_remainder_z
      - .offset:         72
        .size:           8
        .value_kind:     hidden_global_offset_x
      - .offset:         80
        .size:           8
        .value_kind:     hidden_global_offset_y
      - .offset:         88
        .size:           8
        .value_kind:     hidden_global_offset_z
      - .offset:         96
        .size:           2
        .value_kind:     hidden_grid_dims
    .group_segment_fixed_size: 0
    .kernarg_segment_align: 8
    .kernarg_segment_size: 288
    .language:       OpenCL C
    .language_version:
      - 2
      - 0
    .max_flat_workgroup_size: 32
    .name:           _Z16warp_scan_kernelI12hip_bfloat16Lj32ELj4EENSt9enable_ifIXsr10test_utilsE35device_test_enabled_for_warp_size_vIXT1_EEEvE4typeEPT_S5_S5_S4_
    .private_segment_fixed_size: 0
    .sgpr_count:     18
    .sgpr_spill_count: 0
    .symbol:         _Z16warp_scan_kernelI12hip_bfloat16Lj32ELj4EENSt9enable_ifIXsr10test_utilsE35device_test_enabled_for_warp_size_vIXT1_EEEvE4typeEPT_S5_S5_S4_.kd
    .uniform_work_group_size: 1
    .uses_dynamic_stack: false
    .vgpr_count:     10
    .vgpr_spill_count: 0
    .wavefront_size: 32
    .workgroup_processor_mode: 1
  - .args:
      - .address_space:  global
        .offset:         0
        .size:           8
        .value_kind:     global_buffer
      - .address_space:  global
        .offset:         8
        .size:           8
        .value_kind:     global_buffer
      - .address_space:  global
        .offset:         16
        .size:           8
        .value_kind:     global_buffer
      - .offset:         24
        .size:           2
        .value_kind:     by_value
      - .offset:         32
        .size:           4
        .value_kind:     hidden_block_count_x
      - .offset:         36
        .size:           4
        .value_kind:     hidden_block_count_y
      - .offset:         40
        .size:           4
        .value_kind:     hidden_block_count_z
      - .offset:         44
        .size:           2
        .value_kind:     hidden_group_size_x
      - .offset:         46
        .size:           2
        .value_kind:     hidden_group_size_y
      - .offset:         48
        .size:           2
        .value_kind:     hidden_group_size_z
      - .offset:         50
        .size:           2
        .value_kind:     hidden_remainder_x
      - .offset:         52
        .size:           2
        .value_kind:     hidden_remainder_y
      - .offset:         54
        .size:           2
        .value_kind:     hidden_remainder_z
      - .offset:         72
        .size:           8
        .value_kind:     hidden_global_offset_x
      - .offset:         80
        .size:           8
        .value_kind:     hidden_global_offset_y
      - .offset:         88
        .size:           8
        .value_kind:     hidden_global_offset_z
      - .offset:         96
        .size:           2
        .value_kind:     hidden_grid_dims
    .group_segment_fixed_size: 0
    .kernarg_segment_align: 8
    .kernarg_segment_size: 288
    .language:       OpenCL C
    .language_version:
      - 2
      - 0
    .max_flat_workgroup_size: 64
    .name:           _Z16warp_scan_kernelI12hip_bfloat16Lj64ELj4EENSt9enable_ifIXsr10test_utilsE35device_test_enabled_for_warp_size_vIXT1_EEEvE4typeEPT_S5_S5_S4_
    .private_segment_fixed_size: 0
    .sgpr_count:     18
    .sgpr_spill_count: 0
    .symbol:         _Z16warp_scan_kernelI12hip_bfloat16Lj64ELj4EENSt9enable_ifIXsr10test_utilsE35device_test_enabled_for_warp_size_vIXT1_EEEvE4typeEPT_S5_S5_S4_.kd
    .uniform_work_group_size: 1
    .uses_dynamic_stack: false
    .vgpr_count:     10
    .vgpr_spill_count: 0
    .wavefront_size: 32
    .workgroup_processor_mode: 1
  - .args:
      - .address_space:  global
        .offset:         0
        .size:           8
        .value_kind:     global_buffer
      - .address_space:  global
        .offset:         8
        .size:           8
        .value_kind:     global_buffer
      - .address_space:  global
        .offset:         16
        .size:           8
        .value_kind:     global_buffer
      - .offset:         24
        .size:           2
        .value_kind:     by_value
      - .offset:         32
        .size:           4
        .value_kind:     hidden_block_count_x
      - .offset:         36
        .size:           4
        .value_kind:     hidden_block_count_y
      - .offset:         40
        .size:           4
        .value_kind:     hidden_block_count_z
      - .offset:         44
        .size:           2
        .value_kind:     hidden_group_size_x
      - .offset:         46
        .size:           2
        .value_kind:     hidden_group_size_y
      - .offset:         48
        .size:           2
        .value_kind:     hidden_group_size_z
      - .offset:         50
        .size:           2
        .value_kind:     hidden_remainder_x
      - .offset:         52
        .size:           2
        .value_kind:     hidden_remainder_y
      - .offset:         54
        .size:           2
        .value_kind:     hidden_remainder_z
      - .offset:         72
        .size:           8
        .value_kind:     hidden_global_offset_x
      - .offset:         80
        .size:           8
        .value_kind:     hidden_global_offset_y
      - .offset:         88
        .size:           8
        .value_kind:     hidden_global_offset_z
      - .offset:         96
        .size:           2
        .value_kind:     hidden_grid_dims
    .group_segment_fixed_size: 0
    .kernarg_segment_align: 8
    .kernarg_segment_size: 288
    .language:       OpenCL C
    .language_version:
      - 2
      - 0
    .max_flat_workgroup_size: 32
    .name:           _Z16warp_scan_kernelI12hip_bfloat16Lj32ELj2EENSt9enable_ifIXsr10test_utilsE35device_test_enabled_for_warp_size_vIXT1_EEEvE4typeEPT_S5_S5_S4_
    .private_segment_fixed_size: 0
    .sgpr_count:     18
    .sgpr_spill_count: 0
    .symbol:         _Z16warp_scan_kernelI12hip_bfloat16Lj32ELj2EENSt9enable_ifIXsr10test_utilsE35device_test_enabled_for_warp_size_vIXT1_EEEvE4typeEPT_S5_S5_S4_.kd
    .uniform_work_group_size: 1
    .uses_dynamic_stack: false
    .vgpr_count:     8
    .vgpr_spill_count: 0
    .wavefront_size: 32
    .workgroup_processor_mode: 1
  - .args:
      - .address_space:  global
        .offset:         0
        .size:           8
        .value_kind:     global_buffer
      - .address_space:  global
        .offset:         8
        .size:           8
        .value_kind:     global_buffer
      - .address_space:  global
        .offset:         16
        .size:           8
        .value_kind:     global_buffer
      - .offset:         24
        .size:           2
        .value_kind:     by_value
      - .offset:         32
        .size:           4
        .value_kind:     hidden_block_count_x
      - .offset:         36
        .size:           4
        .value_kind:     hidden_block_count_y
      - .offset:         40
        .size:           4
        .value_kind:     hidden_block_count_z
      - .offset:         44
        .size:           2
        .value_kind:     hidden_group_size_x
      - .offset:         46
        .size:           2
        .value_kind:     hidden_group_size_y
      - .offset:         48
        .size:           2
        .value_kind:     hidden_group_size_z
      - .offset:         50
        .size:           2
        .value_kind:     hidden_remainder_x
      - .offset:         52
        .size:           2
        .value_kind:     hidden_remainder_y
      - .offset:         54
        .size:           2
        .value_kind:     hidden_remainder_z
      - .offset:         72
        .size:           8
        .value_kind:     hidden_global_offset_x
      - .offset:         80
        .size:           8
        .value_kind:     hidden_global_offset_y
      - .offset:         88
        .size:           8
        .value_kind:     hidden_global_offset_z
      - .offset:         96
        .size:           2
        .value_kind:     hidden_grid_dims
    .group_segment_fixed_size: 0
    .kernarg_segment_align: 8
    .kernarg_segment_size: 288
    .language:       OpenCL C
    .language_version:
      - 2
      - 0
    .max_flat_workgroup_size: 64
    .name:           _Z16warp_scan_kernelI12hip_bfloat16Lj64ELj2EENSt9enable_ifIXsr10test_utilsE35device_test_enabled_for_warp_size_vIXT1_EEEvE4typeEPT_S5_S5_S4_
    .private_segment_fixed_size: 0
    .sgpr_count:     18
    .sgpr_spill_count: 0
    .symbol:         _Z16warp_scan_kernelI12hip_bfloat16Lj64ELj2EENSt9enable_ifIXsr10test_utilsE35device_test_enabled_for_warp_size_vIXT1_EEEvE4typeEPT_S5_S5_S4_.kd
    .uniform_work_group_size: 1
    .uses_dynamic_stack: false
    .vgpr_count:     8
    .vgpr_spill_count: 0
    .wavefront_size: 32
    .workgroup_processor_mode: 1
  - .args:
      - .address_space:  global
        .offset:         0
        .size:           8
        .value_kind:     global_buffer
      - .address_space:  global
        .offset:         8
        .size:           8
        .value_kind:     global_buffer
      - .address_space:  global
        .offset:         16
        .size:           8
        .value_kind:     global_buffer
      - .offset:         24
        .size:           2
        .value_kind:     by_value
    .group_segment_fixed_size: 0
    .kernarg_segment_align: 8
    .kernarg_segment_size: 28
    .language:       OpenCL C
    .language_version:
      - 2
      - 0
    .max_flat_workgroup_size: 256
    .name:           _Z16warp_scan_kernelI6__halfLj256ELj64EENSt9enable_ifIXntsr10test_utilsE35device_test_enabled_for_warp_size_vIXT1_EEEvE4typeEPT_S5_S5_S4_
    .private_segment_fixed_size: 0
    .sgpr_count:     0
    .sgpr_spill_count: 0
    .symbol:         _Z16warp_scan_kernelI6__halfLj256ELj64EENSt9enable_ifIXntsr10test_utilsE35device_test_enabled_for_warp_size_vIXT1_EEEvE4typeEPT_S5_S5_S4_.kd
    .uniform_work_group_size: 1
    .uses_dynamic_stack: false
    .vgpr_count:     0
    .vgpr_spill_count: 0
    .wavefront_size: 32
    .workgroup_processor_mode: 1
  - .args:
      - .address_space:  global
        .offset:         0
        .size:           8
        .value_kind:     global_buffer
      - .address_space:  global
        .offset:         8
        .size:           8
        .value_kind:     global_buffer
      - .address_space:  global
        .offset:         16
        .size:           8
        .value_kind:     global_buffer
      - .offset:         24
        .size:           2
        .value_kind:     by_value
      - .offset:         32
        .size:           4
        .value_kind:     hidden_block_count_x
      - .offset:         36
        .size:           4
        .value_kind:     hidden_block_count_y
      - .offset:         40
        .size:           4
        .value_kind:     hidden_block_count_z
      - .offset:         44
        .size:           2
        .value_kind:     hidden_group_size_x
      - .offset:         46
        .size:           2
        .value_kind:     hidden_group_size_y
      - .offset:         48
        .size:           2
        .value_kind:     hidden_group_size_z
      - .offset:         50
        .size:           2
        .value_kind:     hidden_remainder_x
      - .offset:         52
        .size:           2
        .value_kind:     hidden_remainder_y
      - .offset:         54
        .size:           2
        .value_kind:     hidden_remainder_z
      - .offset:         72
        .size:           8
        .value_kind:     hidden_global_offset_x
      - .offset:         80
        .size:           8
        .value_kind:     hidden_global_offset_y
      - .offset:         88
        .size:           8
        .value_kind:     hidden_global_offset_z
      - .offset:         96
        .size:           2
        .value_kind:     hidden_grid_dims
    .group_segment_fixed_size: 0
    .kernarg_segment_align: 8
    .kernarg_segment_size: 288
    .language:       OpenCL C
    .language_version:
      - 2
      - 0
    .max_flat_workgroup_size: 128
    .name:           _Z16warp_scan_kernelI6__halfLj128ELj32EENSt9enable_ifIXsr10test_utilsE35device_test_enabled_for_warp_size_vIXT1_EEEvE4typeEPT_S5_S5_S4_
    .private_segment_fixed_size: 0
    .sgpr_count:     18
    .sgpr_spill_count: 0
    .symbol:         _Z16warp_scan_kernelI6__halfLj128ELj32EENSt9enable_ifIXsr10test_utilsE35device_test_enabled_for_warp_size_vIXT1_EEEvE4typeEPT_S5_S5_S4_.kd
    .uniform_work_group_size: 1
    .uses_dynamic_stack: false
    .vgpr_count:     7
    .vgpr_spill_count: 0
    .wavefront_size: 32
    .workgroup_processor_mode: 1
  - .args:
      - .address_space:  global
        .offset:         0
        .size:           8
        .value_kind:     global_buffer
      - .address_space:  global
        .offset:         8
        .size:           8
        .value_kind:     global_buffer
      - .address_space:  global
        .offset:         16
        .size:           8
        .value_kind:     global_buffer
      - .offset:         24
        .size:           2
        .value_kind:     by_value
      - .offset:         32
        .size:           4
        .value_kind:     hidden_block_count_x
      - .offset:         36
        .size:           4
        .value_kind:     hidden_block_count_y
      - .offset:         40
        .size:           4
        .value_kind:     hidden_block_count_z
      - .offset:         44
        .size:           2
        .value_kind:     hidden_group_size_x
      - .offset:         46
        .size:           2
        .value_kind:     hidden_group_size_y
      - .offset:         48
        .size:           2
        .value_kind:     hidden_group_size_z
      - .offset:         50
        .size:           2
        .value_kind:     hidden_remainder_x
      - .offset:         52
        .size:           2
        .value_kind:     hidden_remainder_y
      - .offset:         54
        .size:           2
        .value_kind:     hidden_remainder_z
      - .offset:         72
        .size:           8
        .value_kind:     hidden_global_offset_x
      - .offset:         80
        .size:           8
        .value_kind:     hidden_global_offset_y
      - .offset:         88
        .size:           8
        .value_kind:     hidden_global_offset_z
      - .offset:         96
        .size:           2
        .value_kind:     hidden_grid_dims
    .group_segment_fixed_size: 0
    .kernarg_segment_align: 8
    .kernarg_segment_size: 288
    .language:       OpenCL C
    .language_version:
      - 2
      - 0
    .max_flat_workgroup_size: 64
    .name:           _Z16warp_scan_kernelI6__halfLj64ELj16EENSt9enable_ifIXsr10test_utilsE35device_test_enabled_for_warp_size_vIXT1_EEEvE4typeEPT_S5_S5_S4_
    .private_segment_fixed_size: 0
    .sgpr_count:     18
    .sgpr_spill_count: 0
    .symbol:         _Z16warp_scan_kernelI6__halfLj64ELj16EENSt9enable_ifIXsr10test_utilsE35device_test_enabled_for_warp_size_vIXT1_EEEvE4typeEPT_S5_S5_S4_.kd
    .uniform_work_group_size: 1
    .uses_dynamic_stack: false
    .vgpr_count:     8
    .vgpr_spill_count: 0
    .wavefront_size: 32
    .workgroup_processor_mode: 1
  - .args:
      - .address_space:  global
        .offset:         0
        .size:           8
        .value_kind:     global_buffer
      - .address_space:  global
        .offset:         8
        .size:           8
        .value_kind:     global_buffer
      - .address_space:  global
        .offset:         16
        .size:           8
        .value_kind:     global_buffer
      - .offset:         24
        .size:           2
        .value_kind:     by_value
      - .offset:         32
        .size:           4
        .value_kind:     hidden_block_count_x
      - .offset:         36
        .size:           4
        .value_kind:     hidden_block_count_y
      - .offset:         40
        .size:           4
        .value_kind:     hidden_block_count_z
      - .offset:         44
        .size:           2
        .value_kind:     hidden_group_size_x
      - .offset:         46
        .size:           2
        .value_kind:     hidden_group_size_y
      - .offset:         48
        .size:           2
        .value_kind:     hidden_group_size_z
      - .offset:         50
        .size:           2
        .value_kind:     hidden_remainder_x
      - .offset:         52
        .size:           2
        .value_kind:     hidden_remainder_y
      - .offset:         54
        .size:           2
        .value_kind:     hidden_remainder_z
      - .offset:         72
        .size:           8
        .value_kind:     hidden_global_offset_x
      - .offset:         80
        .size:           8
        .value_kind:     hidden_global_offset_y
      - .offset:         88
        .size:           8
        .value_kind:     hidden_global_offset_z
      - .offset:         96
        .size:           2
        .value_kind:     hidden_grid_dims
    .group_segment_fixed_size: 0
    .kernarg_segment_align: 8
    .kernarg_segment_size: 288
    .language:       OpenCL C
    .language_version:
      - 2
      - 0
    .max_flat_workgroup_size: 32
    .name:           _Z16warp_scan_kernelI6__halfLj32ELj8EENSt9enable_ifIXsr10test_utilsE35device_test_enabled_for_warp_size_vIXT1_EEEvE4typeEPT_S5_S5_S4_
    .private_segment_fixed_size: 0
    .sgpr_count:     18
    .sgpr_spill_count: 0
    .symbol:         _Z16warp_scan_kernelI6__halfLj32ELj8EENSt9enable_ifIXsr10test_utilsE35device_test_enabled_for_warp_size_vIXT1_EEEvE4typeEPT_S5_S5_S4_.kd
    .uniform_work_group_size: 1
    .uses_dynamic_stack: false
    .vgpr_count:     8
    .vgpr_spill_count: 0
    .wavefront_size: 32
    .workgroup_processor_mode: 1
  - .args:
      - .address_space:  global
        .offset:         0
        .size:           8
        .value_kind:     global_buffer
      - .address_space:  global
        .offset:         8
        .size:           8
        .value_kind:     global_buffer
      - .address_space:  global
        .offset:         16
        .size:           8
        .value_kind:     global_buffer
      - .offset:         24
        .size:           2
        .value_kind:     by_value
      - .offset:         32
        .size:           4
        .value_kind:     hidden_block_count_x
      - .offset:         36
        .size:           4
        .value_kind:     hidden_block_count_y
      - .offset:         40
        .size:           4
        .value_kind:     hidden_block_count_z
      - .offset:         44
        .size:           2
        .value_kind:     hidden_group_size_x
      - .offset:         46
        .size:           2
        .value_kind:     hidden_group_size_y
      - .offset:         48
        .size:           2
        .value_kind:     hidden_group_size_z
      - .offset:         50
        .size:           2
        .value_kind:     hidden_remainder_x
      - .offset:         52
        .size:           2
        .value_kind:     hidden_remainder_y
      - .offset:         54
        .size:           2
        .value_kind:     hidden_remainder_z
      - .offset:         72
        .size:           8
        .value_kind:     hidden_global_offset_x
      - .offset:         80
        .size:           8
        .value_kind:     hidden_global_offset_y
      - .offset:         88
        .size:           8
        .value_kind:     hidden_global_offset_z
      - .offset:         96
        .size:           2
        .value_kind:     hidden_grid_dims
    .group_segment_fixed_size: 0
    .kernarg_segment_align: 8
    .kernarg_segment_size: 288
    .language:       OpenCL C
    .language_version:
      - 2
      - 0
    .max_flat_workgroup_size: 64
    .name:           _Z16warp_scan_kernelI6__halfLj64ELj8EENSt9enable_ifIXsr10test_utilsE35device_test_enabled_for_warp_size_vIXT1_EEEvE4typeEPT_S5_S5_S4_
    .private_segment_fixed_size: 0
    .sgpr_count:     18
    .sgpr_spill_count: 0
    .symbol:         _Z16warp_scan_kernelI6__halfLj64ELj8EENSt9enable_ifIXsr10test_utilsE35device_test_enabled_for_warp_size_vIXT1_EEEvE4typeEPT_S5_S5_S4_.kd
    .uniform_work_group_size: 1
    .uses_dynamic_stack: false
    .vgpr_count:     8
    .vgpr_spill_count: 0
    .wavefront_size: 32
    .workgroup_processor_mode: 1
  - .args:
      - .address_space:  global
        .offset:         0
        .size:           8
        .value_kind:     global_buffer
      - .address_space:  global
        .offset:         8
        .size:           8
        .value_kind:     global_buffer
      - .address_space:  global
        .offset:         16
        .size:           8
        .value_kind:     global_buffer
      - .offset:         24
        .size:           2
        .value_kind:     by_value
      - .offset:         32
        .size:           4
        .value_kind:     hidden_block_count_x
      - .offset:         36
        .size:           4
        .value_kind:     hidden_block_count_y
      - .offset:         40
        .size:           4
        .value_kind:     hidden_block_count_z
      - .offset:         44
        .size:           2
        .value_kind:     hidden_group_size_x
      - .offset:         46
        .size:           2
        .value_kind:     hidden_group_size_y
      - .offset:         48
        .size:           2
        .value_kind:     hidden_group_size_z
      - .offset:         50
        .size:           2
        .value_kind:     hidden_remainder_x
      - .offset:         52
        .size:           2
        .value_kind:     hidden_remainder_y
      - .offset:         54
        .size:           2
        .value_kind:     hidden_remainder_z
      - .offset:         72
        .size:           8
        .value_kind:     hidden_global_offset_x
      - .offset:         80
        .size:           8
        .value_kind:     hidden_global_offset_y
      - .offset:         88
        .size:           8
        .value_kind:     hidden_global_offset_z
      - .offset:         96
        .size:           2
        .value_kind:     hidden_grid_dims
    .group_segment_fixed_size: 0
    .kernarg_segment_align: 8
    .kernarg_segment_size: 288
    .language:       OpenCL C
    .language_version:
      - 2
      - 0
    .max_flat_workgroup_size: 32
    .name:           _Z16warp_scan_kernelI6__halfLj32ELj4EENSt9enable_ifIXsr10test_utilsE35device_test_enabled_for_warp_size_vIXT1_EEEvE4typeEPT_S5_S5_S4_
    .private_segment_fixed_size: 0
    .sgpr_count:     18
    .sgpr_spill_count: 0
    .symbol:         _Z16warp_scan_kernelI6__halfLj32ELj4EENSt9enable_ifIXsr10test_utilsE35device_test_enabled_for_warp_size_vIXT1_EEEvE4typeEPT_S5_S5_S4_.kd
    .uniform_work_group_size: 1
    .uses_dynamic_stack: false
    .vgpr_count:     8
    .vgpr_spill_count: 0
    .wavefront_size: 32
    .workgroup_processor_mode: 1
  - .args:
      - .address_space:  global
        .offset:         0
        .size:           8
        .value_kind:     global_buffer
      - .address_space:  global
        .offset:         8
        .size:           8
        .value_kind:     global_buffer
      - .address_space:  global
        .offset:         16
        .size:           8
        .value_kind:     global_buffer
      - .offset:         24
        .size:           2
        .value_kind:     by_value
      - .offset:         32
        .size:           4
        .value_kind:     hidden_block_count_x
      - .offset:         36
        .size:           4
        .value_kind:     hidden_block_count_y
      - .offset:         40
        .size:           4
        .value_kind:     hidden_block_count_z
      - .offset:         44
        .size:           2
        .value_kind:     hidden_group_size_x
      - .offset:         46
        .size:           2
        .value_kind:     hidden_group_size_y
      - .offset:         48
        .size:           2
        .value_kind:     hidden_group_size_z
      - .offset:         50
        .size:           2
        .value_kind:     hidden_remainder_x
      - .offset:         52
        .size:           2
        .value_kind:     hidden_remainder_y
      - .offset:         54
        .size:           2
        .value_kind:     hidden_remainder_z
      - .offset:         72
        .size:           8
        .value_kind:     hidden_global_offset_x
      - .offset:         80
        .size:           8
        .value_kind:     hidden_global_offset_y
      - .offset:         88
        .size:           8
        .value_kind:     hidden_global_offset_z
      - .offset:         96
        .size:           2
        .value_kind:     hidden_grid_dims
    .group_segment_fixed_size: 0
    .kernarg_segment_align: 8
    .kernarg_segment_size: 288
    .language:       OpenCL C
    .language_version:
      - 2
      - 0
    .max_flat_workgroup_size: 64
    .name:           _Z16warp_scan_kernelI6__halfLj64ELj4EENSt9enable_ifIXsr10test_utilsE35device_test_enabled_for_warp_size_vIXT1_EEEvE4typeEPT_S5_S5_S4_
    .private_segment_fixed_size: 0
    .sgpr_count:     18
    .sgpr_spill_count: 0
    .symbol:         _Z16warp_scan_kernelI6__halfLj64ELj4EENSt9enable_ifIXsr10test_utilsE35device_test_enabled_for_warp_size_vIXT1_EEEvE4typeEPT_S5_S5_S4_.kd
    .uniform_work_group_size: 1
    .uses_dynamic_stack: false
    .vgpr_count:     8
    .vgpr_spill_count: 0
    .wavefront_size: 32
    .workgroup_processor_mode: 1
  - .args:
      - .address_space:  global
        .offset:         0
        .size:           8
        .value_kind:     global_buffer
      - .address_space:  global
        .offset:         8
        .size:           8
        .value_kind:     global_buffer
      - .address_space:  global
        .offset:         16
        .size:           8
        .value_kind:     global_buffer
      - .offset:         24
        .size:           2
        .value_kind:     by_value
      - .offset:         32
        .size:           4
        .value_kind:     hidden_block_count_x
      - .offset:         36
        .size:           4
        .value_kind:     hidden_block_count_y
      - .offset:         40
        .size:           4
        .value_kind:     hidden_block_count_z
      - .offset:         44
        .size:           2
        .value_kind:     hidden_group_size_x
      - .offset:         46
        .size:           2
        .value_kind:     hidden_group_size_y
      - .offset:         48
        .size:           2
        .value_kind:     hidden_group_size_z
      - .offset:         50
        .size:           2
        .value_kind:     hidden_remainder_x
      - .offset:         52
        .size:           2
        .value_kind:     hidden_remainder_y
      - .offset:         54
        .size:           2
        .value_kind:     hidden_remainder_z
      - .offset:         72
        .size:           8
        .value_kind:     hidden_global_offset_x
      - .offset:         80
        .size:           8
        .value_kind:     hidden_global_offset_y
      - .offset:         88
        .size:           8
        .value_kind:     hidden_global_offset_z
      - .offset:         96
        .size:           2
        .value_kind:     hidden_grid_dims
    .group_segment_fixed_size: 0
    .kernarg_segment_align: 8
    .kernarg_segment_size: 288
    .language:       OpenCL C
    .language_version:
      - 2
      - 0
    .max_flat_workgroup_size: 32
    .name:           _Z16warp_scan_kernelI6__halfLj32ELj2EENSt9enable_ifIXsr10test_utilsE35device_test_enabled_for_warp_size_vIXT1_EEEvE4typeEPT_S5_S5_S4_
    .private_segment_fixed_size: 0
    .sgpr_count:     18
    .sgpr_spill_count: 0
    .symbol:         _Z16warp_scan_kernelI6__halfLj32ELj2EENSt9enable_ifIXsr10test_utilsE35device_test_enabled_for_warp_size_vIXT1_EEEvE4typeEPT_S5_S5_S4_.kd
    .uniform_work_group_size: 1
    .uses_dynamic_stack: false
    .vgpr_count:     8
    .vgpr_spill_count: 0
    .wavefront_size: 32
    .workgroup_processor_mode: 1
  - .args:
      - .address_space:  global
        .offset:         0
        .size:           8
        .value_kind:     global_buffer
      - .address_space:  global
        .offset:         8
        .size:           8
        .value_kind:     global_buffer
      - .address_space:  global
        .offset:         16
        .size:           8
        .value_kind:     global_buffer
      - .offset:         24
        .size:           2
        .value_kind:     by_value
      - .offset:         32
        .size:           4
        .value_kind:     hidden_block_count_x
      - .offset:         36
        .size:           4
        .value_kind:     hidden_block_count_y
      - .offset:         40
        .size:           4
        .value_kind:     hidden_block_count_z
      - .offset:         44
        .size:           2
        .value_kind:     hidden_group_size_x
      - .offset:         46
        .size:           2
        .value_kind:     hidden_group_size_y
      - .offset:         48
        .size:           2
        .value_kind:     hidden_group_size_z
      - .offset:         50
        .size:           2
        .value_kind:     hidden_remainder_x
      - .offset:         52
        .size:           2
        .value_kind:     hidden_remainder_y
      - .offset:         54
        .size:           2
        .value_kind:     hidden_remainder_z
      - .offset:         72
        .size:           8
        .value_kind:     hidden_global_offset_x
      - .offset:         80
        .size:           8
        .value_kind:     hidden_global_offset_y
      - .offset:         88
        .size:           8
        .value_kind:     hidden_global_offset_z
      - .offset:         96
        .size:           2
        .value_kind:     hidden_grid_dims
    .group_segment_fixed_size: 0
    .kernarg_segment_align: 8
    .kernarg_segment_size: 288
    .language:       OpenCL C
    .language_version:
      - 2
      - 0
    .max_flat_workgroup_size: 64
    .name:           _Z16warp_scan_kernelI6__halfLj64ELj2EENSt9enable_ifIXsr10test_utilsE35device_test_enabled_for_warp_size_vIXT1_EEEvE4typeEPT_S5_S5_S4_
    .private_segment_fixed_size: 0
    .sgpr_count:     18
    .sgpr_spill_count: 0
    .symbol:         _Z16warp_scan_kernelI6__halfLj64ELj2EENSt9enable_ifIXsr10test_utilsE35device_test_enabled_for_warp_size_vIXT1_EEEvE4typeEPT_S5_S5_S4_.kd
    .uniform_work_group_size: 1
    .uses_dynamic_stack: false
    .vgpr_count:     8
    .vgpr_spill_count: 0
    .wavefront_size: 32
    .workgroup_processor_mode: 1
  - .args:
      - .address_space:  global
        .offset:         0
        .size:           8
        .value_kind:     global_buffer
      - .address_space:  global
        .offset:         8
        .size:           8
        .value_kind:     global_buffer
      - .address_space:  global
        .offset:         16
        .size:           8
        .value_kind:     global_buffer
      - .offset:         24
        .size:           4
        .value_kind:     by_value
    .group_segment_fixed_size: 0
    .kernarg_segment_align: 8
    .kernarg_segment_size: 28
    .language:       OpenCL C
    .language_version:
      - 2
      - 0
    .max_flat_workgroup_size: 256
    .name:           _Z16warp_scan_kernelIfLj256ELj64EENSt9enable_ifIXntsr10test_utilsE35device_test_enabled_for_warp_size_vIXT1_EEEvE4typeEPT_S4_S4_S3_
    .private_segment_fixed_size: 0
    .sgpr_count:     0
    .sgpr_spill_count: 0
    .symbol:         _Z16warp_scan_kernelIfLj256ELj64EENSt9enable_ifIXntsr10test_utilsE35device_test_enabled_for_warp_size_vIXT1_EEEvE4typeEPT_S4_S4_S3_.kd
    .uniform_work_group_size: 1
    .uses_dynamic_stack: false
    .vgpr_count:     0
    .vgpr_spill_count: 0
    .wavefront_size: 32
    .workgroup_processor_mode: 1
  - .args:
      - .address_space:  global
        .offset:         0
        .size:           8
        .value_kind:     global_buffer
      - .address_space:  global
        .offset:         8
        .size:           8
        .value_kind:     global_buffer
      - .address_space:  global
        .offset:         16
        .size:           8
        .value_kind:     global_buffer
      - .offset:         24
        .size:           4
        .value_kind:     by_value
      - .offset:         32
        .size:           4
        .value_kind:     hidden_block_count_x
      - .offset:         36
        .size:           4
        .value_kind:     hidden_block_count_y
      - .offset:         40
        .size:           4
        .value_kind:     hidden_block_count_z
      - .offset:         44
        .size:           2
        .value_kind:     hidden_group_size_x
      - .offset:         46
        .size:           2
        .value_kind:     hidden_group_size_y
      - .offset:         48
        .size:           2
        .value_kind:     hidden_group_size_z
      - .offset:         50
        .size:           2
        .value_kind:     hidden_remainder_x
      - .offset:         52
        .size:           2
        .value_kind:     hidden_remainder_y
      - .offset:         54
        .size:           2
        .value_kind:     hidden_remainder_z
      - .offset:         72
        .size:           8
        .value_kind:     hidden_global_offset_x
      - .offset:         80
        .size:           8
        .value_kind:     hidden_global_offset_y
      - .offset:         88
        .size:           8
        .value_kind:     hidden_global_offset_z
      - .offset:         96
        .size:           2
        .value_kind:     hidden_grid_dims
    .group_segment_fixed_size: 0
    .kernarg_segment_align: 8
    .kernarg_segment_size: 288
    .language:       OpenCL C
    .language_version:
      - 2
      - 0
    .max_flat_workgroup_size: 128
    .name:           _Z16warp_scan_kernelIfLj128ELj32EENSt9enable_ifIXsr10test_utilsE35device_test_enabled_for_warp_size_vIXT1_EEEvE4typeEPT_S4_S4_S3_
    .private_segment_fixed_size: 0
    .sgpr_count:     18
    .sgpr_spill_count: 0
    .symbol:         _Z16warp_scan_kernelIfLj128ELj32EENSt9enable_ifIXsr10test_utilsE35device_test_enabled_for_warp_size_vIXT1_EEEvE4typeEPT_S4_S4_S3_.kd
    .uniform_work_group_size: 1
    .uses_dynamic_stack: false
    .vgpr_count:     7
    .vgpr_spill_count: 0
    .wavefront_size: 32
    .workgroup_processor_mode: 1
  - .args:
      - .address_space:  global
        .offset:         0
        .size:           8
        .value_kind:     global_buffer
      - .address_space:  global
        .offset:         8
        .size:           8
        .value_kind:     global_buffer
      - .address_space:  global
        .offset:         16
        .size:           8
        .value_kind:     global_buffer
      - .offset:         24
        .size:           4
        .value_kind:     by_value
      - .offset:         32
        .size:           4
        .value_kind:     hidden_block_count_x
      - .offset:         36
        .size:           4
        .value_kind:     hidden_block_count_y
      - .offset:         40
        .size:           4
        .value_kind:     hidden_block_count_z
      - .offset:         44
        .size:           2
        .value_kind:     hidden_group_size_x
      - .offset:         46
        .size:           2
        .value_kind:     hidden_group_size_y
      - .offset:         48
        .size:           2
        .value_kind:     hidden_group_size_z
      - .offset:         50
        .size:           2
        .value_kind:     hidden_remainder_x
      - .offset:         52
        .size:           2
        .value_kind:     hidden_remainder_y
      - .offset:         54
        .size:           2
        .value_kind:     hidden_remainder_z
      - .offset:         72
        .size:           8
        .value_kind:     hidden_global_offset_x
      - .offset:         80
        .size:           8
        .value_kind:     hidden_global_offset_y
      - .offset:         88
        .size:           8
        .value_kind:     hidden_global_offset_z
      - .offset:         96
        .size:           2
        .value_kind:     hidden_grid_dims
    .group_segment_fixed_size: 0
    .kernarg_segment_align: 8
    .kernarg_segment_size: 288
    .language:       OpenCL C
    .language_version:
      - 2
      - 0
    .max_flat_workgroup_size: 64
    .name:           _Z16warp_scan_kernelIfLj64ELj16EENSt9enable_ifIXsr10test_utilsE35device_test_enabled_for_warp_size_vIXT1_EEEvE4typeEPT_S4_S4_S3_
    .private_segment_fixed_size: 0
    .sgpr_count:     18
    .sgpr_spill_count: 0
    .symbol:         _Z16warp_scan_kernelIfLj64ELj16EENSt9enable_ifIXsr10test_utilsE35device_test_enabled_for_warp_size_vIXT1_EEEvE4typeEPT_S4_S4_S3_.kd
    .uniform_work_group_size: 1
    .uses_dynamic_stack: false
    .vgpr_count:     8
    .vgpr_spill_count: 0
    .wavefront_size: 32
    .workgroup_processor_mode: 1
  - .args:
      - .address_space:  global
        .offset:         0
        .size:           8
        .value_kind:     global_buffer
      - .address_space:  global
        .offset:         8
        .size:           8
        .value_kind:     global_buffer
      - .address_space:  global
        .offset:         16
        .size:           8
        .value_kind:     global_buffer
      - .offset:         24
        .size:           4
        .value_kind:     by_value
      - .offset:         32
        .size:           4
        .value_kind:     hidden_block_count_x
      - .offset:         36
        .size:           4
        .value_kind:     hidden_block_count_y
      - .offset:         40
        .size:           4
        .value_kind:     hidden_block_count_z
      - .offset:         44
        .size:           2
        .value_kind:     hidden_group_size_x
      - .offset:         46
        .size:           2
        .value_kind:     hidden_group_size_y
      - .offset:         48
        .size:           2
        .value_kind:     hidden_group_size_z
      - .offset:         50
        .size:           2
        .value_kind:     hidden_remainder_x
      - .offset:         52
        .size:           2
        .value_kind:     hidden_remainder_y
      - .offset:         54
        .size:           2
        .value_kind:     hidden_remainder_z
      - .offset:         72
        .size:           8
        .value_kind:     hidden_global_offset_x
      - .offset:         80
        .size:           8
        .value_kind:     hidden_global_offset_y
      - .offset:         88
        .size:           8
        .value_kind:     hidden_global_offset_z
      - .offset:         96
        .size:           2
        .value_kind:     hidden_grid_dims
    .group_segment_fixed_size: 0
    .kernarg_segment_align: 8
    .kernarg_segment_size: 288
    .language:       OpenCL C
    .language_version:
      - 2
      - 0
    .max_flat_workgroup_size: 32
    .name:           _Z16warp_scan_kernelIfLj32ELj8EENSt9enable_ifIXsr10test_utilsE35device_test_enabled_for_warp_size_vIXT1_EEEvE4typeEPT_S4_S4_S3_
    .private_segment_fixed_size: 0
    .sgpr_count:     18
    .sgpr_spill_count: 0
    .symbol:         _Z16warp_scan_kernelIfLj32ELj8EENSt9enable_ifIXsr10test_utilsE35device_test_enabled_for_warp_size_vIXT1_EEEvE4typeEPT_S4_S4_S3_.kd
    .uniform_work_group_size: 1
    .uses_dynamic_stack: false
    .vgpr_count:     8
    .vgpr_spill_count: 0
    .wavefront_size: 32
    .workgroup_processor_mode: 1
  - .args:
      - .address_space:  global
        .offset:         0
        .size:           8
        .value_kind:     global_buffer
      - .address_space:  global
        .offset:         8
        .size:           8
        .value_kind:     global_buffer
      - .address_space:  global
        .offset:         16
        .size:           8
        .value_kind:     global_buffer
      - .offset:         24
        .size:           4
        .value_kind:     by_value
      - .offset:         32
        .size:           4
        .value_kind:     hidden_block_count_x
      - .offset:         36
        .size:           4
        .value_kind:     hidden_block_count_y
      - .offset:         40
        .size:           4
        .value_kind:     hidden_block_count_z
      - .offset:         44
        .size:           2
        .value_kind:     hidden_group_size_x
      - .offset:         46
        .size:           2
        .value_kind:     hidden_group_size_y
      - .offset:         48
        .size:           2
        .value_kind:     hidden_group_size_z
      - .offset:         50
        .size:           2
        .value_kind:     hidden_remainder_x
      - .offset:         52
        .size:           2
        .value_kind:     hidden_remainder_y
      - .offset:         54
        .size:           2
        .value_kind:     hidden_remainder_z
      - .offset:         72
        .size:           8
        .value_kind:     hidden_global_offset_x
      - .offset:         80
        .size:           8
        .value_kind:     hidden_global_offset_y
      - .offset:         88
        .size:           8
        .value_kind:     hidden_global_offset_z
      - .offset:         96
        .size:           2
        .value_kind:     hidden_grid_dims
    .group_segment_fixed_size: 0
    .kernarg_segment_align: 8
    .kernarg_segment_size: 288
    .language:       OpenCL C
    .language_version:
      - 2
      - 0
    .max_flat_workgroup_size: 64
    .name:           _Z16warp_scan_kernelIfLj64ELj8EENSt9enable_ifIXsr10test_utilsE35device_test_enabled_for_warp_size_vIXT1_EEEvE4typeEPT_S4_S4_S3_
    .private_segment_fixed_size: 0
    .sgpr_count:     18
    .sgpr_spill_count: 0
    .symbol:         _Z16warp_scan_kernelIfLj64ELj8EENSt9enable_ifIXsr10test_utilsE35device_test_enabled_for_warp_size_vIXT1_EEEvE4typeEPT_S4_S4_S3_.kd
    .uniform_work_group_size: 1
    .uses_dynamic_stack: false
    .vgpr_count:     8
    .vgpr_spill_count: 0
    .wavefront_size: 32
    .workgroup_processor_mode: 1
  - .args:
      - .address_space:  global
        .offset:         0
        .size:           8
        .value_kind:     global_buffer
      - .address_space:  global
        .offset:         8
        .size:           8
        .value_kind:     global_buffer
      - .address_space:  global
        .offset:         16
        .size:           8
        .value_kind:     global_buffer
      - .offset:         24
        .size:           4
        .value_kind:     by_value
      - .offset:         32
        .size:           4
        .value_kind:     hidden_block_count_x
      - .offset:         36
        .size:           4
        .value_kind:     hidden_block_count_y
      - .offset:         40
        .size:           4
        .value_kind:     hidden_block_count_z
      - .offset:         44
        .size:           2
        .value_kind:     hidden_group_size_x
      - .offset:         46
        .size:           2
        .value_kind:     hidden_group_size_y
      - .offset:         48
        .size:           2
        .value_kind:     hidden_group_size_z
      - .offset:         50
        .size:           2
        .value_kind:     hidden_remainder_x
      - .offset:         52
        .size:           2
        .value_kind:     hidden_remainder_y
      - .offset:         54
        .size:           2
        .value_kind:     hidden_remainder_z
      - .offset:         72
        .size:           8
        .value_kind:     hidden_global_offset_x
      - .offset:         80
        .size:           8
        .value_kind:     hidden_global_offset_y
      - .offset:         88
        .size:           8
        .value_kind:     hidden_global_offset_z
      - .offset:         96
        .size:           2
        .value_kind:     hidden_grid_dims
    .group_segment_fixed_size: 0
    .kernarg_segment_align: 8
    .kernarg_segment_size: 288
    .language:       OpenCL C
    .language_version:
      - 2
      - 0
    .max_flat_workgroup_size: 32
    .name:           _Z16warp_scan_kernelIfLj32ELj4EENSt9enable_ifIXsr10test_utilsE35device_test_enabled_for_warp_size_vIXT1_EEEvE4typeEPT_S4_S4_S3_
    .private_segment_fixed_size: 0
    .sgpr_count:     18
    .sgpr_spill_count: 0
    .symbol:         _Z16warp_scan_kernelIfLj32ELj4EENSt9enable_ifIXsr10test_utilsE35device_test_enabled_for_warp_size_vIXT1_EEEvE4typeEPT_S4_S4_S3_.kd
    .uniform_work_group_size: 1
    .uses_dynamic_stack: false
    .vgpr_count:     8
    .vgpr_spill_count: 0
    .wavefront_size: 32
    .workgroup_processor_mode: 1
  - .args:
      - .address_space:  global
        .offset:         0
        .size:           8
        .value_kind:     global_buffer
      - .address_space:  global
        .offset:         8
        .size:           8
        .value_kind:     global_buffer
      - .address_space:  global
        .offset:         16
        .size:           8
        .value_kind:     global_buffer
      - .offset:         24
        .size:           4
        .value_kind:     by_value
      - .offset:         32
        .size:           4
        .value_kind:     hidden_block_count_x
      - .offset:         36
        .size:           4
        .value_kind:     hidden_block_count_y
      - .offset:         40
        .size:           4
        .value_kind:     hidden_block_count_z
      - .offset:         44
        .size:           2
        .value_kind:     hidden_group_size_x
      - .offset:         46
        .size:           2
        .value_kind:     hidden_group_size_y
      - .offset:         48
        .size:           2
        .value_kind:     hidden_group_size_z
      - .offset:         50
        .size:           2
        .value_kind:     hidden_remainder_x
      - .offset:         52
        .size:           2
        .value_kind:     hidden_remainder_y
      - .offset:         54
        .size:           2
        .value_kind:     hidden_remainder_z
      - .offset:         72
        .size:           8
        .value_kind:     hidden_global_offset_x
      - .offset:         80
        .size:           8
        .value_kind:     hidden_global_offset_y
      - .offset:         88
        .size:           8
        .value_kind:     hidden_global_offset_z
      - .offset:         96
        .size:           2
        .value_kind:     hidden_grid_dims
    .group_segment_fixed_size: 0
    .kernarg_segment_align: 8
    .kernarg_segment_size: 288
    .language:       OpenCL C
    .language_version:
      - 2
      - 0
    .max_flat_workgroup_size: 64
    .name:           _Z16warp_scan_kernelIfLj64ELj4EENSt9enable_ifIXsr10test_utilsE35device_test_enabled_for_warp_size_vIXT1_EEEvE4typeEPT_S4_S4_S3_
    .private_segment_fixed_size: 0
    .sgpr_count:     18
    .sgpr_spill_count: 0
    .symbol:         _Z16warp_scan_kernelIfLj64ELj4EENSt9enable_ifIXsr10test_utilsE35device_test_enabled_for_warp_size_vIXT1_EEEvE4typeEPT_S4_S4_S3_.kd
    .uniform_work_group_size: 1
    .uses_dynamic_stack: false
    .vgpr_count:     8
    .vgpr_spill_count: 0
    .wavefront_size: 32
    .workgroup_processor_mode: 1
  - .args:
      - .address_space:  global
        .offset:         0
        .size:           8
        .value_kind:     global_buffer
      - .address_space:  global
        .offset:         8
        .size:           8
        .value_kind:     global_buffer
      - .address_space:  global
        .offset:         16
        .size:           8
        .value_kind:     global_buffer
      - .offset:         24
        .size:           4
        .value_kind:     by_value
      - .offset:         32
        .size:           4
        .value_kind:     hidden_block_count_x
      - .offset:         36
        .size:           4
        .value_kind:     hidden_block_count_y
      - .offset:         40
        .size:           4
        .value_kind:     hidden_block_count_z
      - .offset:         44
        .size:           2
        .value_kind:     hidden_group_size_x
      - .offset:         46
        .size:           2
        .value_kind:     hidden_group_size_y
      - .offset:         48
        .size:           2
        .value_kind:     hidden_group_size_z
      - .offset:         50
        .size:           2
        .value_kind:     hidden_remainder_x
      - .offset:         52
        .size:           2
        .value_kind:     hidden_remainder_y
      - .offset:         54
        .size:           2
        .value_kind:     hidden_remainder_z
      - .offset:         72
        .size:           8
        .value_kind:     hidden_global_offset_x
      - .offset:         80
        .size:           8
        .value_kind:     hidden_global_offset_y
      - .offset:         88
        .size:           8
        .value_kind:     hidden_global_offset_z
      - .offset:         96
        .size:           2
        .value_kind:     hidden_grid_dims
    .group_segment_fixed_size: 0
    .kernarg_segment_align: 8
    .kernarg_segment_size: 288
    .language:       OpenCL C
    .language_version:
      - 2
      - 0
    .max_flat_workgroup_size: 32
    .name:           _Z16warp_scan_kernelIfLj32ELj2EENSt9enable_ifIXsr10test_utilsE35device_test_enabled_for_warp_size_vIXT1_EEEvE4typeEPT_S4_S4_S3_
    .private_segment_fixed_size: 0
    .sgpr_count:     18
    .sgpr_spill_count: 0
    .symbol:         _Z16warp_scan_kernelIfLj32ELj2EENSt9enable_ifIXsr10test_utilsE35device_test_enabled_for_warp_size_vIXT1_EEEvE4typeEPT_S4_S4_S3_.kd
    .uniform_work_group_size: 1
    .uses_dynamic_stack: false
    .vgpr_count:     8
    .vgpr_spill_count: 0
    .wavefront_size: 32
    .workgroup_processor_mode: 1
  - .args:
      - .address_space:  global
        .offset:         0
        .size:           8
        .value_kind:     global_buffer
      - .address_space:  global
        .offset:         8
        .size:           8
        .value_kind:     global_buffer
      - .address_space:  global
        .offset:         16
        .size:           8
        .value_kind:     global_buffer
      - .offset:         24
        .size:           4
        .value_kind:     by_value
      - .offset:         32
        .size:           4
        .value_kind:     hidden_block_count_x
      - .offset:         36
        .size:           4
        .value_kind:     hidden_block_count_y
      - .offset:         40
        .size:           4
        .value_kind:     hidden_block_count_z
      - .offset:         44
        .size:           2
        .value_kind:     hidden_group_size_x
      - .offset:         46
        .size:           2
        .value_kind:     hidden_group_size_y
      - .offset:         48
        .size:           2
        .value_kind:     hidden_group_size_z
      - .offset:         50
        .size:           2
        .value_kind:     hidden_remainder_x
      - .offset:         52
        .size:           2
        .value_kind:     hidden_remainder_y
      - .offset:         54
        .size:           2
        .value_kind:     hidden_remainder_z
      - .offset:         72
        .size:           8
        .value_kind:     hidden_global_offset_x
      - .offset:         80
        .size:           8
        .value_kind:     hidden_global_offset_y
      - .offset:         88
        .size:           8
        .value_kind:     hidden_global_offset_z
      - .offset:         96
        .size:           2
        .value_kind:     hidden_grid_dims
    .group_segment_fixed_size: 0
    .kernarg_segment_align: 8
    .kernarg_segment_size: 288
    .language:       OpenCL C
    .language_version:
      - 2
      - 0
    .max_flat_workgroup_size: 64
    .name:           _Z16warp_scan_kernelIfLj64ELj2EENSt9enable_ifIXsr10test_utilsE35device_test_enabled_for_warp_size_vIXT1_EEEvE4typeEPT_S4_S4_S3_
    .private_segment_fixed_size: 0
    .sgpr_count:     18
    .sgpr_spill_count: 0
    .symbol:         _Z16warp_scan_kernelIfLj64ELj2EENSt9enable_ifIXsr10test_utilsE35device_test_enabled_for_warp_size_vIXT1_EEEvE4typeEPT_S4_S4_S3_.kd
    .uniform_work_group_size: 1
    .uses_dynamic_stack: false
    .vgpr_count:     8
    .vgpr_spill_count: 0
    .wavefront_size: 32
    .workgroup_processor_mode: 1
  - .args:
      - .address_space:  global
        .offset:         0
        .size:           8
        .value_kind:     global_buffer
      - .address_space:  global
        .offset:         8
        .size:           8
        .value_kind:     global_buffer
      - .address_space:  global
        .offset:         16
        .size:           8
        .value_kind:     global_buffer
      - .offset:         24
        .size:           4
        .value_kind:     by_value
    .group_segment_fixed_size: 0
    .kernarg_segment_align: 8
    .kernarg_segment_size: 28
    .language:       OpenCL C
    .language_version:
      - 2
      - 0
    .max_flat_workgroup_size: 256
    .name:           _Z16warp_scan_kernelIiLj256ELj64EENSt9enable_ifIXntsr10test_utilsE35device_test_enabled_for_warp_size_vIXT1_EEEvE4typeEPT_S4_S4_S3_
    .private_segment_fixed_size: 0
    .sgpr_count:     0
    .sgpr_spill_count: 0
    .symbol:         _Z16warp_scan_kernelIiLj256ELj64EENSt9enable_ifIXntsr10test_utilsE35device_test_enabled_for_warp_size_vIXT1_EEEvE4typeEPT_S4_S4_S3_.kd
    .uniform_work_group_size: 1
    .uses_dynamic_stack: false
    .vgpr_count:     0
    .vgpr_spill_count: 0
    .wavefront_size: 32
    .workgroup_processor_mode: 1
  - .args:
      - .address_space:  global
        .offset:         0
        .size:           8
        .value_kind:     global_buffer
      - .address_space:  global
        .offset:         8
        .size:           8
        .value_kind:     global_buffer
      - .address_space:  global
        .offset:         16
        .size:           8
        .value_kind:     global_buffer
      - .offset:         24
        .size:           4
        .value_kind:     by_value
      - .offset:         32
        .size:           4
        .value_kind:     hidden_block_count_x
      - .offset:         36
        .size:           4
        .value_kind:     hidden_block_count_y
      - .offset:         40
        .size:           4
        .value_kind:     hidden_block_count_z
      - .offset:         44
        .size:           2
        .value_kind:     hidden_group_size_x
      - .offset:         46
        .size:           2
        .value_kind:     hidden_group_size_y
      - .offset:         48
        .size:           2
        .value_kind:     hidden_group_size_z
      - .offset:         50
        .size:           2
        .value_kind:     hidden_remainder_x
      - .offset:         52
        .size:           2
        .value_kind:     hidden_remainder_y
      - .offset:         54
        .size:           2
        .value_kind:     hidden_remainder_z
      - .offset:         72
        .size:           8
        .value_kind:     hidden_global_offset_x
      - .offset:         80
        .size:           8
        .value_kind:     hidden_global_offset_y
      - .offset:         88
        .size:           8
        .value_kind:     hidden_global_offset_z
      - .offset:         96
        .size:           2
        .value_kind:     hidden_grid_dims
    .group_segment_fixed_size: 0
    .kernarg_segment_align: 8
    .kernarg_segment_size: 288
    .language:       OpenCL C
    .language_version:
      - 2
      - 0
    .max_flat_workgroup_size: 128
    .name:           _Z16warp_scan_kernelIiLj128ELj32EENSt9enable_ifIXsr10test_utilsE35device_test_enabled_for_warp_size_vIXT1_EEEvE4typeEPT_S4_S4_S3_
    .private_segment_fixed_size: 0
    .sgpr_count:     18
    .sgpr_spill_count: 0
    .symbol:         _Z16warp_scan_kernelIiLj128ELj32EENSt9enable_ifIXsr10test_utilsE35device_test_enabled_for_warp_size_vIXT1_EEEvE4typeEPT_S4_S4_S3_.kd
    .uniform_work_group_size: 1
    .uses_dynamic_stack: false
    .vgpr_count:     7
    .vgpr_spill_count: 0
    .wavefront_size: 32
    .workgroup_processor_mode: 1
  - .args:
      - .address_space:  global
        .offset:         0
        .size:           8
        .value_kind:     global_buffer
      - .address_space:  global
        .offset:         8
        .size:           8
        .value_kind:     global_buffer
      - .address_space:  global
        .offset:         16
        .size:           8
        .value_kind:     global_buffer
      - .offset:         24
        .size:           4
        .value_kind:     by_value
      - .offset:         32
        .size:           4
        .value_kind:     hidden_block_count_x
      - .offset:         36
        .size:           4
        .value_kind:     hidden_block_count_y
      - .offset:         40
        .size:           4
        .value_kind:     hidden_block_count_z
      - .offset:         44
        .size:           2
        .value_kind:     hidden_group_size_x
      - .offset:         46
        .size:           2
        .value_kind:     hidden_group_size_y
      - .offset:         48
        .size:           2
        .value_kind:     hidden_group_size_z
      - .offset:         50
        .size:           2
        .value_kind:     hidden_remainder_x
      - .offset:         52
        .size:           2
        .value_kind:     hidden_remainder_y
      - .offset:         54
        .size:           2
        .value_kind:     hidden_remainder_z
      - .offset:         72
        .size:           8
        .value_kind:     hidden_global_offset_x
      - .offset:         80
        .size:           8
        .value_kind:     hidden_global_offset_y
      - .offset:         88
        .size:           8
        .value_kind:     hidden_global_offset_z
      - .offset:         96
        .size:           2
        .value_kind:     hidden_grid_dims
    .group_segment_fixed_size: 0
    .kernarg_segment_align: 8
    .kernarg_segment_size: 288
    .language:       OpenCL C
    .language_version:
      - 2
      - 0
    .max_flat_workgroup_size: 64
    .name:           _Z16warp_scan_kernelIiLj64ELj16EENSt9enable_ifIXsr10test_utilsE35device_test_enabled_for_warp_size_vIXT1_EEEvE4typeEPT_S4_S4_S3_
    .private_segment_fixed_size: 0
    .sgpr_count:     18
    .sgpr_spill_count: 0
    .symbol:         _Z16warp_scan_kernelIiLj64ELj16EENSt9enable_ifIXsr10test_utilsE35device_test_enabled_for_warp_size_vIXT1_EEEvE4typeEPT_S4_S4_S3_.kd
    .uniform_work_group_size: 1
    .uses_dynamic_stack: false
    .vgpr_count:     8
    .vgpr_spill_count: 0
    .wavefront_size: 32
    .workgroup_processor_mode: 1
  - .args:
      - .address_space:  global
        .offset:         0
        .size:           8
        .value_kind:     global_buffer
      - .address_space:  global
        .offset:         8
        .size:           8
        .value_kind:     global_buffer
      - .address_space:  global
        .offset:         16
        .size:           8
        .value_kind:     global_buffer
      - .offset:         24
        .size:           4
        .value_kind:     by_value
      - .offset:         32
        .size:           4
        .value_kind:     hidden_block_count_x
      - .offset:         36
        .size:           4
        .value_kind:     hidden_block_count_y
      - .offset:         40
        .size:           4
        .value_kind:     hidden_block_count_z
      - .offset:         44
        .size:           2
        .value_kind:     hidden_group_size_x
      - .offset:         46
        .size:           2
        .value_kind:     hidden_group_size_y
      - .offset:         48
        .size:           2
        .value_kind:     hidden_group_size_z
      - .offset:         50
        .size:           2
        .value_kind:     hidden_remainder_x
      - .offset:         52
        .size:           2
        .value_kind:     hidden_remainder_y
      - .offset:         54
        .size:           2
        .value_kind:     hidden_remainder_z
      - .offset:         72
        .size:           8
        .value_kind:     hidden_global_offset_x
      - .offset:         80
        .size:           8
        .value_kind:     hidden_global_offset_y
      - .offset:         88
        .size:           8
        .value_kind:     hidden_global_offset_z
      - .offset:         96
        .size:           2
        .value_kind:     hidden_grid_dims
    .group_segment_fixed_size: 0
    .kernarg_segment_align: 8
    .kernarg_segment_size: 288
    .language:       OpenCL C
    .language_version:
      - 2
      - 0
    .max_flat_workgroup_size: 32
    .name:           _Z16warp_scan_kernelIiLj32ELj8EENSt9enable_ifIXsr10test_utilsE35device_test_enabled_for_warp_size_vIXT1_EEEvE4typeEPT_S4_S4_S3_
    .private_segment_fixed_size: 0
    .sgpr_count:     18
    .sgpr_spill_count: 0
    .symbol:         _Z16warp_scan_kernelIiLj32ELj8EENSt9enable_ifIXsr10test_utilsE35device_test_enabled_for_warp_size_vIXT1_EEEvE4typeEPT_S4_S4_S3_.kd
    .uniform_work_group_size: 1
    .uses_dynamic_stack: false
    .vgpr_count:     8
    .vgpr_spill_count: 0
    .wavefront_size: 32
    .workgroup_processor_mode: 1
  - .args:
      - .address_space:  global
        .offset:         0
        .size:           8
        .value_kind:     global_buffer
      - .address_space:  global
        .offset:         8
        .size:           8
        .value_kind:     global_buffer
      - .address_space:  global
        .offset:         16
        .size:           8
        .value_kind:     global_buffer
      - .offset:         24
        .size:           4
        .value_kind:     by_value
      - .offset:         32
        .size:           4
        .value_kind:     hidden_block_count_x
      - .offset:         36
        .size:           4
        .value_kind:     hidden_block_count_y
      - .offset:         40
        .size:           4
        .value_kind:     hidden_block_count_z
      - .offset:         44
        .size:           2
        .value_kind:     hidden_group_size_x
      - .offset:         46
        .size:           2
        .value_kind:     hidden_group_size_y
      - .offset:         48
        .size:           2
        .value_kind:     hidden_group_size_z
      - .offset:         50
        .size:           2
        .value_kind:     hidden_remainder_x
      - .offset:         52
        .size:           2
        .value_kind:     hidden_remainder_y
      - .offset:         54
        .size:           2
        .value_kind:     hidden_remainder_z
      - .offset:         72
        .size:           8
        .value_kind:     hidden_global_offset_x
      - .offset:         80
        .size:           8
        .value_kind:     hidden_global_offset_y
      - .offset:         88
        .size:           8
        .value_kind:     hidden_global_offset_z
      - .offset:         96
        .size:           2
        .value_kind:     hidden_grid_dims
    .group_segment_fixed_size: 0
    .kernarg_segment_align: 8
    .kernarg_segment_size: 288
    .language:       OpenCL C
    .language_version:
      - 2
      - 0
    .max_flat_workgroup_size: 64
    .name:           _Z16warp_scan_kernelIiLj64ELj8EENSt9enable_ifIXsr10test_utilsE35device_test_enabled_for_warp_size_vIXT1_EEEvE4typeEPT_S4_S4_S3_
    .private_segment_fixed_size: 0
    .sgpr_count:     18
    .sgpr_spill_count: 0
    .symbol:         _Z16warp_scan_kernelIiLj64ELj8EENSt9enable_ifIXsr10test_utilsE35device_test_enabled_for_warp_size_vIXT1_EEEvE4typeEPT_S4_S4_S3_.kd
    .uniform_work_group_size: 1
    .uses_dynamic_stack: false
    .vgpr_count:     8
    .vgpr_spill_count: 0
    .wavefront_size: 32
    .workgroup_processor_mode: 1
  - .args:
      - .address_space:  global
        .offset:         0
        .size:           8
        .value_kind:     global_buffer
      - .address_space:  global
        .offset:         8
        .size:           8
        .value_kind:     global_buffer
      - .address_space:  global
        .offset:         16
        .size:           8
        .value_kind:     global_buffer
      - .offset:         24
        .size:           4
        .value_kind:     by_value
      - .offset:         32
        .size:           4
        .value_kind:     hidden_block_count_x
      - .offset:         36
        .size:           4
        .value_kind:     hidden_block_count_y
      - .offset:         40
        .size:           4
        .value_kind:     hidden_block_count_z
      - .offset:         44
        .size:           2
        .value_kind:     hidden_group_size_x
      - .offset:         46
        .size:           2
        .value_kind:     hidden_group_size_y
      - .offset:         48
        .size:           2
        .value_kind:     hidden_group_size_z
      - .offset:         50
        .size:           2
        .value_kind:     hidden_remainder_x
      - .offset:         52
        .size:           2
        .value_kind:     hidden_remainder_y
      - .offset:         54
        .size:           2
        .value_kind:     hidden_remainder_z
      - .offset:         72
        .size:           8
        .value_kind:     hidden_global_offset_x
      - .offset:         80
        .size:           8
        .value_kind:     hidden_global_offset_y
      - .offset:         88
        .size:           8
        .value_kind:     hidden_global_offset_z
      - .offset:         96
        .size:           2
        .value_kind:     hidden_grid_dims
    .group_segment_fixed_size: 0
    .kernarg_segment_align: 8
    .kernarg_segment_size: 288
    .language:       OpenCL C
    .language_version:
      - 2
      - 0
    .max_flat_workgroup_size: 32
    .name:           _Z16warp_scan_kernelIiLj32ELj4EENSt9enable_ifIXsr10test_utilsE35device_test_enabled_for_warp_size_vIXT1_EEEvE4typeEPT_S4_S4_S3_
    .private_segment_fixed_size: 0
    .sgpr_count:     18
    .sgpr_spill_count: 0
    .symbol:         _Z16warp_scan_kernelIiLj32ELj4EENSt9enable_ifIXsr10test_utilsE35device_test_enabled_for_warp_size_vIXT1_EEEvE4typeEPT_S4_S4_S3_.kd
    .uniform_work_group_size: 1
    .uses_dynamic_stack: false
    .vgpr_count:     8
    .vgpr_spill_count: 0
    .wavefront_size: 32
    .workgroup_processor_mode: 1
  - .args:
      - .address_space:  global
        .offset:         0
        .size:           8
        .value_kind:     global_buffer
      - .address_space:  global
        .offset:         8
        .size:           8
        .value_kind:     global_buffer
      - .address_space:  global
        .offset:         16
        .size:           8
        .value_kind:     global_buffer
      - .offset:         24
        .size:           4
        .value_kind:     by_value
      - .offset:         32
        .size:           4
        .value_kind:     hidden_block_count_x
      - .offset:         36
        .size:           4
        .value_kind:     hidden_block_count_y
      - .offset:         40
        .size:           4
        .value_kind:     hidden_block_count_z
      - .offset:         44
        .size:           2
        .value_kind:     hidden_group_size_x
      - .offset:         46
        .size:           2
        .value_kind:     hidden_group_size_y
      - .offset:         48
        .size:           2
        .value_kind:     hidden_group_size_z
      - .offset:         50
        .size:           2
        .value_kind:     hidden_remainder_x
      - .offset:         52
        .size:           2
        .value_kind:     hidden_remainder_y
      - .offset:         54
        .size:           2
        .value_kind:     hidden_remainder_z
      - .offset:         72
        .size:           8
        .value_kind:     hidden_global_offset_x
      - .offset:         80
        .size:           8
        .value_kind:     hidden_global_offset_y
      - .offset:         88
        .size:           8
        .value_kind:     hidden_global_offset_z
      - .offset:         96
        .size:           2
        .value_kind:     hidden_grid_dims
    .group_segment_fixed_size: 0
    .kernarg_segment_align: 8
    .kernarg_segment_size: 288
    .language:       OpenCL C
    .language_version:
      - 2
      - 0
    .max_flat_workgroup_size: 64
    .name:           _Z16warp_scan_kernelIiLj64ELj4EENSt9enable_ifIXsr10test_utilsE35device_test_enabled_for_warp_size_vIXT1_EEEvE4typeEPT_S4_S4_S3_
    .private_segment_fixed_size: 0
    .sgpr_count:     18
    .sgpr_spill_count: 0
    .symbol:         _Z16warp_scan_kernelIiLj64ELj4EENSt9enable_ifIXsr10test_utilsE35device_test_enabled_for_warp_size_vIXT1_EEEvE4typeEPT_S4_S4_S3_.kd
    .uniform_work_group_size: 1
    .uses_dynamic_stack: false
    .vgpr_count:     8
    .vgpr_spill_count: 0
    .wavefront_size: 32
    .workgroup_processor_mode: 1
  - .args:
      - .address_space:  global
        .offset:         0
        .size:           8
        .value_kind:     global_buffer
      - .address_space:  global
        .offset:         8
        .size:           8
        .value_kind:     global_buffer
      - .address_space:  global
        .offset:         16
        .size:           8
        .value_kind:     global_buffer
      - .offset:         24
        .size:           4
        .value_kind:     by_value
      - .offset:         32
        .size:           4
        .value_kind:     hidden_block_count_x
      - .offset:         36
        .size:           4
        .value_kind:     hidden_block_count_y
      - .offset:         40
        .size:           4
        .value_kind:     hidden_block_count_z
      - .offset:         44
        .size:           2
        .value_kind:     hidden_group_size_x
      - .offset:         46
        .size:           2
        .value_kind:     hidden_group_size_y
      - .offset:         48
        .size:           2
        .value_kind:     hidden_group_size_z
      - .offset:         50
        .size:           2
        .value_kind:     hidden_remainder_x
      - .offset:         52
        .size:           2
        .value_kind:     hidden_remainder_y
      - .offset:         54
        .size:           2
        .value_kind:     hidden_remainder_z
      - .offset:         72
        .size:           8
        .value_kind:     hidden_global_offset_x
      - .offset:         80
        .size:           8
        .value_kind:     hidden_global_offset_y
      - .offset:         88
        .size:           8
        .value_kind:     hidden_global_offset_z
      - .offset:         96
        .size:           2
        .value_kind:     hidden_grid_dims
    .group_segment_fixed_size: 0
    .kernarg_segment_align: 8
    .kernarg_segment_size: 288
    .language:       OpenCL C
    .language_version:
      - 2
      - 0
    .max_flat_workgroup_size: 32
    .name:           _Z16warp_scan_kernelIiLj32ELj2EENSt9enable_ifIXsr10test_utilsE35device_test_enabled_for_warp_size_vIXT1_EEEvE4typeEPT_S4_S4_S3_
    .private_segment_fixed_size: 0
    .sgpr_count:     18
    .sgpr_spill_count: 0
    .symbol:         _Z16warp_scan_kernelIiLj32ELj2EENSt9enable_ifIXsr10test_utilsE35device_test_enabled_for_warp_size_vIXT1_EEEvE4typeEPT_S4_S4_S3_.kd
    .uniform_work_group_size: 1
    .uses_dynamic_stack: false
    .vgpr_count:     8
    .vgpr_spill_count: 0
    .wavefront_size: 32
    .workgroup_processor_mode: 1
  - .args:
      - .address_space:  global
        .offset:         0
        .size:           8
        .value_kind:     global_buffer
      - .address_space:  global
        .offset:         8
        .size:           8
        .value_kind:     global_buffer
      - .address_space:  global
        .offset:         16
        .size:           8
        .value_kind:     global_buffer
      - .offset:         24
        .size:           4
        .value_kind:     by_value
      - .offset:         32
        .size:           4
        .value_kind:     hidden_block_count_x
      - .offset:         36
        .size:           4
        .value_kind:     hidden_block_count_y
      - .offset:         40
        .size:           4
        .value_kind:     hidden_block_count_z
      - .offset:         44
        .size:           2
        .value_kind:     hidden_group_size_x
      - .offset:         46
        .size:           2
        .value_kind:     hidden_group_size_y
      - .offset:         48
        .size:           2
        .value_kind:     hidden_group_size_z
      - .offset:         50
        .size:           2
        .value_kind:     hidden_remainder_x
      - .offset:         52
        .size:           2
        .value_kind:     hidden_remainder_y
      - .offset:         54
        .size:           2
        .value_kind:     hidden_remainder_z
      - .offset:         72
        .size:           8
        .value_kind:     hidden_global_offset_x
      - .offset:         80
        .size:           8
        .value_kind:     hidden_global_offset_y
      - .offset:         88
        .size:           8
        .value_kind:     hidden_global_offset_z
      - .offset:         96
        .size:           2
        .value_kind:     hidden_grid_dims
    .group_segment_fixed_size: 0
    .kernarg_segment_align: 8
    .kernarg_segment_size: 288
    .language:       OpenCL C
    .language_version:
      - 2
      - 0
    .max_flat_workgroup_size: 64
    .name:           _Z16warp_scan_kernelIiLj64ELj2EENSt9enable_ifIXsr10test_utilsE35device_test_enabled_for_warp_size_vIXT1_EEEvE4typeEPT_S4_S4_S3_
    .private_segment_fixed_size: 0
    .sgpr_count:     18
    .sgpr_spill_count: 0
    .symbol:         _Z16warp_scan_kernelIiLj64ELj2EENSt9enable_ifIXsr10test_utilsE35device_test_enabled_for_warp_size_vIXT1_EEEvE4typeEPT_S4_S4_S3_.kd
    .uniform_work_group_size: 1
    .uses_dynamic_stack: false
    .vgpr_count:     8
    .vgpr_spill_count: 0
    .wavefront_size: 32
    .workgroup_processor_mode: 1
  - .args:
      - .address_space:  global
        .offset:         0
        .size:           8
        .value_kind:     global_buffer
      - .address_space:  global
        .offset:         8
        .size:           8
        .value_kind:     global_buffer
    .group_segment_fixed_size: 0
    .kernarg_segment_align: 8
    .kernarg_segment_size: 16
    .language:       OpenCL C
    .language_version:
      - 2
      - 0
    .max_flat_workgroup_size: 1
    .name:           _Z26warp_inclusive_scan_kernelIN10test_utils16custom_test_typeIfEELj1ELj61EENSt9enable_ifIXntsr10test_utilsE35device_test_enabled_for_warp_size_vIXT1_EEEvE4typeEPT_S7_
    .private_segment_fixed_size: 0
    .sgpr_count:     0
    .sgpr_spill_count: 0
    .symbol:         _Z26warp_inclusive_scan_kernelIN10test_utils16custom_test_typeIfEELj1ELj61EENSt9enable_ifIXntsr10test_utilsE35device_test_enabled_for_warp_size_vIXT1_EEEvE4typeEPT_S7_.kd
    .uniform_work_group_size: 1
    .uses_dynamic_stack: false
    .vgpr_count:     0
    .vgpr_spill_count: 0
    .wavefront_size: 32
    .workgroup_processor_mode: 1
  - .args:
      - .address_space:  global
        .offset:         0
        .size:           8
        .value_kind:     global_buffer
      - .address_space:  global
        .offset:         8
        .size:           8
        .value_kind:     global_buffer
    .group_segment_fixed_size: 0
    .kernarg_segment_align: 8
    .kernarg_segment_size: 16
    .language:       OpenCL C
    .language_version:
      - 2
      - 0
    .max_flat_workgroup_size: 61
    .name:           _Z26warp_inclusive_scan_kernelIN10test_utils16custom_test_typeIfEELj61ELj61EENSt9enable_ifIXntsr10test_utilsE35device_test_enabled_for_warp_size_vIXT1_EEEvE4typeEPT_S7_
    .private_segment_fixed_size: 0
    .sgpr_count:     0
    .sgpr_spill_count: 0
    .symbol:         _Z26warp_inclusive_scan_kernelIN10test_utils16custom_test_typeIfEELj61ELj61EENSt9enable_ifIXntsr10test_utilsE35device_test_enabled_for_warp_size_vIXT1_EEEvE4typeEPT_S7_.kd
    .uniform_work_group_size: 1
    .uses_dynamic_stack: false
    .vgpr_count:     0
    .vgpr_spill_count: 0
    .wavefront_size: 32
    .workgroup_processor_mode: 1
  - .args:
      - .address_space:  global
        .offset:         0
        .size:           8
        .value_kind:     global_buffer
      - .address_space:  global
        .offset:         8
        .size:           8
        .value_kind:     global_buffer
    .group_segment_fixed_size: 0
    .kernarg_segment_align: 8
    .kernarg_segment_size: 16
    .language:       OpenCL C
    .language_version:
      - 2
      - 0
    .max_flat_workgroup_size: 1
    .name:           _Z26warp_inclusive_scan_kernelIN10test_utils16custom_test_typeIfEELj1ELj37EENSt9enable_ifIXntsr10test_utilsE35device_test_enabled_for_warp_size_vIXT1_EEEvE4typeEPT_S7_
    .private_segment_fixed_size: 0
    .sgpr_count:     0
    .sgpr_spill_count: 0
    .symbol:         _Z26warp_inclusive_scan_kernelIN10test_utils16custom_test_typeIfEELj1ELj37EENSt9enable_ifIXntsr10test_utilsE35device_test_enabled_for_warp_size_vIXT1_EEEvE4typeEPT_S7_.kd
    .uniform_work_group_size: 1
    .uses_dynamic_stack: false
    .vgpr_count:     0
    .vgpr_spill_count: 0
    .wavefront_size: 32
    .workgroup_processor_mode: 1
  - .args:
      - .address_space:  global
        .offset:         0
        .size:           8
        .value_kind:     global_buffer
      - .address_space:  global
        .offset:         8
        .size:           8
        .value_kind:     global_buffer
    .group_segment_fixed_size: 0
    .kernarg_segment_align: 8
    .kernarg_segment_size: 16
    .language:       OpenCL C
    .language_version:
      - 2
      - 0
    .max_flat_workgroup_size: 37
    .name:           _Z26warp_inclusive_scan_kernelIN10test_utils16custom_test_typeIfEELj37ELj37EENSt9enable_ifIXntsr10test_utilsE35device_test_enabled_for_warp_size_vIXT1_EEEvE4typeEPT_S7_
    .private_segment_fixed_size: 0
    .sgpr_count:     0
    .sgpr_spill_count: 0
    .symbol:         _Z26warp_inclusive_scan_kernelIN10test_utils16custom_test_typeIfEELj37ELj37EENSt9enable_ifIXntsr10test_utilsE35device_test_enabled_for_warp_size_vIXT1_EEEvE4typeEPT_S7_.kd
    .uniform_work_group_size: 1
    .uses_dynamic_stack: false
    .vgpr_count:     0
    .vgpr_spill_count: 0
    .wavefront_size: 32
    .workgroup_processor_mode: 1
  - .args:
      - .address_space:  global
        .offset:         0
        .size:           8
        .value_kind:     global_buffer
      - .address_space:  global
        .offset:         8
        .size:           8
        .value_kind:     global_buffer
      - .offset:         16
        .size:           4
        .value_kind:     hidden_block_count_x
      - .offset:         20
        .size:           4
        .value_kind:     hidden_block_count_y
      - .offset:         24
        .size:           4
        .value_kind:     hidden_block_count_z
      - .offset:         28
        .size:           2
        .value_kind:     hidden_group_size_x
      - .offset:         30
        .size:           2
        .value_kind:     hidden_group_size_y
      - .offset:         32
        .size:           2
        .value_kind:     hidden_group_size_z
      - .offset:         34
        .size:           2
        .value_kind:     hidden_remainder_x
      - .offset:         36
        .size:           2
        .value_kind:     hidden_remainder_y
      - .offset:         38
        .size:           2
        .value_kind:     hidden_remainder_z
      - .offset:         56
        .size:           8
        .value_kind:     hidden_global_offset_x
      - .offset:         64
        .size:           8
        .value_kind:     hidden_global_offset_y
      - .offset:         72
        .size:           8
        .value_kind:     hidden_global_offset_z
      - .offset:         80
        .size:           2
        .value_kind:     hidden_grid_dims
    .group_segment_fixed_size: 240
    .kernarg_segment_align: 8
    .kernarg_segment_size: 272
    .language:       OpenCL C
    .language_version:
      - 2
      - 0
    .max_flat_workgroup_size: 30
    .name:           _Z26warp_inclusive_scan_kernelIN10test_utils16custom_test_typeIfEELj30ELj15EENSt9enable_ifIXsr10test_utilsE35device_test_enabled_for_warp_size_vIXT1_EEEvE4typeEPT_S7_
    .private_segment_fixed_size: 0
    .sgpr_count:     18
    .sgpr_spill_count: 0
    .symbol:         _Z26warp_inclusive_scan_kernelIN10test_utils16custom_test_typeIfEELj30ELj15EENSt9enable_ifIXsr10test_utilsE35device_test_enabled_for_warp_size_vIXT1_EEEvE4typeEPT_S7_.kd
    .uniform_work_group_size: 1
    .uses_dynamic_stack: false
    .vgpr_count:     8
    .vgpr_spill_count: 0
    .wavefront_size: 32
    .workgroup_processor_mode: 1
  - .args:
      - .address_space:  global
        .offset:         0
        .size:           8
        .value_kind:     global_buffer
      - .address_space:  global
        .offset:         8
        .size:           8
        .value_kind:     global_buffer
      - .offset:         16
        .size:           4
        .value_kind:     hidden_block_count_x
      - .offset:         20
        .size:           4
        .value_kind:     hidden_block_count_y
      - .offset:         24
        .size:           4
        .value_kind:     hidden_block_count_z
      - .offset:         28
        .size:           2
        .value_kind:     hidden_group_size_x
      - .offset:         30
        .size:           2
        .value_kind:     hidden_group_size_y
      - .offset:         32
        .size:           2
        .value_kind:     hidden_group_size_z
      - .offset:         34
        .size:           2
        .value_kind:     hidden_remainder_x
      - .offset:         36
        .size:           2
        .value_kind:     hidden_remainder_y
      - .offset:         38
        .size:           2
        .value_kind:     hidden_remainder_z
      - .offset:         56
        .size:           8
        .value_kind:     hidden_global_offset_x
      - .offset:         64
        .size:           8
        .value_kind:     hidden_global_offset_y
      - .offset:         72
        .size:           8
        .value_kind:     hidden_global_offset_z
      - .offset:         80
        .size:           2
        .value_kind:     hidden_grid_dims
    .group_segment_fixed_size: 480
    .kernarg_segment_align: 8
    .kernarg_segment_size: 272
    .language:       OpenCL C
    .language_version:
      - 2
      - 0
    .max_flat_workgroup_size: 60
    .name:           _Z26warp_inclusive_scan_kernelIN10test_utils16custom_test_typeIfEELj60ELj15EENSt9enable_ifIXsr10test_utilsE35device_test_enabled_for_warp_size_vIXT1_EEEvE4typeEPT_S7_
    .private_segment_fixed_size: 0
    .sgpr_count:     18
    .sgpr_spill_count: 0
    .symbol:         _Z26warp_inclusive_scan_kernelIN10test_utils16custom_test_typeIfEELj60ELj15EENSt9enable_ifIXsr10test_utilsE35device_test_enabled_for_warp_size_vIXT1_EEEvE4typeEPT_S7_.kd
    .uniform_work_group_size: 1
    .uses_dynamic_stack: false
    .vgpr_count:     8
    .vgpr_spill_count: 0
    .wavefront_size: 32
    .workgroup_processor_mode: 1
  - .args:
      - .address_space:  global
        .offset:         0
        .size:           8
        .value_kind:     global_buffer
      - .address_space:  global
        .offset:         8
        .size:           8
        .value_kind:     global_buffer
      - .offset:         16
        .size:           4
        .value_kind:     hidden_block_count_x
      - .offset:         20
        .size:           4
        .value_kind:     hidden_block_count_y
      - .offset:         24
        .size:           4
        .value_kind:     hidden_block_count_z
      - .offset:         28
        .size:           2
        .value_kind:     hidden_group_size_x
      - .offset:         30
        .size:           2
        .value_kind:     hidden_group_size_y
      - .offset:         32
        .size:           2
        .value_kind:     hidden_group_size_z
      - .offset:         34
        .size:           2
        .value_kind:     hidden_remainder_x
      - .offset:         36
        .size:           2
        .value_kind:     hidden_remainder_y
      - .offset:         38
        .size:           2
        .value_kind:     hidden_remainder_z
      - .offset:         56
        .size:           8
        .value_kind:     hidden_global_offset_x
      - .offset:         64
        .size:           8
        .value_kind:     hidden_global_offset_y
      - .offset:         72
        .size:           8
        .value_kind:     hidden_global_offset_z
      - .offset:         80
        .size:           2
        .value_kind:     hidden_grid_dims
    .group_segment_fixed_size: 224
    .kernarg_segment_align: 8
    .kernarg_segment_size: 272
    .language:       OpenCL C
    .language_version:
      - 2
      - 0
    .max_flat_workgroup_size: 28
    .name:           _Z26warp_inclusive_scan_kernelIN10test_utils16custom_test_typeIfEELj28ELj7EENSt9enable_ifIXsr10test_utilsE35device_test_enabled_for_warp_size_vIXT1_EEEvE4typeEPT_S7_
    .private_segment_fixed_size: 0
    .sgpr_count:     18
    .sgpr_spill_count: 0
    .symbol:         _Z26warp_inclusive_scan_kernelIN10test_utils16custom_test_typeIfEELj28ELj7EENSt9enable_ifIXsr10test_utilsE35device_test_enabled_for_warp_size_vIXT1_EEEvE4typeEPT_S7_.kd
    .uniform_work_group_size: 1
    .uses_dynamic_stack: false
    .vgpr_count:     8
    .vgpr_spill_count: 0
    .wavefront_size: 32
    .workgroup_processor_mode: 1
  - .args:
      - .address_space:  global
        .offset:         0
        .size:           8
        .value_kind:     global_buffer
      - .address_space:  global
        .offset:         8
        .size:           8
        .value_kind:     global_buffer
      - .offset:         16
        .size:           4
        .value_kind:     hidden_block_count_x
      - .offset:         20
        .size:           4
        .value_kind:     hidden_block_count_y
      - .offset:         24
        .size:           4
        .value_kind:     hidden_block_count_z
      - .offset:         28
        .size:           2
        .value_kind:     hidden_group_size_x
      - .offset:         30
        .size:           2
        .value_kind:     hidden_group_size_y
      - .offset:         32
        .size:           2
        .value_kind:     hidden_group_size_z
      - .offset:         34
        .size:           2
        .value_kind:     hidden_remainder_x
      - .offset:         36
        .size:           2
        .value_kind:     hidden_remainder_y
      - .offset:         38
        .size:           2
        .value_kind:     hidden_remainder_z
      - .offset:         56
        .size:           8
        .value_kind:     hidden_global_offset_x
      - .offset:         64
        .size:           8
        .value_kind:     hidden_global_offset_y
      - .offset:         72
        .size:           8
        .value_kind:     hidden_global_offset_z
      - .offset:         80
        .size:           2
        .value_kind:     hidden_grid_dims
    .group_segment_fixed_size: 504
    .kernarg_segment_align: 8
    .kernarg_segment_size: 272
    .language:       OpenCL C
    .language_version:
      - 2
      - 0
    .max_flat_workgroup_size: 63
    .name:           _Z26warp_inclusive_scan_kernelIN10test_utils16custom_test_typeIfEELj63ELj7EENSt9enable_ifIXsr10test_utilsE35device_test_enabled_for_warp_size_vIXT1_EEEvE4typeEPT_S7_
    .private_segment_fixed_size: 0
    .sgpr_count:     18
    .sgpr_spill_count: 0
    .symbol:         _Z26warp_inclusive_scan_kernelIN10test_utils16custom_test_typeIfEELj63ELj7EENSt9enable_ifIXsr10test_utilsE35device_test_enabled_for_warp_size_vIXT1_EEEvE4typeEPT_S7_.kd
    .uniform_work_group_size: 1
    .uses_dynamic_stack: false
    .vgpr_count:     8
    .vgpr_spill_count: 0
    .wavefront_size: 32
    .workgroup_processor_mode: 1
  - .args:
      - .address_space:  global
        .offset:         0
        .size:           8
        .value_kind:     global_buffer
      - .address_space:  global
        .offset:         8
        .size:           8
        .value_kind:     global_buffer
      - .offset:         16
        .size:           4
        .value_kind:     hidden_block_count_x
      - .offset:         20
        .size:           4
        .value_kind:     hidden_block_count_y
      - .offset:         24
        .size:           4
        .value_kind:     hidden_block_count_z
      - .offset:         28
        .size:           2
        .value_kind:     hidden_group_size_x
      - .offset:         30
        .size:           2
        .value_kind:     hidden_group_size_y
      - .offset:         32
        .size:           2
        .value_kind:     hidden_group_size_z
      - .offset:         34
        .size:           2
        .value_kind:     hidden_remainder_x
      - .offset:         36
        .size:           2
        .value_kind:     hidden_remainder_y
      - .offset:         38
        .size:           2
        .value_kind:     hidden_remainder_z
      - .offset:         56
        .size:           8
        .value_kind:     hidden_global_offset_x
      - .offset:         64
        .size:           8
        .value_kind:     hidden_global_offset_y
      - .offset:         72
        .size:           8
        .value_kind:     hidden_global_offset_z
      - .offset:         80
        .size:           2
        .value_kind:     hidden_grid_dims
    .group_segment_fixed_size: 240
    .kernarg_segment_align: 8
    .kernarg_segment_size: 272
    .language:       OpenCL C
    .language_version:
      - 2
      - 0
    .max_flat_workgroup_size: 30
    .name:           _Z26warp_inclusive_scan_kernelIN10test_utils16custom_test_typeIfEELj30ELj3EENSt9enable_ifIXsr10test_utilsE35device_test_enabled_for_warp_size_vIXT1_EEEvE4typeEPT_S7_
    .private_segment_fixed_size: 0
    .sgpr_count:     18
    .sgpr_spill_count: 0
    .symbol:         _Z26warp_inclusive_scan_kernelIN10test_utils16custom_test_typeIfEELj30ELj3EENSt9enable_ifIXsr10test_utilsE35device_test_enabled_for_warp_size_vIXT1_EEEvE4typeEPT_S7_.kd
    .uniform_work_group_size: 1
    .uses_dynamic_stack: false
    .vgpr_count:     8
    .vgpr_spill_count: 0
    .wavefront_size: 32
    .workgroup_processor_mode: 1
  - .args:
      - .address_space:  global
        .offset:         0
        .size:           8
        .value_kind:     global_buffer
      - .address_space:  global
        .offset:         8
        .size:           8
        .value_kind:     global_buffer
      - .offset:         16
        .size:           4
        .value_kind:     hidden_block_count_x
      - .offset:         20
        .size:           4
        .value_kind:     hidden_block_count_y
      - .offset:         24
        .size:           4
        .value_kind:     hidden_block_count_z
      - .offset:         28
        .size:           2
        .value_kind:     hidden_group_size_x
      - .offset:         30
        .size:           2
        .value_kind:     hidden_group_size_y
      - .offset:         32
        .size:           2
        .value_kind:     hidden_group_size_z
      - .offset:         34
        .size:           2
        .value_kind:     hidden_remainder_x
      - .offset:         36
        .size:           2
        .value_kind:     hidden_remainder_y
      - .offset:         38
        .size:           2
        .value_kind:     hidden_remainder_z
      - .offset:         56
        .size:           8
        .value_kind:     hidden_global_offset_x
      - .offset:         64
        .size:           8
        .value_kind:     hidden_global_offset_y
      - .offset:         72
        .size:           8
        .value_kind:     hidden_global_offset_z
      - .offset:         80
        .size:           2
        .value_kind:     hidden_grid_dims
    .group_segment_fixed_size: 504
    .kernarg_segment_align: 8
    .kernarg_segment_size: 272
    .language:       OpenCL C
    .language_version:
      - 2
      - 0
    .max_flat_workgroup_size: 63
    .name:           _Z26warp_inclusive_scan_kernelIN10test_utils16custom_test_typeIfEELj63ELj3EENSt9enable_ifIXsr10test_utilsE35device_test_enabled_for_warp_size_vIXT1_EEEvE4typeEPT_S7_
    .private_segment_fixed_size: 0
    .sgpr_count:     18
    .sgpr_spill_count: 0
    .symbol:         _Z26warp_inclusive_scan_kernelIN10test_utils16custom_test_typeIfEELj63ELj3EENSt9enable_ifIXsr10test_utilsE35device_test_enabled_for_warp_size_vIXT1_EEEvE4typeEPT_S7_.kd
    .uniform_work_group_size: 1
    .uses_dynamic_stack: false
    .vgpr_count:     8
    .vgpr_spill_count: 0
    .wavefront_size: 32
    .workgroup_processor_mode: 1
  - .args:
      - .address_space:  global
        .offset:         0
        .size:           8
        .value_kind:     global_buffer
      - .address_space:  global
        .offset:         8
        .size:           8
        .value_kind:     global_buffer
    .group_segment_fixed_size: 0
    .kernarg_segment_align: 8
    .kernarg_segment_size: 16
    .language:       OpenCL C
    .language_version:
      - 2
      - 0
    .max_flat_workgroup_size: 1
    .name:           _Z26warp_inclusive_scan_kernelIN10test_utils16custom_test_typeIiEELj1ELj61EENSt9enable_ifIXntsr10test_utilsE35device_test_enabled_for_warp_size_vIXT1_EEEvE4typeEPT_S7_
    .private_segment_fixed_size: 0
    .sgpr_count:     0
    .sgpr_spill_count: 0
    .symbol:         _Z26warp_inclusive_scan_kernelIN10test_utils16custom_test_typeIiEELj1ELj61EENSt9enable_ifIXntsr10test_utilsE35device_test_enabled_for_warp_size_vIXT1_EEEvE4typeEPT_S7_.kd
    .uniform_work_group_size: 1
    .uses_dynamic_stack: false
    .vgpr_count:     0
    .vgpr_spill_count: 0
    .wavefront_size: 32
    .workgroup_processor_mode: 1
  - .args:
      - .address_space:  global
        .offset:         0
        .size:           8
        .value_kind:     global_buffer
      - .address_space:  global
        .offset:         8
        .size:           8
        .value_kind:     global_buffer
    .group_segment_fixed_size: 0
    .kernarg_segment_align: 8
    .kernarg_segment_size: 16
    .language:       OpenCL C
    .language_version:
      - 2
      - 0
    .max_flat_workgroup_size: 61
    .name:           _Z26warp_inclusive_scan_kernelIN10test_utils16custom_test_typeIiEELj61ELj61EENSt9enable_ifIXntsr10test_utilsE35device_test_enabled_for_warp_size_vIXT1_EEEvE4typeEPT_S7_
    .private_segment_fixed_size: 0
    .sgpr_count:     0
    .sgpr_spill_count: 0
    .symbol:         _Z26warp_inclusive_scan_kernelIN10test_utils16custom_test_typeIiEELj61ELj61EENSt9enable_ifIXntsr10test_utilsE35device_test_enabled_for_warp_size_vIXT1_EEEvE4typeEPT_S7_.kd
    .uniform_work_group_size: 1
    .uses_dynamic_stack: false
    .vgpr_count:     0
    .vgpr_spill_count: 0
    .wavefront_size: 32
    .workgroup_processor_mode: 1
  - .args:
      - .address_space:  global
        .offset:         0
        .size:           8
        .value_kind:     global_buffer
      - .address_space:  global
        .offset:         8
        .size:           8
        .value_kind:     global_buffer
    .group_segment_fixed_size: 0
    .kernarg_segment_align: 8
    .kernarg_segment_size: 16
    .language:       OpenCL C
    .language_version:
      - 2
      - 0
    .max_flat_workgroup_size: 1
    .name:           _Z26warp_inclusive_scan_kernelIN10test_utils16custom_test_typeIiEELj1ELj37EENSt9enable_ifIXntsr10test_utilsE35device_test_enabled_for_warp_size_vIXT1_EEEvE4typeEPT_S7_
    .private_segment_fixed_size: 0
    .sgpr_count:     0
    .sgpr_spill_count: 0
    .symbol:         _Z26warp_inclusive_scan_kernelIN10test_utils16custom_test_typeIiEELj1ELj37EENSt9enable_ifIXntsr10test_utilsE35device_test_enabled_for_warp_size_vIXT1_EEEvE4typeEPT_S7_.kd
    .uniform_work_group_size: 1
    .uses_dynamic_stack: false
    .vgpr_count:     0
    .vgpr_spill_count: 0
    .wavefront_size: 32
    .workgroup_processor_mode: 1
  - .args:
      - .address_space:  global
        .offset:         0
        .size:           8
        .value_kind:     global_buffer
      - .address_space:  global
        .offset:         8
        .size:           8
        .value_kind:     global_buffer
    .group_segment_fixed_size: 0
    .kernarg_segment_align: 8
    .kernarg_segment_size: 16
    .language:       OpenCL C
    .language_version:
      - 2
      - 0
    .max_flat_workgroup_size: 37
    .name:           _Z26warp_inclusive_scan_kernelIN10test_utils16custom_test_typeIiEELj37ELj37EENSt9enable_ifIXntsr10test_utilsE35device_test_enabled_for_warp_size_vIXT1_EEEvE4typeEPT_S7_
    .private_segment_fixed_size: 0
    .sgpr_count:     0
    .sgpr_spill_count: 0
    .symbol:         _Z26warp_inclusive_scan_kernelIN10test_utils16custom_test_typeIiEELj37ELj37EENSt9enable_ifIXntsr10test_utilsE35device_test_enabled_for_warp_size_vIXT1_EEEvE4typeEPT_S7_.kd
    .uniform_work_group_size: 1
    .uses_dynamic_stack: false
    .vgpr_count:     0
    .vgpr_spill_count: 0
    .wavefront_size: 32
    .workgroup_processor_mode: 1
  - .args:
      - .address_space:  global
        .offset:         0
        .size:           8
        .value_kind:     global_buffer
      - .address_space:  global
        .offset:         8
        .size:           8
        .value_kind:     global_buffer
      - .offset:         16
        .size:           4
        .value_kind:     hidden_block_count_x
      - .offset:         20
        .size:           4
        .value_kind:     hidden_block_count_y
      - .offset:         24
        .size:           4
        .value_kind:     hidden_block_count_z
      - .offset:         28
        .size:           2
        .value_kind:     hidden_group_size_x
      - .offset:         30
        .size:           2
        .value_kind:     hidden_group_size_y
      - .offset:         32
        .size:           2
        .value_kind:     hidden_group_size_z
      - .offset:         34
        .size:           2
        .value_kind:     hidden_remainder_x
      - .offset:         36
        .size:           2
        .value_kind:     hidden_remainder_y
      - .offset:         38
        .size:           2
        .value_kind:     hidden_remainder_z
      - .offset:         56
        .size:           8
        .value_kind:     hidden_global_offset_x
      - .offset:         64
        .size:           8
        .value_kind:     hidden_global_offset_y
      - .offset:         72
        .size:           8
        .value_kind:     hidden_global_offset_z
      - .offset:         80
        .size:           2
        .value_kind:     hidden_grid_dims
    .group_segment_fixed_size: 240
    .kernarg_segment_align: 8
    .kernarg_segment_size: 272
    .language:       OpenCL C
    .language_version:
      - 2
      - 0
    .max_flat_workgroup_size: 30
    .name:           _Z26warp_inclusive_scan_kernelIN10test_utils16custom_test_typeIiEELj30ELj15EENSt9enable_ifIXsr10test_utilsE35device_test_enabled_for_warp_size_vIXT1_EEEvE4typeEPT_S7_
    .private_segment_fixed_size: 0
    .sgpr_count:     18
    .sgpr_spill_count: 0
    .symbol:         _Z26warp_inclusive_scan_kernelIN10test_utils16custom_test_typeIiEELj30ELj15EENSt9enable_ifIXsr10test_utilsE35device_test_enabled_for_warp_size_vIXT1_EEEvE4typeEPT_S7_.kd
    .uniform_work_group_size: 1
    .uses_dynamic_stack: false
    .vgpr_count:     8
    .vgpr_spill_count: 0
    .wavefront_size: 32
    .workgroup_processor_mode: 1
  - .args:
      - .address_space:  global
        .offset:         0
        .size:           8
        .value_kind:     global_buffer
      - .address_space:  global
        .offset:         8
        .size:           8
        .value_kind:     global_buffer
      - .offset:         16
        .size:           4
        .value_kind:     hidden_block_count_x
      - .offset:         20
        .size:           4
        .value_kind:     hidden_block_count_y
      - .offset:         24
        .size:           4
        .value_kind:     hidden_block_count_z
      - .offset:         28
        .size:           2
        .value_kind:     hidden_group_size_x
      - .offset:         30
        .size:           2
        .value_kind:     hidden_group_size_y
      - .offset:         32
        .size:           2
        .value_kind:     hidden_group_size_z
      - .offset:         34
        .size:           2
        .value_kind:     hidden_remainder_x
      - .offset:         36
        .size:           2
        .value_kind:     hidden_remainder_y
      - .offset:         38
        .size:           2
        .value_kind:     hidden_remainder_z
      - .offset:         56
        .size:           8
        .value_kind:     hidden_global_offset_x
      - .offset:         64
        .size:           8
        .value_kind:     hidden_global_offset_y
      - .offset:         72
        .size:           8
        .value_kind:     hidden_global_offset_z
      - .offset:         80
        .size:           2
        .value_kind:     hidden_grid_dims
    .group_segment_fixed_size: 480
    .kernarg_segment_align: 8
    .kernarg_segment_size: 272
    .language:       OpenCL C
    .language_version:
      - 2
      - 0
    .max_flat_workgroup_size: 60
    .name:           _Z26warp_inclusive_scan_kernelIN10test_utils16custom_test_typeIiEELj60ELj15EENSt9enable_ifIXsr10test_utilsE35device_test_enabled_for_warp_size_vIXT1_EEEvE4typeEPT_S7_
    .private_segment_fixed_size: 0
    .sgpr_count:     18
    .sgpr_spill_count: 0
    .symbol:         _Z26warp_inclusive_scan_kernelIN10test_utils16custom_test_typeIiEELj60ELj15EENSt9enable_ifIXsr10test_utilsE35device_test_enabled_for_warp_size_vIXT1_EEEvE4typeEPT_S7_.kd
    .uniform_work_group_size: 1
    .uses_dynamic_stack: false
    .vgpr_count:     8
    .vgpr_spill_count: 0
    .wavefront_size: 32
    .workgroup_processor_mode: 1
  - .args:
      - .address_space:  global
        .offset:         0
        .size:           8
        .value_kind:     global_buffer
      - .address_space:  global
        .offset:         8
        .size:           8
        .value_kind:     global_buffer
      - .offset:         16
        .size:           4
        .value_kind:     hidden_block_count_x
      - .offset:         20
        .size:           4
        .value_kind:     hidden_block_count_y
      - .offset:         24
        .size:           4
        .value_kind:     hidden_block_count_z
      - .offset:         28
        .size:           2
        .value_kind:     hidden_group_size_x
      - .offset:         30
        .size:           2
        .value_kind:     hidden_group_size_y
      - .offset:         32
        .size:           2
        .value_kind:     hidden_group_size_z
      - .offset:         34
        .size:           2
        .value_kind:     hidden_remainder_x
      - .offset:         36
        .size:           2
        .value_kind:     hidden_remainder_y
      - .offset:         38
        .size:           2
        .value_kind:     hidden_remainder_z
      - .offset:         56
        .size:           8
        .value_kind:     hidden_global_offset_x
      - .offset:         64
        .size:           8
        .value_kind:     hidden_global_offset_y
      - .offset:         72
        .size:           8
        .value_kind:     hidden_global_offset_z
      - .offset:         80
        .size:           2
        .value_kind:     hidden_grid_dims
    .group_segment_fixed_size: 224
    .kernarg_segment_align: 8
    .kernarg_segment_size: 272
    .language:       OpenCL C
    .language_version:
      - 2
      - 0
    .max_flat_workgroup_size: 28
    .name:           _Z26warp_inclusive_scan_kernelIN10test_utils16custom_test_typeIiEELj28ELj7EENSt9enable_ifIXsr10test_utilsE35device_test_enabled_for_warp_size_vIXT1_EEEvE4typeEPT_S7_
    .private_segment_fixed_size: 0
    .sgpr_count:     18
    .sgpr_spill_count: 0
    .symbol:         _Z26warp_inclusive_scan_kernelIN10test_utils16custom_test_typeIiEELj28ELj7EENSt9enable_ifIXsr10test_utilsE35device_test_enabled_for_warp_size_vIXT1_EEEvE4typeEPT_S7_.kd
    .uniform_work_group_size: 1
    .uses_dynamic_stack: false
    .vgpr_count:     8
    .vgpr_spill_count: 0
    .wavefront_size: 32
    .workgroup_processor_mode: 1
  - .args:
      - .address_space:  global
        .offset:         0
        .size:           8
        .value_kind:     global_buffer
      - .address_space:  global
        .offset:         8
        .size:           8
        .value_kind:     global_buffer
      - .offset:         16
        .size:           4
        .value_kind:     hidden_block_count_x
      - .offset:         20
        .size:           4
        .value_kind:     hidden_block_count_y
      - .offset:         24
        .size:           4
        .value_kind:     hidden_block_count_z
      - .offset:         28
        .size:           2
        .value_kind:     hidden_group_size_x
      - .offset:         30
        .size:           2
        .value_kind:     hidden_group_size_y
      - .offset:         32
        .size:           2
        .value_kind:     hidden_group_size_z
      - .offset:         34
        .size:           2
        .value_kind:     hidden_remainder_x
      - .offset:         36
        .size:           2
        .value_kind:     hidden_remainder_y
      - .offset:         38
        .size:           2
        .value_kind:     hidden_remainder_z
      - .offset:         56
        .size:           8
        .value_kind:     hidden_global_offset_x
      - .offset:         64
        .size:           8
        .value_kind:     hidden_global_offset_y
      - .offset:         72
        .size:           8
        .value_kind:     hidden_global_offset_z
      - .offset:         80
        .size:           2
        .value_kind:     hidden_grid_dims
    .group_segment_fixed_size: 504
    .kernarg_segment_align: 8
    .kernarg_segment_size: 272
    .language:       OpenCL C
    .language_version:
      - 2
      - 0
    .max_flat_workgroup_size: 63
    .name:           _Z26warp_inclusive_scan_kernelIN10test_utils16custom_test_typeIiEELj63ELj7EENSt9enable_ifIXsr10test_utilsE35device_test_enabled_for_warp_size_vIXT1_EEEvE4typeEPT_S7_
    .private_segment_fixed_size: 0
    .sgpr_count:     18
    .sgpr_spill_count: 0
    .symbol:         _Z26warp_inclusive_scan_kernelIN10test_utils16custom_test_typeIiEELj63ELj7EENSt9enable_ifIXsr10test_utilsE35device_test_enabled_for_warp_size_vIXT1_EEEvE4typeEPT_S7_.kd
    .uniform_work_group_size: 1
    .uses_dynamic_stack: false
    .vgpr_count:     8
    .vgpr_spill_count: 0
    .wavefront_size: 32
    .workgroup_processor_mode: 1
  - .args:
      - .address_space:  global
        .offset:         0
        .size:           8
        .value_kind:     global_buffer
      - .address_space:  global
        .offset:         8
        .size:           8
        .value_kind:     global_buffer
      - .offset:         16
        .size:           4
        .value_kind:     hidden_block_count_x
      - .offset:         20
        .size:           4
        .value_kind:     hidden_block_count_y
      - .offset:         24
        .size:           4
        .value_kind:     hidden_block_count_z
      - .offset:         28
        .size:           2
        .value_kind:     hidden_group_size_x
      - .offset:         30
        .size:           2
        .value_kind:     hidden_group_size_y
      - .offset:         32
        .size:           2
        .value_kind:     hidden_group_size_z
      - .offset:         34
        .size:           2
        .value_kind:     hidden_remainder_x
      - .offset:         36
        .size:           2
        .value_kind:     hidden_remainder_y
      - .offset:         38
        .size:           2
        .value_kind:     hidden_remainder_z
      - .offset:         56
        .size:           8
        .value_kind:     hidden_global_offset_x
      - .offset:         64
        .size:           8
        .value_kind:     hidden_global_offset_y
      - .offset:         72
        .size:           8
        .value_kind:     hidden_global_offset_z
      - .offset:         80
        .size:           2
        .value_kind:     hidden_grid_dims
    .group_segment_fixed_size: 240
    .kernarg_segment_align: 8
    .kernarg_segment_size: 272
    .language:       OpenCL C
    .language_version:
      - 2
      - 0
    .max_flat_workgroup_size: 30
    .name:           _Z26warp_inclusive_scan_kernelIN10test_utils16custom_test_typeIiEELj30ELj3EENSt9enable_ifIXsr10test_utilsE35device_test_enabled_for_warp_size_vIXT1_EEEvE4typeEPT_S7_
    .private_segment_fixed_size: 0
    .sgpr_count:     18
    .sgpr_spill_count: 0
    .symbol:         _Z26warp_inclusive_scan_kernelIN10test_utils16custom_test_typeIiEELj30ELj3EENSt9enable_ifIXsr10test_utilsE35device_test_enabled_for_warp_size_vIXT1_EEEvE4typeEPT_S7_.kd
    .uniform_work_group_size: 1
    .uses_dynamic_stack: false
    .vgpr_count:     8
    .vgpr_spill_count: 0
    .wavefront_size: 32
    .workgroup_processor_mode: 1
  - .args:
      - .address_space:  global
        .offset:         0
        .size:           8
        .value_kind:     global_buffer
      - .address_space:  global
        .offset:         8
        .size:           8
        .value_kind:     global_buffer
      - .offset:         16
        .size:           4
        .value_kind:     hidden_block_count_x
      - .offset:         20
        .size:           4
        .value_kind:     hidden_block_count_y
      - .offset:         24
        .size:           4
        .value_kind:     hidden_block_count_z
      - .offset:         28
        .size:           2
        .value_kind:     hidden_group_size_x
      - .offset:         30
        .size:           2
        .value_kind:     hidden_group_size_y
      - .offset:         32
        .size:           2
        .value_kind:     hidden_group_size_z
      - .offset:         34
        .size:           2
        .value_kind:     hidden_remainder_x
      - .offset:         36
        .size:           2
        .value_kind:     hidden_remainder_y
      - .offset:         38
        .size:           2
        .value_kind:     hidden_remainder_z
      - .offset:         56
        .size:           8
        .value_kind:     hidden_global_offset_x
      - .offset:         64
        .size:           8
        .value_kind:     hidden_global_offset_y
      - .offset:         72
        .size:           8
        .value_kind:     hidden_global_offset_z
      - .offset:         80
        .size:           2
        .value_kind:     hidden_grid_dims
    .group_segment_fixed_size: 504
    .kernarg_segment_align: 8
    .kernarg_segment_size: 272
    .language:       OpenCL C
    .language_version:
      - 2
      - 0
    .max_flat_workgroup_size: 63
    .name:           _Z26warp_inclusive_scan_kernelIN10test_utils16custom_test_typeIiEELj63ELj3EENSt9enable_ifIXsr10test_utilsE35device_test_enabled_for_warp_size_vIXT1_EEEvE4typeEPT_S7_
    .private_segment_fixed_size: 0
    .sgpr_count:     18
    .sgpr_spill_count: 0
    .symbol:         _Z26warp_inclusive_scan_kernelIN10test_utils16custom_test_typeIiEELj63ELj3EENSt9enable_ifIXsr10test_utilsE35device_test_enabled_for_warp_size_vIXT1_EEEvE4typeEPT_S7_.kd
    .uniform_work_group_size: 1
    .uses_dynamic_stack: false
    .vgpr_count:     8
    .vgpr_spill_count: 0
    .wavefront_size: 32
    .workgroup_processor_mode: 1
  - .args:
      - .address_space:  global
        .offset:         0
        .size:           8
        .value_kind:     global_buffer
      - .address_space:  global
        .offset:         8
        .size:           8
        .value_kind:     global_buffer
    .group_segment_fixed_size: 0
    .kernarg_segment_align: 8
    .kernarg_segment_size: 16
    .language:       OpenCL C
    .language_version:
      - 2
      - 0
    .max_flat_workgroup_size: 256
    .name:           _Z26warp_inclusive_scan_kernelIN10test_utils16custom_test_typeI12hip_bfloat16EELj256ELj64EENSt9enable_ifIXntsr10test_utilsE35device_test_enabled_for_warp_size_vIXT1_EEEvE4typeEPT_S8_
    .private_segment_fixed_size: 0
    .sgpr_count:     0
    .sgpr_spill_count: 0
    .symbol:         _Z26warp_inclusive_scan_kernelIN10test_utils16custom_test_typeI12hip_bfloat16EELj256ELj64EENSt9enable_ifIXntsr10test_utilsE35device_test_enabled_for_warp_size_vIXT1_EEEvE4typeEPT_S8_.kd
    .uniform_work_group_size: 1
    .uses_dynamic_stack: false
    .vgpr_count:     0
    .vgpr_spill_count: 0
    .wavefront_size: 32
    .workgroup_processor_mode: 1
  - .args:
      - .address_space:  global
        .offset:         0
        .size:           8
        .value_kind:     global_buffer
      - .address_space:  global
        .offset:         8
        .size:           8
        .value_kind:     global_buffer
      - .offset:         16
        .size:           4
        .value_kind:     hidden_block_count_x
      - .offset:         20
        .size:           4
        .value_kind:     hidden_block_count_y
      - .offset:         24
        .size:           4
        .value_kind:     hidden_block_count_z
      - .offset:         28
        .size:           2
        .value_kind:     hidden_group_size_x
      - .offset:         30
        .size:           2
        .value_kind:     hidden_group_size_y
      - .offset:         32
        .size:           2
        .value_kind:     hidden_group_size_z
      - .offset:         34
        .size:           2
        .value_kind:     hidden_remainder_x
      - .offset:         36
        .size:           2
        .value_kind:     hidden_remainder_y
      - .offset:         38
        .size:           2
        .value_kind:     hidden_remainder_z
      - .offset:         56
        .size:           8
        .value_kind:     hidden_global_offset_x
      - .offset:         64
        .size:           8
        .value_kind:     hidden_global_offset_y
      - .offset:         72
        .size:           8
        .value_kind:     hidden_global_offset_z
      - .offset:         80
        .size:           2
        .value_kind:     hidden_grid_dims
    .group_segment_fixed_size: 0
    .kernarg_segment_align: 8
    .kernarg_segment_size: 272
    .language:       OpenCL C
    .language_version:
      - 2
      - 0
    .max_flat_workgroup_size: 128
    .name:           _Z26warp_inclusive_scan_kernelIN10test_utils16custom_test_typeI12hip_bfloat16EELj128ELj32EENSt9enable_ifIXsr10test_utilsE35device_test_enabled_for_warp_size_vIXT1_EEEvE4typeEPT_S8_
    .private_segment_fixed_size: 0
    .sgpr_count:     18
    .sgpr_spill_count: 0
    .symbol:         _Z26warp_inclusive_scan_kernelIN10test_utils16custom_test_typeI12hip_bfloat16EELj128ELj32EENSt9enable_ifIXsr10test_utilsE35device_test_enabled_for_warp_size_vIXT1_EEEvE4typeEPT_S8_.kd
    .uniform_work_group_size: 1
    .uses_dynamic_stack: false
    .vgpr_count:     13
    .vgpr_spill_count: 0
    .wavefront_size: 32
    .workgroup_processor_mode: 1
  - .args:
      - .address_space:  global
        .offset:         0
        .size:           8
        .value_kind:     global_buffer
      - .address_space:  global
        .offset:         8
        .size:           8
        .value_kind:     global_buffer
      - .offset:         16
        .size:           4
        .value_kind:     hidden_block_count_x
      - .offset:         20
        .size:           4
        .value_kind:     hidden_block_count_y
      - .offset:         24
        .size:           4
        .value_kind:     hidden_block_count_z
      - .offset:         28
        .size:           2
        .value_kind:     hidden_group_size_x
      - .offset:         30
        .size:           2
        .value_kind:     hidden_group_size_y
      - .offset:         32
        .size:           2
        .value_kind:     hidden_group_size_z
      - .offset:         34
        .size:           2
        .value_kind:     hidden_remainder_x
      - .offset:         36
        .size:           2
        .value_kind:     hidden_remainder_y
      - .offset:         38
        .size:           2
        .value_kind:     hidden_remainder_z
      - .offset:         56
        .size:           8
        .value_kind:     hidden_global_offset_x
      - .offset:         64
        .size:           8
        .value_kind:     hidden_global_offset_y
      - .offset:         72
        .size:           8
        .value_kind:     hidden_global_offset_z
      - .offset:         80
        .size:           2
        .value_kind:     hidden_grid_dims
    .group_segment_fixed_size: 0
    .kernarg_segment_align: 8
    .kernarg_segment_size: 272
    .language:       OpenCL C
    .language_version:
      - 2
      - 0
    .max_flat_workgroup_size: 64
    .name:           _Z26warp_inclusive_scan_kernelIN10test_utils16custom_test_typeI12hip_bfloat16EELj64ELj16EENSt9enable_ifIXsr10test_utilsE35device_test_enabled_for_warp_size_vIXT1_EEEvE4typeEPT_S8_
    .private_segment_fixed_size: 0
    .sgpr_count:     18
    .sgpr_spill_count: 0
    .symbol:         _Z26warp_inclusive_scan_kernelIN10test_utils16custom_test_typeI12hip_bfloat16EELj64ELj16EENSt9enable_ifIXsr10test_utilsE35device_test_enabled_for_warp_size_vIXT1_EEEvE4typeEPT_S8_.kd
    .uniform_work_group_size: 1
    .uses_dynamic_stack: false
    .vgpr_count:     12
    .vgpr_spill_count: 0
    .wavefront_size: 32
    .workgroup_processor_mode: 1
  - .args:
      - .address_space:  global
        .offset:         0
        .size:           8
        .value_kind:     global_buffer
      - .address_space:  global
        .offset:         8
        .size:           8
        .value_kind:     global_buffer
      - .offset:         16
        .size:           4
        .value_kind:     hidden_block_count_x
      - .offset:         20
        .size:           4
        .value_kind:     hidden_block_count_y
      - .offset:         24
        .size:           4
        .value_kind:     hidden_block_count_z
      - .offset:         28
        .size:           2
        .value_kind:     hidden_group_size_x
      - .offset:         30
        .size:           2
        .value_kind:     hidden_group_size_y
      - .offset:         32
        .size:           2
        .value_kind:     hidden_group_size_z
      - .offset:         34
        .size:           2
        .value_kind:     hidden_remainder_x
      - .offset:         36
        .size:           2
        .value_kind:     hidden_remainder_y
      - .offset:         38
        .size:           2
        .value_kind:     hidden_remainder_z
      - .offset:         56
        .size:           8
        .value_kind:     hidden_global_offset_x
      - .offset:         64
        .size:           8
        .value_kind:     hidden_global_offset_y
      - .offset:         72
        .size:           8
        .value_kind:     hidden_global_offset_z
      - .offset:         80
        .size:           2
        .value_kind:     hidden_grid_dims
    .group_segment_fixed_size: 0
    .kernarg_segment_align: 8
    .kernarg_segment_size: 272
    .language:       OpenCL C
    .language_version:
      - 2
      - 0
    .max_flat_workgroup_size: 32
    .name:           _Z26warp_inclusive_scan_kernelIN10test_utils16custom_test_typeI12hip_bfloat16EELj32ELj8EENSt9enable_ifIXsr10test_utilsE35device_test_enabled_for_warp_size_vIXT1_EEEvE4typeEPT_S8_
    .private_segment_fixed_size: 0
    .sgpr_count:     18
    .sgpr_spill_count: 0
    .symbol:         _Z26warp_inclusive_scan_kernelIN10test_utils16custom_test_typeI12hip_bfloat16EELj32ELj8EENSt9enable_ifIXsr10test_utilsE35device_test_enabled_for_warp_size_vIXT1_EEEvE4typeEPT_S8_.kd
    .uniform_work_group_size: 1
    .uses_dynamic_stack: false
    .vgpr_count:     12
    .vgpr_spill_count: 0
    .wavefront_size: 32
    .workgroup_processor_mode: 1
  - .args:
      - .address_space:  global
        .offset:         0
        .size:           8
        .value_kind:     global_buffer
      - .address_space:  global
        .offset:         8
        .size:           8
        .value_kind:     global_buffer
      - .offset:         16
        .size:           4
        .value_kind:     hidden_block_count_x
      - .offset:         20
        .size:           4
        .value_kind:     hidden_block_count_y
      - .offset:         24
        .size:           4
        .value_kind:     hidden_block_count_z
      - .offset:         28
        .size:           2
        .value_kind:     hidden_group_size_x
      - .offset:         30
        .size:           2
        .value_kind:     hidden_group_size_y
      - .offset:         32
        .size:           2
        .value_kind:     hidden_group_size_z
      - .offset:         34
        .size:           2
        .value_kind:     hidden_remainder_x
      - .offset:         36
        .size:           2
        .value_kind:     hidden_remainder_y
      - .offset:         38
        .size:           2
        .value_kind:     hidden_remainder_z
      - .offset:         56
        .size:           8
        .value_kind:     hidden_global_offset_x
      - .offset:         64
        .size:           8
        .value_kind:     hidden_global_offset_y
      - .offset:         72
        .size:           8
        .value_kind:     hidden_global_offset_z
      - .offset:         80
        .size:           2
        .value_kind:     hidden_grid_dims
    .group_segment_fixed_size: 0
    .kernarg_segment_align: 8
    .kernarg_segment_size: 272
    .language:       OpenCL C
    .language_version:
      - 2
      - 0
    .max_flat_workgroup_size: 64
    .name:           _Z26warp_inclusive_scan_kernelIN10test_utils16custom_test_typeI12hip_bfloat16EELj64ELj8EENSt9enable_ifIXsr10test_utilsE35device_test_enabled_for_warp_size_vIXT1_EEEvE4typeEPT_S8_
    .private_segment_fixed_size: 0
    .sgpr_count:     18
    .sgpr_spill_count: 0
    .symbol:         _Z26warp_inclusive_scan_kernelIN10test_utils16custom_test_typeI12hip_bfloat16EELj64ELj8EENSt9enable_ifIXsr10test_utilsE35device_test_enabled_for_warp_size_vIXT1_EEEvE4typeEPT_S8_.kd
    .uniform_work_group_size: 1
    .uses_dynamic_stack: false
    .vgpr_count:     12
    .vgpr_spill_count: 0
    .wavefront_size: 32
    .workgroup_processor_mode: 1
  - .args:
      - .address_space:  global
        .offset:         0
        .size:           8
        .value_kind:     global_buffer
      - .address_space:  global
        .offset:         8
        .size:           8
        .value_kind:     global_buffer
      - .offset:         16
        .size:           4
        .value_kind:     hidden_block_count_x
      - .offset:         20
        .size:           4
        .value_kind:     hidden_block_count_y
      - .offset:         24
        .size:           4
        .value_kind:     hidden_block_count_z
      - .offset:         28
        .size:           2
        .value_kind:     hidden_group_size_x
      - .offset:         30
        .size:           2
        .value_kind:     hidden_group_size_y
      - .offset:         32
        .size:           2
        .value_kind:     hidden_group_size_z
      - .offset:         34
        .size:           2
        .value_kind:     hidden_remainder_x
      - .offset:         36
        .size:           2
        .value_kind:     hidden_remainder_y
      - .offset:         38
        .size:           2
        .value_kind:     hidden_remainder_z
      - .offset:         56
        .size:           8
        .value_kind:     hidden_global_offset_x
      - .offset:         64
        .size:           8
        .value_kind:     hidden_global_offset_y
      - .offset:         72
        .size:           8
        .value_kind:     hidden_global_offset_z
      - .offset:         80
        .size:           2
        .value_kind:     hidden_grid_dims
    .group_segment_fixed_size: 0
    .kernarg_segment_align: 8
    .kernarg_segment_size: 272
    .language:       OpenCL C
    .language_version:
      - 2
      - 0
    .max_flat_workgroup_size: 32
    .name:           _Z26warp_inclusive_scan_kernelIN10test_utils16custom_test_typeI12hip_bfloat16EELj32ELj4EENSt9enable_ifIXsr10test_utilsE35device_test_enabled_for_warp_size_vIXT1_EEEvE4typeEPT_S8_
    .private_segment_fixed_size: 0
    .sgpr_count:     18
    .sgpr_spill_count: 0
    .symbol:         _Z26warp_inclusive_scan_kernelIN10test_utils16custom_test_typeI12hip_bfloat16EELj32ELj4EENSt9enable_ifIXsr10test_utilsE35device_test_enabled_for_warp_size_vIXT1_EEEvE4typeEPT_S8_.kd
    .uniform_work_group_size: 1
    .uses_dynamic_stack: false
    .vgpr_count:     10
    .vgpr_spill_count: 0
    .wavefront_size: 32
    .workgroup_processor_mode: 1
  - .args:
      - .address_space:  global
        .offset:         0
        .size:           8
        .value_kind:     global_buffer
      - .address_space:  global
        .offset:         8
        .size:           8
        .value_kind:     global_buffer
      - .offset:         16
        .size:           4
        .value_kind:     hidden_block_count_x
      - .offset:         20
        .size:           4
        .value_kind:     hidden_block_count_y
      - .offset:         24
        .size:           4
        .value_kind:     hidden_block_count_z
      - .offset:         28
        .size:           2
        .value_kind:     hidden_group_size_x
      - .offset:         30
        .size:           2
        .value_kind:     hidden_group_size_y
      - .offset:         32
        .size:           2
        .value_kind:     hidden_group_size_z
      - .offset:         34
        .size:           2
        .value_kind:     hidden_remainder_x
      - .offset:         36
        .size:           2
        .value_kind:     hidden_remainder_y
      - .offset:         38
        .size:           2
        .value_kind:     hidden_remainder_z
      - .offset:         56
        .size:           8
        .value_kind:     hidden_global_offset_x
      - .offset:         64
        .size:           8
        .value_kind:     hidden_global_offset_y
      - .offset:         72
        .size:           8
        .value_kind:     hidden_global_offset_z
      - .offset:         80
        .size:           2
        .value_kind:     hidden_grid_dims
    .group_segment_fixed_size: 0
    .kernarg_segment_align: 8
    .kernarg_segment_size: 272
    .language:       OpenCL C
    .language_version:
      - 2
      - 0
    .max_flat_workgroup_size: 64
    .name:           _Z26warp_inclusive_scan_kernelIN10test_utils16custom_test_typeI12hip_bfloat16EELj64ELj4EENSt9enable_ifIXsr10test_utilsE35device_test_enabled_for_warp_size_vIXT1_EEEvE4typeEPT_S8_
    .private_segment_fixed_size: 0
    .sgpr_count:     18
    .sgpr_spill_count: 0
    .symbol:         _Z26warp_inclusive_scan_kernelIN10test_utils16custom_test_typeI12hip_bfloat16EELj64ELj4EENSt9enable_ifIXsr10test_utilsE35device_test_enabled_for_warp_size_vIXT1_EEEvE4typeEPT_S8_.kd
    .uniform_work_group_size: 1
    .uses_dynamic_stack: false
    .vgpr_count:     10
    .vgpr_spill_count: 0
    .wavefront_size: 32
    .workgroup_processor_mode: 1
  - .args:
      - .address_space:  global
        .offset:         0
        .size:           8
        .value_kind:     global_buffer
      - .address_space:  global
        .offset:         8
        .size:           8
        .value_kind:     global_buffer
      - .offset:         16
        .size:           4
        .value_kind:     hidden_block_count_x
      - .offset:         20
        .size:           4
        .value_kind:     hidden_block_count_y
      - .offset:         24
        .size:           4
        .value_kind:     hidden_block_count_z
      - .offset:         28
        .size:           2
        .value_kind:     hidden_group_size_x
      - .offset:         30
        .size:           2
        .value_kind:     hidden_group_size_y
      - .offset:         32
        .size:           2
        .value_kind:     hidden_group_size_z
      - .offset:         34
        .size:           2
        .value_kind:     hidden_remainder_x
      - .offset:         36
        .size:           2
        .value_kind:     hidden_remainder_y
      - .offset:         38
        .size:           2
        .value_kind:     hidden_remainder_z
      - .offset:         56
        .size:           8
        .value_kind:     hidden_global_offset_x
      - .offset:         64
        .size:           8
        .value_kind:     hidden_global_offset_y
      - .offset:         72
        .size:           8
        .value_kind:     hidden_global_offset_z
      - .offset:         80
        .size:           2
        .value_kind:     hidden_grid_dims
    .group_segment_fixed_size: 0
    .kernarg_segment_align: 8
    .kernarg_segment_size: 272
    .language:       OpenCL C
    .language_version:
      - 2
      - 0
    .max_flat_workgroup_size: 32
    .name:           _Z26warp_inclusive_scan_kernelIN10test_utils16custom_test_typeI12hip_bfloat16EELj32ELj2EENSt9enable_ifIXsr10test_utilsE35device_test_enabled_for_warp_size_vIXT1_EEEvE4typeEPT_S8_
    .private_segment_fixed_size: 0
    .sgpr_count:     18
    .sgpr_spill_count: 0
    .symbol:         _Z26warp_inclusive_scan_kernelIN10test_utils16custom_test_typeI12hip_bfloat16EELj32ELj2EENSt9enable_ifIXsr10test_utilsE35device_test_enabled_for_warp_size_vIXT1_EEEvE4typeEPT_S8_.kd
    .uniform_work_group_size: 1
    .uses_dynamic_stack: false
    .vgpr_count:     7
    .vgpr_spill_count: 0
    .wavefront_size: 32
    .workgroup_processor_mode: 1
  - .args:
      - .address_space:  global
        .offset:         0
        .size:           8
        .value_kind:     global_buffer
      - .address_space:  global
        .offset:         8
        .size:           8
        .value_kind:     global_buffer
      - .offset:         16
        .size:           4
        .value_kind:     hidden_block_count_x
      - .offset:         20
        .size:           4
        .value_kind:     hidden_block_count_y
      - .offset:         24
        .size:           4
        .value_kind:     hidden_block_count_z
      - .offset:         28
        .size:           2
        .value_kind:     hidden_group_size_x
      - .offset:         30
        .size:           2
        .value_kind:     hidden_group_size_y
      - .offset:         32
        .size:           2
        .value_kind:     hidden_group_size_z
      - .offset:         34
        .size:           2
        .value_kind:     hidden_remainder_x
      - .offset:         36
        .size:           2
        .value_kind:     hidden_remainder_y
      - .offset:         38
        .size:           2
        .value_kind:     hidden_remainder_z
      - .offset:         56
        .size:           8
        .value_kind:     hidden_global_offset_x
      - .offset:         64
        .size:           8
        .value_kind:     hidden_global_offset_y
      - .offset:         72
        .size:           8
        .value_kind:     hidden_global_offset_z
      - .offset:         80
        .size:           2
        .value_kind:     hidden_grid_dims
    .group_segment_fixed_size: 0
    .kernarg_segment_align: 8
    .kernarg_segment_size: 272
    .language:       OpenCL C
    .language_version:
      - 2
      - 0
    .max_flat_workgroup_size: 64
    .name:           _Z26warp_inclusive_scan_kernelIN10test_utils16custom_test_typeI12hip_bfloat16EELj64ELj2EENSt9enable_ifIXsr10test_utilsE35device_test_enabled_for_warp_size_vIXT1_EEEvE4typeEPT_S8_
    .private_segment_fixed_size: 0
    .sgpr_count:     18
    .sgpr_spill_count: 0
    .symbol:         _Z26warp_inclusive_scan_kernelIN10test_utils16custom_test_typeI12hip_bfloat16EELj64ELj2EENSt9enable_ifIXsr10test_utilsE35device_test_enabled_for_warp_size_vIXT1_EEEvE4typeEPT_S8_.kd
    .uniform_work_group_size: 1
    .uses_dynamic_stack: false
    .vgpr_count:     7
    .vgpr_spill_count: 0
    .wavefront_size: 32
    .workgroup_processor_mode: 1
  - .args:
      - .address_space:  global
        .offset:         0
        .size:           8
        .value_kind:     global_buffer
      - .address_space:  global
        .offset:         8
        .size:           8
        .value_kind:     global_buffer
    .group_segment_fixed_size: 0
    .kernarg_segment_align: 8
    .kernarg_segment_size: 16
    .language:       OpenCL C
    .language_version:
      - 2
      - 0
    .max_flat_workgroup_size: 256
    .name:           _Z26warp_inclusive_scan_kernelIN10test_utils16custom_test_typeI6__halfEELj256ELj64EENSt9enable_ifIXntsr10test_utilsE35device_test_enabled_for_warp_size_vIXT1_EEEvE4typeEPT_S8_
    .private_segment_fixed_size: 0
    .sgpr_count:     0
    .sgpr_spill_count: 0
    .symbol:         _Z26warp_inclusive_scan_kernelIN10test_utils16custom_test_typeI6__halfEELj256ELj64EENSt9enable_ifIXntsr10test_utilsE35device_test_enabled_for_warp_size_vIXT1_EEEvE4typeEPT_S8_.kd
    .uniform_work_group_size: 1
    .uses_dynamic_stack: false
    .vgpr_count:     0
    .vgpr_spill_count: 0
    .wavefront_size: 32
    .workgroup_processor_mode: 1
  - .args:
      - .address_space:  global
        .offset:         0
        .size:           8
        .value_kind:     global_buffer
      - .address_space:  global
        .offset:         8
        .size:           8
        .value_kind:     global_buffer
      - .offset:         16
        .size:           4
        .value_kind:     hidden_block_count_x
      - .offset:         20
        .size:           4
        .value_kind:     hidden_block_count_y
      - .offset:         24
        .size:           4
        .value_kind:     hidden_block_count_z
      - .offset:         28
        .size:           2
        .value_kind:     hidden_group_size_x
      - .offset:         30
        .size:           2
        .value_kind:     hidden_group_size_y
      - .offset:         32
        .size:           2
        .value_kind:     hidden_group_size_z
      - .offset:         34
        .size:           2
        .value_kind:     hidden_remainder_x
      - .offset:         36
        .size:           2
        .value_kind:     hidden_remainder_y
      - .offset:         38
        .size:           2
        .value_kind:     hidden_remainder_z
      - .offset:         56
        .size:           8
        .value_kind:     hidden_global_offset_x
      - .offset:         64
        .size:           8
        .value_kind:     hidden_global_offset_y
      - .offset:         72
        .size:           8
        .value_kind:     hidden_global_offset_z
      - .offset:         80
        .size:           2
        .value_kind:     hidden_grid_dims
    .group_segment_fixed_size: 0
    .kernarg_segment_align: 8
    .kernarg_segment_size: 272
    .language:       OpenCL C
    .language_version:
      - 2
      - 0
    .max_flat_workgroup_size: 128
    .name:           _Z26warp_inclusive_scan_kernelIN10test_utils16custom_test_typeI6__halfEELj128ELj32EENSt9enable_ifIXsr10test_utilsE35device_test_enabled_for_warp_size_vIXT1_EEEvE4typeEPT_S8_
    .private_segment_fixed_size: 0
    .sgpr_count:     18
    .sgpr_spill_count: 0
    .symbol:         _Z26warp_inclusive_scan_kernelIN10test_utils16custom_test_typeI6__halfEELj128ELj32EENSt9enable_ifIXsr10test_utilsE35device_test_enabled_for_warp_size_vIXT1_EEEvE4typeEPT_S8_.kd
    .uniform_work_group_size: 1
    .uses_dynamic_stack: false
    .vgpr_count:     9
    .vgpr_spill_count: 0
    .wavefront_size: 32
    .workgroup_processor_mode: 1
  - .args:
      - .address_space:  global
        .offset:         0
        .size:           8
        .value_kind:     global_buffer
      - .address_space:  global
        .offset:         8
        .size:           8
        .value_kind:     global_buffer
      - .offset:         16
        .size:           4
        .value_kind:     hidden_block_count_x
      - .offset:         20
        .size:           4
        .value_kind:     hidden_block_count_y
      - .offset:         24
        .size:           4
        .value_kind:     hidden_block_count_z
      - .offset:         28
        .size:           2
        .value_kind:     hidden_group_size_x
      - .offset:         30
        .size:           2
        .value_kind:     hidden_group_size_y
      - .offset:         32
        .size:           2
        .value_kind:     hidden_group_size_z
      - .offset:         34
        .size:           2
        .value_kind:     hidden_remainder_x
      - .offset:         36
        .size:           2
        .value_kind:     hidden_remainder_y
      - .offset:         38
        .size:           2
        .value_kind:     hidden_remainder_z
      - .offset:         56
        .size:           8
        .value_kind:     hidden_global_offset_x
      - .offset:         64
        .size:           8
        .value_kind:     hidden_global_offset_y
      - .offset:         72
        .size:           8
        .value_kind:     hidden_global_offset_z
      - .offset:         80
        .size:           2
        .value_kind:     hidden_grid_dims
    .group_segment_fixed_size: 0
    .kernarg_segment_align: 8
    .kernarg_segment_size: 272
    .language:       OpenCL C
    .language_version:
      - 2
      - 0
    .max_flat_workgroup_size: 64
    .name:           _Z26warp_inclusive_scan_kernelIN10test_utils16custom_test_typeI6__halfEELj64ELj16EENSt9enable_ifIXsr10test_utilsE35device_test_enabled_for_warp_size_vIXT1_EEEvE4typeEPT_S8_
    .private_segment_fixed_size: 0
    .sgpr_count:     18
    .sgpr_spill_count: 0
    .symbol:         _Z26warp_inclusive_scan_kernelIN10test_utils16custom_test_typeI6__halfEELj64ELj16EENSt9enable_ifIXsr10test_utilsE35device_test_enabled_for_warp_size_vIXT1_EEEvE4typeEPT_S8_.kd
    .uniform_work_group_size: 1
    .uses_dynamic_stack: false
    .vgpr_count:     7
    .vgpr_spill_count: 0
    .wavefront_size: 32
    .workgroup_processor_mode: 1
  - .args:
      - .address_space:  global
        .offset:         0
        .size:           8
        .value_kind:     global_buffer
      - .address_space:  global
        .offset:         8
        .size:           8
        .value_kind:     global_buffer
      - .offset:         16
        .size:           4
        .value_kind:     hidden_block_count_x
      - .offset:         20
        .size:           4
        .value_kind:     hidden_block_count_y
      - .offset:         24
        .size:           4
        .value_kind:     hidden_block_count_z
      - .offset:         28
        .size:           2
        .value_kind:     hidden_group_size_x
      - .offset:         30
        .size:           2
        .value_kind:     hidden_group_size_y
      - .offset:         32
        .size:           2
        .value_kind:     hidden_group_size_z
      - .offset:         34
        .size:           2
        .value_kind:     hidden_remainder_x
      - .offset:         36
        .size:           2
        .value_kind:     hidden_remainder_y
      - .offset:         38
        .size:           2
        .value_kind:     hidden_remainder_z
      - .offset:         56
        .size:           8
        .value_kind:     hidden_global_offset_x
      - .offset:         64
        .size:           8
        .value_kind:     hidden_global_offset_y
      - .offset:         72
        .size:           8
        .value_kind:     hidden_global_offset_z
      - .offset:         80
        .size:           2
        .value_kind:     hidden_grid_dims
    .group_segment_fixed_size: 0
    .kernarg_segment_align: 8
    .kernarg_segment_size: 272
    .language:       OpenCL C
    .language_version:
      - 2
      - 0
    .max_flat_workgroup_size: 32
    .name:           _Z26warp_inclusive_scan_kernelIN10test_utils16custom_test_typeI6__halfEELj32ELj8EENSt9enable_ifIXsr10test_utilsE35device_test_enabled_for_warp_size_vIXT1_EEEvE4typeEPT_S8_
    .private_segment_fixed_size: 0
    .sgpr_count:     18
    .sgpr_spill_count: 0
    .symbol:         _Z26warp_inclusive_scan_kernelIN10test_utils16custom_test_typeI6__halfEELj32ELj8EENSt9enable_ifIXsr10test_utilsE35device_test_enabled_for_warp_size_vIXT1_EEEvE4typeEPT_S8_.kd
    .uniform_work_group_size: 1
    .uses_dynamic_stack: false
    .vgpr_count:     7
    .vgpr_spill_count: 0
    .wavefront_size: 32
    .workgroup_processor_mode: 1
  - .args:
      - .address_space:  global
        .offset:         0
        .size:           8
        .value_kind:     global_buffer
      - .address_space:  global
        .offset:         8
        .size:           8
        .value_kind:     global_buffer
      - .offset:         16
        .size:           4
        .value_kind:     hidden_block_count_x
      - .offset:         20
        .size:           4
        .value_kind:     hidden_block_count_y
      - .offset:         24
        .size:           4
        .value_kind:     hidden_block_count_z
      - .offset:         28
        .size:           2
        .value_kind:     hidden_group_size_x
      - .offset:         30
        .size:           2
        .value_kind:     hidden_group_size_y
      - .offset:         32
        .size:           2
        .value_kind:     hidden_group_size_z
      - .offset:         34
        .size:           2
        .value_kind:     hidden_remainder_x
      - .offset:         36
        .size:           2
        .value_kind:     hidden_remainder_y
      - .offset:         38
        .size:           2
        .value_kind:     hidden_remainder_z
      - .offset:         56
        .size:           8
        .value_kind:     hidden_global_offset_x
      - .offset:         64
        .size:           8
        .value_kind:     hidden_global_offset_y
      - .offset:         72
        .size:           8
        .value_kind:     hidden_global_offset_z
      - .offset:         80
        .size:           2
        .value_kind:     hidden_grid_dims
    .group_segment_fixed_size: 0
    .kernarg_segment_align: 8
    .kernarg_segment_size: 272
    .language:       OpenCL C
    .language_version:
      - 2
      - 0
    .max_flat_workgroup_size: 64
    .name:           _Z26warp_inclusive_scan_kernelIN10test_utils16custom_test_typeI6__halfEELj64ELj8EENSt9enable_ifIXsr10test_utilsE35device_test_enabled_for_warp_size_vIXT1_EEEvE4typeEPT_S8_
    .private_segment_fixed_size: 0
    .sgpr_count:     18
    .sgpr_spill_count: 0
    .symbol:         _Z26warp_inclusive_scan_kernelIN10test_utils16custom_test_typeI6__halfEELj64ELj8EENSt9enable_ifIXsr10test_utilsE35device_test_enabled_for_warp_size_vIXT1_EEEvE4typeEPT_S8_.kd
    .uniform_work_group_size: 1
    .uses_dynamic_stack: false
    .vgpr_count:     7
    .vgpr_spill_count: 0
    .wavefront_size: 32
    .workgroup_processor_mode: 1
  - .args:
      - .address_space:  global
        .offset:         0
        .size:           8
        .value_kind:     global_buffer
      - .address_space:  global
        .offset:         8
        .size:           8
        .value_kind:     global_buffer
      - .offset:         16
        .size:           4
        .value_kind:     hidden_block_count_x
      - .offset:         20
        .size:           4
        .value_kind:     hidden_block_count_y
      - .offset:         24
        .size:           4
        .value_kind:     hidden_block_count_z
      - .offset:         28
        .size:           2
        .value_kind:     hidden_group_size_x
      - .offset:         30
        .size:           2
        .value_kind:     hidden_group_size_y
      - .offset:         32
        .size:           2
        .value_kind:     hidden_group_size_z
      - .offset:         34
        .size:           2
        .value_kind:     hidden_remainder_x
      - .offset:         36
        .size:           2
        .value_kind:     hidden_remainder_y
      - .offset:         38
        .size:           2
        .value_kind:     hidden_remainder_z
      - .offset:         56
        .size:           8
        .value_kind:     hidden_global_offset_x
      - .offset:         64
        .size:           8
        .value_kind:     hidden_global_offset_y
      - .offset:         72
        .size:           8
        .value_kind:     hidden_global_offset_z
      - .offset:         80
        .size:           2
        .value_kind:     hidden_grid_dims
    .group_segment_fixed_size: 0
    .kernarg_segment_align: 8
    .kernarg_segment_size: 272
    .language:       OpenCL C
    .language_version:
      - 2
      - 0
    .max_flat_workgroup_size: 32
    .name:           _Z26warp_inclusive_scan_kernelIN10test_utils16custom_test_typeI6__halfEELj32ELj4EENSt9enable_ifIXsr10test_utilsE35device_test_enabled_for_warp_size_vIXT1_EEEvE4typeEPT_S8_
    .private_segment_fixed_size: 0
    .sgpr_count:     18
    .sgpr_spill_count: 0
    .symbol:         _Z26warp_inclusive_scan_kernelIN10test_utils16custom_test_typeI6__halfEELj32ELj4EENSt9enable_ifIXsr10test_utilsE35device_test_enabled_for_warp_size_vIXT1_EEEvE4typeEPT_S8_.kd
    .uniform_work_group_size: 1
    .uses_dynamic_stack: false
    .vgpr_count:     5
    .vgpr_spill_count: 0
    .wavefront_size: 32
    .workgroup_processor_mode: 1
  - .args:
      - .address_space:  global
        .offset:         0
        .size:           8
        .value_kind:     global_buffer
      - .address_space:  global
        .offset:         8
        .size:           8
        .value_kind:     global_buffer
      - .offset:         16
        .size:           4
        .value_kind:     hidden_block_count_x
      - .offset:         20
        .size:           4
        .value_kind:     hidden_block_count_y
      - .offset:         24
        .size:           4
        .value_kind:     hidden_block_count_z
      - .offset:         28
        .size:           2
        .value_kind:     hidden_group_size_x
      - .offset:         30
        .size:           2
        .value_kind:     hidden_group_size_y
      - .offset:         32
        .size:           2
        .value_kind:     hidden_group_size_z
      - .offset:         34
        .size:           2
        .value_kind:     hidden_remainder_x
      - .offset:         36
        .size:           2
        .value_kind:     hidden_remainder_y
      - .offset:         38
        .size:           2
        .value_kind:     hidden_remainder_z
      - .offset:         56
        .size:           8
        .value_kind:     hidden_global_offset_x
      - .offset:         64
        .size:           8
        .value_kind:     hidden_global_offset_y
      - .offset:         72
        .size:           8
        .value_kind:     hidden_global_offset_z
      - .offset:         80
        .size:           2
        .value_kind:     hidden_grid_dims
    .group_segment_fixed_size: 0
    .kernarg_segment_align: 8
    .kernarg_segment_size: 272
    .language:       OpenCL C
    .language_version:
      - 2
      - 0
    .max_flat_workgroup_size: 64
    .name:           _Z26warp_inclusive_scan_kernelIN10test_utils16custom_test_typeI6__halfEELj64ELj4EENSt9enable_ifIXsr10test_utilsE35device_test_enabled_for_warp_size_vIXT1_EEEvE4typeEPT_S8_
    .private_segment_fixed_size: 0
    .sgpr_count:     18
    .sgpr_spill_count: 0
    .symbol:         _Z26warp_inclusive_scan_kernelIN10test_utils16custom_test_typeI6__halfEELj64ELj4EENSt9enable_ifIXsr10test_utilsE35device_test_enabled_for_warp_size_vIXT1_EEEvE4typeEPT_S8_.kd
    .uniform_work_group_size: 1
    .uses_dynamic_stack: false
    .vgpr_count:     5
    .vgpr_spill_count: 0
    .wavefront_size: 32
    .workgroup_processor_mode: 1
  - .args:
      - .address_space:  global
        .offset:         0
        .size:           8
        .value_kind:     global_buffer
      - .address_space:  global
        .offset:         8
        .size:           8
        .value_kind:     global_buffer
      - .offset:         16
        .size:           4
        .value_kind:     hidden_block_count_x
      - .offset:         20
        .size:           4
        .value_kind:     hidden_block_count_y
      - .offset:         24
        .size:           4
        .value_kind:     hidden_block_count_z
      - .offset:         28
        .size:           2
        .value_kind:     hidden_group_size_x
      - .offset:         30
        .size:           2
        .value_kind:     hidden_group_size_y
      - .offset:         32
        .size:           2
        .value_kind:     hidden_group_size_z
      - .offset:         34
        .size:           2
        .value_kind:     hidden_remainder_x
      - .offset:         36
        .size:           2
        .value_kind:     hidden_remainder_y
      - .offset:         38
        .size:           2
        .value_kind:     hidden_remainder_z
      - .offset:         56
        .size:           8
        .value_kind:     hidden_global_offset_x
      - .offset:         64
        .size:           8
        .value_kind:     hidden_global_offset_y
      - .offset:         72
        .size:           8
        .value_kind:     hidden_global_offset_z
      - .offset:         80
        .size:           2
        .value_kind:     hidden_grid_dims
    .group_segment_fixed_size: 0
    .kernarg_segment_align: 8
    .kernarg_segment_size: 272
    .language:       OpenCL C
    .language_version:
      - 2
      - 0
    .max_flat_workgroup_size: 32
    .name:           _Z26warp_inclusive_scan_kernelIN10test_utils16custom_test_typeI6__halfEELj32ELj2EENSt9enable_ifIXsr10test_utilsE35device_test_enabled_for_warp_size_vIXT1_EEEvE4typeEPT_S8_
    .private_segment_fixed_size: 0
    .sgpr_count:     18
    .sgpr_spill_count: 0
    .symbol:         _Z26warp_inclusive_scan_kernelIN10test_utils16custom_test_typeI6__halfEELj32ELj2EENSt9enable_ifIXsr10test_utilsE35device_test_enabled_for_warp_size_vIXT1_EEEvE4typeEPT_S8_.kd
    .uniform_work_group_size: 1
    .uses_dynamic_stack: false
    .vgpr_count:     5
    .vgpr_spill_count: 0
    .wavefront_size: 32
    .workgroup_processor_mode: 1
  - .args:
      - .address_space:  global
        .offset:         0
        .size:           8
        .value_kind:     global_buffer
      - .address_space:  global
        .offset:         8
        .size:           8
        .value_kind:     global_buffer
      - .offset:         16
        .size:           4
        .value_kind:     hidden_block_count_x
      - .offset:         20
        .size:           4
        .value_kind:     hidden_block_count_y
      - .offset:         24
        .size:           4
        .value_kind:     hidden_block_count_z
      - .offset:         28
        .size:           2
        .value_kind:     hidden_group_size_x
      - .offset:         30
        .size:           2
        .value_kind:     hidden_group_size_y
      - .offset:         32
        .size:           2
        .value_kind:     hidden_group_size_z
      - .offset:         34
        .size:           2
        .value_kind:     hidden_remainder_x
      - .offset:         36
        .size:           2
        .value_kind:     hidden_remainder_y
      - .offset:         38
        .size:           2
        .value_kind:     hidden_remainder_z
      - .offset:         56
        .size:           8
        .value_kind:     hidden_global_offset_x
      - .offset:         64
        .size:           8
        .value_kind:     hidden_global_offset_y
      - .offset:         72
        .size:           8
        .value_kind:     hidden_global_offset_z
      - .offset:         80
        .size:           2
        .value_kind:     hidden_grid_dims
    .group_segment_fixed_size: 0
    .kernarg_segment_align: 8
    .kernarg_segment_size: 272
    .language:       OpenCL C
    .language_version:
      - 2
      - 0
    .max_flat_workgroup_size: 64
    .name:           _Z26warp_inclusive_scan_kernelIN10test_utils16custom_test_typeI6__halfEELj64ELj2EENSt9enable_ifIXsr10test_utilsE35device_test_enabled_for_warp_size_vIXT1_EEEvE4typeEPT_S8_
    .private_segment_fixed_size: 0
    .sgpr_count:     18
    .sgpr_spill_count: 0
    .symbol:         _Z26warp_inclusive_scan_kernelIN10test_utils16custom_test_typeI6__halfEELj64ELj2EENSt9enable_ifIXsr10test_utilsE35device_test_enabled_for_warp_size_vIXT1_EEEvE4typeEPT_S8_.kd
    .uniform_work_group_size: 1
    .uses_dynamic_stack: false
    .vgpr_count:     5
    .vgpr_spill_count: 0
    .wavefront_size: 32
    .workgroup_processor_mode: 1
  - .args:
      - .address_space:  global
        .offset:         0
        .size:           8
        .value_kind:     global_buffer
      - .address_space:  global
        .offset:         8
        .size:           8
        .value_kind:     global_buffer
    .group_segment_fixed_size: 0
    .kernarg_segment_align: 8
    .kernarg_segment_size: 16
    .language:       OpenCL C
    .language_version:
      - 2
      - 0
    .max_flat_workgroup_size: 256
    .name:           _Z26warp_inclusive_scan_kernelIN10test_utils16custom_test_typeIfEELj256ELj64EENSt9enable_ifIXntsr10test_utilsE35device_test_enabled_for_warp_size_vIXT1_EEEvE4typeEPT_S7_
    .private_segment_fixed_size: 0
    .sgpr_count:     0
    .sgpr_spill_count: 0
    .symbol:         _Z26warp_inclusive_scan_kernelIN10test_utils16custom_test_typeIfEELj256ELj64EENSt9enable_ifIXntsr10test_utilsE35device_test_enabled_for_warp_size_vIXT1_EEEvE4typeEPT_S7_.kd
    .uniform_work_group_size: 1
    .uses_dynamic_stack: false
    .vgpr_count:     0
    .vgpr_spill_count: 0
    .wavefront_size: 32
    .workgroup_processor_mode: 1
  - .args:
      - .address_space:  global
        .offset:         0
        .size:           8
        .value_kind:     global_buffer
      - .address_space:  global
        .offset:         8
        .size:           8
        .value_kind:     global_buffer
      - .offset:         16
        .size:           4
        .value_kind:     hidden_block_count_x
      - .offset:         20
        .size:           4
        .value_kind:     hidden_block_count_y
      - .offset:         24
        .size:           4
        .value_kind:     hidden_block_count_z
      - .offset:         28
        .size:           2
        .value_kind:     hidden_group_size_x
      - .offset:         30
        .size:           2
        .value_kind:     hidden_group_size_y
      - .offset:         32
        .size:           2
        .value_kind:     hidden_group_size_z
      - .offset:         34
        .size:           2
        .value_kind:     hidden_remainder_x
      - .offset:         36
        .size:           2
        .value_kind:     hidden_remainder_y
      - .offset:         38
        .size:           2
        .value_kind:     hidden_remainder_z
      - .offset:         56
        .size:           8
        .value_kind:     hidden_global_offset_x
      - .offset:         64
        .size:           8
        .value_kind:     hidden_global_offset_y
      - .offset:         72
        .size:           8
        .value_kind:     hidden_global_offset_z
      - .offset:         80
        .size:           2
        .value_kind:     hidden_grid_dims
    .group_segment_fixed_size: 0
    .kernarg_segment_align: 8
    .kernarg_segment_size: 272
    .language:       OpenCL C
    .language_version:
      - 2
      - 0
    .max_flat_workgroup_size: 128
    .name:           _Z26warp_inclusive_scan_kernelIN10test_utils16custom_test_typeIfEELj128ELj32EENSt9enable_ifIXsr10test_utilsE35device_test_enabled_for_warp_size_vIXT1_EEEvE4typeEPT_S7_
    .private_segment_fixed_size: 0
    .sgpr_count:     18
    .sgpr_spill_count: 0
    .symbol:         _Z26warp_inclusive_scan_kernelIN10test_utils16custom_test_typeIfEELj128ELj32EENSt9enable_ifIXsr10test_utilsE35device_test_enabled_for_warp_size_vIXT1_EEEvE4typeEPT_S7_.kd
    .uniform_work_group_size: 1
    .uses_dynamic_stack: false
    .vgpr_count:     8
    .vgpr_spill_count: 0
    .wavefront_size: 32
    .workgroup_processor_mode: 1
  - .args:
      - .address_space:  global
        .offset:         0
        .size:           8
        .value_kind:     global_buffer
      - .address_space:  global
        .offset:         8
        .size:           8
        .value_kind:     global_buffer
      - .offset:         16
        .size:           4
        .value_kind:     hidden_block_count_x
      - .offset:         20
        .size:           4
        .value_kind:     hidden_block_count_y
      - .offset:         24
        .size:           4
        .value_kind:     hidden_block_count_z
      - .offset:         28
        .size:           2
        .value_kind:     hidden_group_size_x
      - .offset:         30
        .size:           2
        .value_kind:     hidden_group_size_y
      - .offset:         32
        .size:           2
        .value_kind:     hidden_group_size_z
      - .offset:         34
        .size:           2
        .value_kind:     hidden_remainder_x
      - .offset:         36
        .size:           2
        .value_kind:     hidden_remainder_y
      - .offset:         38
        .size:           2
        .value_kind:     hidden_remainder_z
      - .offset:         56
        .size:           8
        .value_kind:     hidden_global_offset_x
      - .offset:         64
        .size:           8
        .value_kind:     hidden_global_offset_y
      - .offset:         72
        .size:           8
        .value_kind:     hidden_global_offset_z
      - .offset:         80
        .size:           2
        .value_kind:     hidden_grid_dims
    .group_segment_fixed_size: 0
    .kernarg_segment_align: 8
    .kernarg_segment_size: 272
    .language:       OpenCL C
    .language_version:
      - 2
      - 0
    .max_flat_workgroup_size: 64
    .name:           _Z26warp_inclusive_scan_kernelIN10test_utils16custom_test_typeIfEELj64ELj16EENSt9enable_ifIXsr10test_utilsE35device_test_enabled_for_warp_size_vIXT1_EEEvE4typeEPT_S7_
    .private_segment_fixed_size: 0
    .sgpr_count:     18
    .sgpr_spill_count: 0
    .symbol:         _Z26warp_inclusive_scan_kernelIN10test_utils16custom_test_typeIfEELj64ELj16EENSt9enable_ifIXsr10test_utilsE35device_test_enabled_for_warp_size_vIXT1_EEEvE4typeEPT_S7_.kd
    .uniform_work_group_size: 1
    .uses_dynamic_stack: false
    .vgpr_count:     7
    .vgpr_spill_count: 0
    .wavefront_size: 32
    .workgroup_processor_mode: 1
  - .args:
      - .address_space:  global
        .offset:         0
        .size:           8
        .value_kind:     global_buffer
      - .address_space:  global
        .offset:         8
        .size:           8
        .value_kind:     global_buffer
      - .offset:         16
        .size:           4
        .value_kind:     hidden_block_count_x
      - .offset:         20
        .size:           4
        .value_kind:     hidden_block_count_y
      - .offset:         24
        .size:           4
        .value_kind:     hidden_block_count_z
      - .offset:         28
        .size:           2
        .value_kind:     hidden_group_size_x
      - .offset:         30
        .size:           2
        .value_kind:     hidden_group_size_y
      - .offset:         32
        .size:           2
        .value_kind:     hidden_group_size_z
      - .offset:         34
        .size:           2
        .value_kind:     hidden_remainder_x
      - .offset:         36
        .size:           2
        .value_kind:     hidden_remainder_y
      - .offset:         38
        .size:           2
        .value_kind:     hidden_remainder_z
      - .offset:         56
        .size:           8
        .value_kind:     hidden_global_offset_x
      - .offset:         64
        .size:           8
        .value_kind:     hidden_global_offset_y
      - .offset:         72
        .size:           8
        .value_kind:     hidden_global_offset_z
      - .offset:         80
        .size:           2
        .value_kind:     hidden_grid_dims
    .group_segment_fixed_size: 0
    .kernarg_segment_align: 8
    .kernarg_segment_size: 272
    .language:       OpenCL C
    .language_version:
      - 2
      - 0
    .max_flat_workgroup_size: 32
    .name:           _Z26warp_inclusive_scan_kernelIN10test_utils16custom_test_typeIfEELj32ELj8EENSt9enable_ifIXsr10test_utilsE35device_test_enabled_for_warp_size_vIXT1_EEEvE4typeEPT_S7_
    .private_segment_fixed_size: 0
    .sgpr_count:     18
    .sgpr_spill_count: 0
    .symbol:         _Z26warp_inclusive_scan_kernelIN10test_utils16custom_test_typeIfEELj32ELj8EENSt9enable_ifIXsr10test_utilsE35device_test_enabled_for_warp_size_vIXT1_EEEvE4typeEPT_S7_.kd
    .uniform_work_group_size: 1
    .uses_dynamic_stack: false
    .vgpr_count:     7
    .vgpr_spill_count: 0
    .wavefront_size: 32
    .workgroup_processor_mode: 1
  - .args:
      - .address_space:  global
        .offset:         0
        .size:           8
        .value_kind:     global_buffer
      - .address_space:  global
        .offset:         8
        .size:           8
        .value_kind:     global_buffer
      - .offset:         16
        .size:           4
        .value_kind:     hidden_block_count_x
      - .offset:         20
        .size:           4
        .value_kind:     hidden_block_count_y
      - .offset:         24
        .size:           4
        .value_kind:     hidden_block_count_z
      - .offset:         28
        .size:           2
        .value_kind:     hidden_group_size_x
      - .offset:         30
        .size:           2
        .value_kind:     hidden_group_size_y
      - .offset:         32
        .size:           2
        .value_kind:     hidden_group_size_z
      - .offset:         34
        .size:           2
        .value_kind:     hidden_remainder_x
      - .offset:         36
        .size:           2
        .value_kind:     hidden_remainder_y
      - .offset:         38
        .size:           2
        .value_kind:     hidden_remainder_z
      - .offset:         56
        .size:           8
        .value_kind:     hidden_global_offset_x
      - .offset:         64
        .size:           8
        .value_kind:     hidden_global_offset_y
      - .offset:         72
        .size:           8
        .value_kind:     hidden_global_offset_z
      - .offset:         80
        .size:           2
        .value_kind:     hidden_grid_dims
    .group_segment_fixed_size: 0
    .kernarg_segment_align: 8
    .kernarg_segment_size: 272
    .language:       OpenCL C
    .language_version:
      - 2
      - 0
    .max_flat_workgroup_size: 64
    .name:           _Z26warp_inclusive_scan_kernelIN10test_utils16custom_test_typeIfEELj64ELj8EENSt9enable_ifIXsr10test_utilsE35device_test_enabled_for_warp_size_vIXT1_EEEvE4typeEPT_S7_
    .private_segment_fixed_size: 0
    .sgpr_count:     18
    .sgpr_spill_count: 0
    .symbol:         _Z26warp_inclusive_scan_kernelIN10test_utils16custom_test_typeIfEELj64ELj8EENSt9enable_ifIXsr10test_utilsE35device_test_enabled_for_warp_size_vIXT1_EEEvE4typeEPT_S7_.kd
    .uniform_work_group_size: 1
    .uses_dynamic_stack: false
    .vgpr_count:     7
    .vgpr_spill_count: 0
    .wavefront_size: 32
    .workgroup_processor_mode: 1
  - .args:
      - .address_space:  global
        .offset:         0
        .size:           8
        .value_kind:     global_buffer
      - .address_space:  global
        .offset:         8
        .size:           8
        .value_kind:     global_buffer
      - .offset:         16
        .size:           4
        .value_kind:     hidden_block_count_x
      - .offset:         20
        .size:           4
        .value_kind:     hidden_block_count_y
      - .offset:         24
        .size:           4
        .value_kind:     hidden_block_count_z
      - .offset:         28
        .size:           2
        .value_kind:     hidden_group_size_x
      - .offset:         30
        .size:           2
        .value_kind:     hidden_group_size_y
      - .offset:         32
        .size:           2
        .value_kind:     hidden_group_size_z
      - .offset:         34
        .size:           2
        .value_kind:     hidden_remainder_x
      - .offset:         36
        .size:           2
        .value_kind:     hidden_remainder_y
      - .offset:         38
        .size:           2
        .value_kind:     hidden_remainder_z
      - .offset:         56
        .size:           8
        .value_kind:     hidden_global_offset_x
      - .offset:         64
        .size:           8
        .value_kind:     hidden_global_offset_y
      - .offset:         72
        .size:           8
        .value_kind:     hidden_global_offset_z
      - .offset:         80
        .size:           2
        .value_kind:     hidden_grid_dims
    .group_segment_fixed_size: 0
    .kernarg_segment_align: 8
    .kernarg_segment_size: 272
    .language:       OpenCL C
    .language_version:
      - 2
      - 0
    .max_flat_workgroup_size: 32
    .name:           _Z26warp_inclusive_scan_kernelIN10test_utils16custom_test_typeIfEELj32ELj4EENSt9enable_ifIXsr10test_utilsE35device_test_enabled_for_warp_size_vIXT1_EEEvE4typeEPT_S7_
    .private_segment_fixed_size: 0
    .sgpr_count:     18
    .sgpr_spill_count: 0
    .symbol:         _Z26warp_inclusive_scan_kernelIN10test_utils16custom_test_typeIfEELj32ELj4EENSt9enable_ifIXsr10test_utilsE35device_test_enabled_for_warp_size_vIXT1_EEEvE4typeEPT_S7_.kd
    .uniform_work_group_size: 1
    .uses_dynamic_stack: false
    .vgpr_count:     7
    .vgpr_spill_count: 0
    .wavefront_size: 32
    .workgroup_processor_mode: 1
  - .args:
      - .address_space:  global
        .offset:         0
        .size:           8
        .value_kind:     global_buffer
      - .address_space:  global
        .offset:         8
        .size:           8
        .value_kind:     global_buffer
      - .offset:         16
        .size:           4
        .value_kind:     hidden_block_count_x
      - .offset:         20
        .size:           4
        .value_kind:     hidden_block_count_y
      - .offset:         24
        .size:           4
        .value_kind:     hidden_block_count_z
      - .offset:         28
        .size:           2
        .value_kind:     hidden_group_size_x
      - .offset:         30
        .size:           2
        .value_kind:     hidden_group_size_y
      - .offset:         32
        .size:           2
        .value_kind:     hidden_group_size_z
      - .offset:         34
        .size:           2
        .value_kind:     hidden_remainder_x
      - .offset:         36
        .size:           2
        .value_kind:     hidden_remainder_y
      - .offset:         38
        .size:           2
        .value_kind:     hidden_remainder_z
      - .offset:         56
        .size:           8
        .value_kind:     hidden_global_offset_x
      - .offset:         64
        .size:           8
        .value_kind:     hidden_global_offset_y
      - .offset:         72
        .size:           8
        .value_kind:     hidden_global_offset_z
      - .offset:         80
        .size:           2
        .value_kind:     hidden_grid_dims
    .group_segment_fixed_size: 0
    .kernarg_segment_align: 8
    .kernarg_segment_size: 272
    .language:       OpenCL C
    .language_version:
      - 2
      - 0
    .max_flat_workgroup_size: 64
    .name:           _Z26warp_inclusive_scan_kernelIN10test_utils16custom_test_typeIfEELj64ELj4EENSt9enable_ifIXsr10test_utilsE35device_test_enabled_for_warp_size_vIXT1_EEEvE4typeEPT_S7_
    .private_segment_fixed_size: 0
    .sgpr_count:     18
    .sgpr_spill_count: 0
    .symbol:         _Z26warp_inclusive_scan_kernelIN10test_utils16custom_test_typeIfEELj64ELj4EENSt9enable_ifIXsr10test_utilsE35device_test_enabled_for_warp_size_vIXT1_EEEvE4typeEPT_S7_.kd
    .uniform_work_group_size: 1
    .uses_dynamic_stack: false
    .vgpr_count:     7
    .vgpr_spill_count: 0
    .wavefront_size: 32
    .workgroup_processor_mode: 1
  - .args:
      - .address_space:  global
        .offset:         0
        .size:           8
        .value_kind:     global_buffer
      - .address_space:  global
        .offset:         8
        .size:           8
        .value_kind:     global_buffer
      - .offset:         16
        .size:           4
        .value_kind:     hidden_block_count_x
      - .offset:         20
        .size:           4
        .value_kind:     hidden_block_count_y
      - .offset:         24
        .size:           4
        .value_kind:     hidden_block_count_z
      - .offset:         28
        .size:           2
        .value_kind:     hidden_group_size_x
      - .offset:         30
        .size:           2
        .value_kind:     hidden_group_size_y
      - .offset:         32
        .size:           2
        .value_kind:     hidden_group_size_z
      - .offset:         34
        .size:           2
        .value_kind:     hidden_remainder_x
      - .offset:         36
        .size:           2
        .value_kind:     hidden_remainder_y
      - .offset:         38
        .size:           2
        .value_kind:     hidden_remainder_z
      - .offset:         56
        .size:           8
        .value_kind:     hidden_global_offset_x
      - .offset:         64
        .size:           8
        .value_kind:     hidden_global_offset_y
      - .offset:         72
        .size:           8
        .value_kind:     hidden_global_offset_z
      - .offset:         80
        .size:           2
        .value_kind:     hidden_grid_dims
    .group_segment_fixed_size: 0
    .kernarg_segment_align: 8
    .kernarg_segment_size: 272
    .language:       OpenCL C
    .language_version:
      - 2
      - 0
    .max_flat_workgroup_size: 32
    .name:           _Z26warp_inclusive_scan_kernelIN10test_utils16custom_test_typeIfEELj32ELj2EENSt9enable_ifIXsr10test_utilsE35device_test_enabled_for_warp_size_vIXT1_EEEvE4typeEPT_S7_
    .private_segment_fixed_size: 0
    .sgpr_count:     18
    .sgpr_spill_count: 0
    .symbol:         _Z26warp_inclusive_scan_kernelIN10test_utils16custom_test_typeIfEELj32ELj2EENSt9enable_ifIXsr10test_utilsE35device_test_enabled_for_warp_size_vIXT1_EEEvE4typeEPT_S7_.kd
    .uniform_work_group_size: 1
    .uses_dynamic_stack: false
    .vgpr_count:     7
    .vgpr_spill_count: 0
    .wavefront_size: 32
    .workgroup_processor_mode: 1
  - .args:
      - .address_space:  global
        .offset:         0
        .size:           8
        .value_kind:     global_buffer
      - .address_space:  global
        .offset:         8
        .size:           8
        .value_kind:     global_buffer
      - .offset:         16
        .size:           4
        .value_kind:     hidden_block_count_x
      - .offset:         20
        .size:           4
        .value_kind:     hidden_block_count_y
      - .offset:         24
        .size:           4
        .value_kind:     hidden_block_count_z
      - .offset:         28
        .size:           2
        .value_kind:     hidden_group_size_x
      - .offset:         30
        .size:           2
        .value_kind:     hidden_group_size_y
      - .offset:         32
        .size:           2
        .value_kind:     hidden_group_size_z
      - .offset:         34
        .size:           2
        .value_kind:     hidden_remainder_x
      - .offset:         36
        .size:           2
        .value_kind:     hidden_remainder_y
      - .offset:         38
        .size:           2
        .value_kind:     hidden_remainder_z
      - .offset:         56
        .size:           8
        .value_kind:     hidden_global_offset_x
      - .offset:         64
        .size:           8
        .value_kind:     hidden_global_offset_y
      - .offset:         72
        .size:           8
        .value_kind:     hidden_global_offset_z
      - .offset:         80
        .size:           2
        .value_kind:     hidden_grid_dims
    .group_segment_fixed_size: 0
    .kernarg_segment_align: 8
    .kernarg_segment_size: 272
    .language:       OpenCL C
    .language_version:
      - 2
      - 0
    .max_flat_workgroup_size: 64
    .name:           _Z26warp_inclusive_scan_kernelIN10test_utils16custom_test_typeIfEELj64ELj2EENSt9enable_ifIXsr10test_utilsE35device_test_enabled_for_warp_size_vIXT1_EEEvE4typeEPT_S7_
    .private_segment_fixed_size: 0
    .sgpr_count:     18
    .sgpr_spill_count: 0
    .symbol:         _Z26warp_inclusive_scan_kernelIN10test_utils16custom_test_typeIfEELj64ELj2EENSt9enable_ifIXsr10test_utilsE35device_test_enabled_for_warp_size_vIXT1_EEEvE4typeEPT_S7_.kd
    .uniform_work_group_size: 1
    .uses_dynamic_stack: false
    .vgpr_count:     7
    .vgpr_spill_count: 0
    .wavefront_size: 32
    .workgroup_processor_mode: 1
  - .args:
      - .address_space:  global
        .offset:         0
        .size:           8
        .value_kind:     global_buffer
      - .address_space:  global
        .offset:         8
        .size:           8
        .value_kind:     global_buffer
    .group_segment_fixed_size: 0
    .kernarg_segment_align: 8
    .kernarg_segment_size: 16
    .language:       OpenCL C
    .language_version:
      - 2
      - 0
    .max_flat_workgroup_size: 256
    .name:           _Z26warp_inclusive_scan_kernelIN10test_utils16custom_test_typeIiEELj256ELj64EENSt9enable_ifIXntsr10test_utilsE35device_test_enabled_for_warp_size_vIXT1_EEEvE4typeEPT_S7_
    .private_segment_fixed_size: 0
    .sgpr_count:     0
    .sgpr_spill_count: 0
    .symbol:         _Z26warp_inclusive_scan_kernelIN10test_utils16custom_test_typeIiEELj256ELj64EENSt9enable_ifIXntsr10test_utilsE35device_test_enabled_for_warp_size_vIXT1_EEEvE4typeEPT_S7_.kd
    .uniform_work_group_size: 1
    .uses_dynamic_stack: false
    .vgpr_count:     0
    .vgpr_spill_count: 0
    .wavefront_size: 32
    .workgroup_processor_mode: 1
  - .args:
      - .address_space:  global
        .offset:         0
        .size:           8
        .value_kind:     global_buffer
      - .address_space:  global
        .offset:         8
        .size:           8
        .value_kind:     global_buffer
      - .offset:         16
        .size:           4
        .value_kind:     hidden_block_count_x
      - .offset:         20
        .size:           4
        .value_kind:     hidden_block_count_y
      - .offset:         24
        .size:           4
        .value_kind:     hidden_block_count_z
      - .offset:         28
        .size:           2
        .value_kind:     hidden_group_size_x
      - .offset:         30
        .size:           2
        .value_kind:     hidden_group_size_y
      - .offset:         32
        .size:           2
        .value_kind:     hidden_group_size_z
      - .offset:         34
        .size:           2
        .value_kind:     hidden_remainder_x
      - .offset:         36
        .size:           2
        .value_kind:     hidden_remainder_y
      - .offset:         38
        .size:           2
        .value_kind:     hidden_remainder_z
      - .offset:         56
        .size:           8
        .value_kind:     hidden_global_offset_x
      - .offset:         64
        .size:           8
        .value_kind:     hidden_global_offset_y
      - .offset:         72
        .size:           8
        .value_kind:     hidden_global_offset_z
      - .offset:         80
        .size:           2
        .value_kind:     hidden_grid_dims
    .group_segment_fixed_size: 0
    .kernarg_segment_align: 8
    .kernarg_segment_size: 272
    .language:       OpenCL C
    .language_version:
      - 2
      - 0
    .max_flat_workgroup_size: 128
    .name:           _Z26warp_inclusive_scan_kernelIN10test_utils16custom_test_typeIiEELj128ELj32EENSt9enable_ifIXsr10test_utilsE35device_test_enabled_for_warp_size_vIXT1_EEEvE4typeEPT_S7_
    .private_segment_fixed_size: 0
    .sgpr_count:     18
    .sgpr_spill_count: 0
    .symbol:         _Z26warp_inclusive_scan_kernelIN10test_utils16custom_test_typeIiEELj128ELj32EENSt9enable_ifIXsr10test_utilsE35device_test_enabled_for_warp_size_vIXT1_EEEvE4typeEPT_S7_.kd
    .uniform_work_group_size: 1
    .uses_dynamic_stack: false
    .vgpr_count:     8
    .vgpr_spill_count: 0
    .wavefront_size: 32
    .workgroup_processor_mode: 1
  - .args:
      - .address_space:  global
        .offset:         0
        .size:           8
        .value_kind:     global_buffer
      - .address_space:  global
        .offset:         8
        .size:           8
        .value_kind:     global_buffer
      - .offset:         16
        .size:           4
        .value_kind:     hidden_block_count_x
      - .offset:         20
        .size:           4
        .value_kind:     hidden_block_count_y
      - .offset:         24
        .size:           4
        .value_kind:     hidden_block_count_z
      - .offset:         28
        .size:           2
        .value_kind:     hidden_group_size_x
      - .offset:         30
        .size:           2
        .value_kind:     hidden_group_size_y
      - .offset:         32
        .size:           2
        .value_kind:     hidden_group_size_z
      - .offset:         34
        .size:           2
        .value_kind:     hidden_remainder_x
      - .offset:         36
        .size:           2
        .value_kind:     hidden_remainder_y
      - .offset:         38
        .size:           2
        .value_kind:     hidden_remainder_z
      - .offset:         56
        .size:           8
        .value_kind:     hidden_global_offset_x
      - .offset:         64
        .size:           8
        .value_kind:     hidden_global_offset_y
      - .offset:         72
        .size:           8
        .value_kind:     hidden_global_offset_z
      - .offset:         80
        .size:           2
        .value_kind:     hidden_grid_dims
    .group_segment_fixed_size: 0
    .kernarg_segment_align: 8
    .kernarg_segment_size: 272
    .language:       OpenCL C
    .language_version:
      - 2
      - 0
    .max_flat_workgroup_size: 64
    .name:           _Z26warp_inclusive_scan_kernelIN10test_utils16custom_test_typeIiEELj64ELj16EENSt9enable_ifIXsr10test_utilsE35device_test_enabled_for_warp_size_vIXT1_EEEvE4typeEPT_S7_
    .private_segment_fixed_size: 0
    .sgpr_count:     18
    .sgpr_spill_count: 0
    .symbol:         _Z26warp_inclusive_scan_kernelIN10test_utils16custom_test_typeIiEELj64ELj16EENSt9enable_ifIXsr10test_utilsE35device_test_enabled_for_warp_size_vIXT1_EEEvE4typeEPT_S7_.kd
    .uniform_work_group_size: 1
    .uses_dynamic_stack: false
    .vgpr_count:     7
    .vgpr_spill_count: 0
    .wavefront_size: 32
    .workgroup_processor_mode: 1
  - .args:
      - .address_space:  global
        .offset:         0
        .size:           8
        .value_kind:     global_buffer
      - .address_space:  global
        .offset:         8
        .size:           8
        .value_kind:     global_buffer
      - .offset:         16
        .size:           4
        .value_kind:     hidden_block_count_x
      - .offset:         20
        .size:           4
        .value_kind:     hidden_block_count_y
      - .offset:         24
        .size:           4
        .value_kind:     hidden_block_count_z
      - .offset:         28
        .size:           2
        .value_kind:     hidden_group_size_x
      - .offset:         30
        .size:           2
        .value_kind:     hidden_group_size_y
      - .offset:         32
        .size:           2
        .value_kind:     hidden_group_size_z
      - .offset:         34
        .size:           2
        .value_kind:     hidden_remainder_x
      - .offset:         36
        .size:           2
        .value_kind:     hidden_remainder_y
      - .offset:         38
        .size:           2
        .value_kind:     hidden_remainder_z
      - .offset:         56
        .size:           8
        .value_kind:     hidden_global_offset_x
      - .offset:         64
        .size:           8
        .value_kind:     hidden_global_offset_y
      - .offset:         72
        .size:           8
        .value_kind:     hidden_global_offset_z
      - .offset:         80
        .size:           2
        .value_kind:     hidden_grid_dims
    .group_segment_fixed_size: 0
    .kernarg_segment_align: 8
    .kernarg_segment_size: 272
    .language:       OpenCL C
    .language_version:
      - 2
      - 0
    .max_flat_workgroup_size: 32
    .name:           _Z26warp_inclusive_scan_kernelIN10test_utils16custom_test_typeIiEELj32ELj8EENSt9enable_ifIXsr10test_utilsE35device_test_enabled_for_warp_size_vIXT1_EEEvE4typeEPT_S7_
    .private_segment_fixed_size: 0
    .sgpr_count:     18
    .sgpr_spill_count: 0
    .symbol:         _Z26warp_inclusive_scan_kernelIN10test_utils16custom_test_typeIiEELj32ELj8EENSt9enable_ifIXsr10test_utilsE35device_test_enabled_for_warp_size_vIXT1_EEEvE4typeEPT_S7_.kd
    .uniform_work_group_size: 1
    .uses_dynamic_stack: false
    .vgpr_count:     7
    .vgpr_spill_count: 0
    .wavefront_size: 32
    .workgroup_processor_mode: 1
  - .args:
      - .address_space:  global
        .offset:         0
        .size:           8
        .value_kind:     global_buffer
      - .address_space:  global
        .offset:         8
        .size:           8
        .value_kind:     global_buffer
      - .offset:         16
        .size:           4
        .value_kind:     hidden_block_count_x
      - .offset:         20
        .size:           4
        .value_kind:     hidden_block_count_y
      - .offset:         24
        .size:           4
        .value_kind:     hidden_block_count_z
      - .offset:         28
        .size:           2
        .value_kind:     hidden_group_size_x
      - .offset:         30
        .size:           2
        .value_kind:     hidden_group_size_y
      - .offset:         32
        .size:           2
        .value_kind:     hidden_group_size_z
      - .offset:         34
        .size:           2
        .value_kind:     hidden_remainder_x
      - .offset:         36
        .size:           2
        .value_kind:     hidden_remainder_y
      - .offset:         38
        .size:           2
        .value_kind:     hidden_remainder_z
      - .offset:         56
        .size:           8
        .value_kind:     hidden_global_offset_x
      - .offset:         64
        .size:           8
        .value_kind:     hidden_global_offset_y
      - .offset:         72
        .size:           8
        .value_kind:     hidden_global_offset_z
      - .offset:         80
        .size:           2
        .value_kind:     hidden_grid_dims
    .group_segment_fixed_size: 0
    .kernarg_segment_align: 8
    .kernarg_segment_size: 272
    .language:       OpenCL C
    .language_version:
      - 2
      - 0
    .max_flat_workgroup_size: 64
    .name:           _Z26warp_inclusive_scan_kernelIN10test_utils16custom_test_typeIiEELj64ELj8EENSt9enable_ifIXsr10test_utilsE35device_test_enabled_for_warp_size_vIXT1_EEEvE4typeEPT_S7_
    .private_segment_fixed_size: 0
    .sgpr_count:     18
    .sgpr_spill_count: 0
    .symbol:         _Z26warp_inclusive_scan_kernelIN10test_utils16custom_test_typeIiEELj64ELj8EENSt9enable_ifIXsr10test_utilsE35device_test_enabled_for_warp_size_vIXT1_EEEvE4typeEPT_S7_.kd
    .uniform_work_group_size: 1
    .uses_dynamic_stack: false
    .vgpr_count:     7
    .vgpr_spill_count: 0
    .wavefront_size: 32
    .workgroup_processor_mode: 1
  - .args:
      - .address_space:  global
        .offset:         0
        .size:           8
        .value_kind:     global_buffer
      - .address_space:  global
        .offset:         8
        .size:           8
        .value_kind:     global_buffer
      - .offset:         16
        .size:           4
        .value_kind:     hidden_block_count_x
      - .offset:         20
        .size:           4
        .value_kind:     hidden_block_count_y
      - .offset:         24
        .size:           4
        .value_kind:     hidden_block_count_z
      - .offset:         28
        .size:           2
        .value_kind:     hidden_group_size_x
      - .offset:         30
        .size:           2
        .value_kind:     hidden_group_size_y
      - .offset:         32
        .size:           2
        .value_kind:     hidden_group_size_z
      - .offset:         34
        .size:           2
        .value_kind:     hidden_remainder_x
      - .offset:         36
        .size:           2
        .value_kind:     hidden_remainder_y
      - .offset:         38
        .size:           2
        .value_kind:     hidden_remainder_z
      - .offset:         56
        .size:           8
        .value_kind:     hidden_global_offset_x
      - .offset:         64
        .size:           8
        .value_kind:     hidden_global_offset_y
      - .offset:         72
        .size:           8
        .value_kind:     hidden_global_offset_z
      - .offset:         80
        .size:           2
        .value_kind:     hidden_grid_dims
    .group_segment_fixed_size: 0
    .kernarg_segment_align: 8
    .kernarg_segment_size: 272
    .language:       OpenCL C
    .language_version:
      - 2
      - 0
    .max_flat_workgroup_size: 32
    .name:           _Z26warp_inclusive_scan_kernelIN10test_utils16custom_test_typeIiEELj32ELj4EENSt9enable_ifIXsr10test_utilsE35device_test_enabled_for_warp_size_vIXT1_EEEvE4typeEPT_S7_
    .private_segment_fixed_size: 0
    .sgpr_count:     18
    .sgpr_spill_count: 0
    .symbol:         _Z26warp_inclusive_scan_kernelIN10test_utils16custom_test_typeIiEELj32ELj4EENSt9enable_ifIXsr10test_utilsE35device_test_enabled_for_warp_size_vIXT1_EEEvE4typeEPT_S7_.kd
    .uniform_work_group_size: 1
    .uses_dynamic_stack: false
    .vgpr_count:     7
    .vgpr_spill_count: 0
    .wavefront_size: 32
    .workgroup_processor_mode: 1
  - .args:
      - .address_space:  global
        .offset:         0
        .size:           8
        .value_kind:     global_buffer
      - .address_space:  global
        .offset:         8
        .size:           8
        .value_kind:     global_buffer
      - .offset:         16
        .size:           4
        .value_kind:     hidden_block_count_x
      - .offset:         20
        .size:           4
        .value_kind:     hidden_block_count_y
      - .offset:         24
        .size:           4
        .value_kind:     hidden_block_count_z
      - .offset:         28
        .size:           2
        .value_kind:     hidden_group_size_x
      - .offset:         30
        .size:           2
        .value_kind:     hidden_group_size_y
      - .offset:         32
        .size:           2
        .value_kind:     hidden_group_size_z
      - .offset:         34
        .size:           2
        .value_kind:     hidden_remainder_x
      - .offset:         36
        .size:           2
        .value_kind:     hidden_remainder_y
      - .offset:         38
        .size:           2
        .value_kind:     hidden_remainder_z
      - .offset:         56
        .size:           8
        .value_kind:     hidden_global_offset_x
      - .offset:         64
        .size:           8
        .value_kind:     hidden_global_offset_y
      - .offset:         72
        .size:           8
        .value_kind:     hidden_global_offset_z
      - .offset:         80
        .size:           2
        .value_kind:     hidden_grid_dims
    .group_segment_fixed_size: 0
    .kernarg_segment_align: 8
    .kernarg_segment_size: 272
    .language:       OpenCL C
    .language_version:
      - 2
      - 0
    .max_flat_workgroup_size: 64
    .name:           _Z26warp_inclusive_scan_kernelIN10test_utils16custom_test_typeIiEELj64ELj4EENSt9enable_ifIXsr10test_utilsE35device_test_enabled_for_warp_size_vIXT1_EEEvE4typeEPT_S7_
    .private_segment_fixed_size: 0
    .sgpr_count:     18
    .sgpr_spill_count: 0
    .symbol:         _Z26warp_inclusive_scan_kernelIN10test_utils16custom_test_typeIiEELj64ELj4EENSt9enable_ifIXsr10test_utilsE35device_test_enabled_for_warp_size_vIXT1_EEEvE4typeEPT_S7_.kd
    .uniform_work_group_size: 1
    .uses_dynamic_stack: false
    .vgpr_count:     7
    .vgpr_spill_count: 0
    .wavefront_size: 32
    .workgroup_processor_mode: 1
  - .args:
      - .address_space:  global
        .offset:         0
        .size:           8
        .value_kind:     global_buffer
      - .address_space:  global
        .offset:         8
        .size:           8
        .value_kind:     global_buffer
      - .offset:         16
        .size:           4
        .value_kind:     hidden_block_count_x
      - .offset:         20
        .size:           4
        .value_kind:     hidden_block_count_y
      - .offset:         24
        .size:           4
        .value_kind:     hidden_block_count_z
      - .offset:         28
        .size:           2
        .value_kind:     hidden_group_size_x
      - .offset:         30
        .size:           2
        .value_kind:     hidden_group_size_y
      - .offset:         32
        .size:           2
        .value_kind:     hidden_group_size_z
      - .offset:         34
        .size:           2
        .value_kind:     hidden_remainder_x
      - .offset:         36
        .size:           2
        .value_kind:     hidden_remainder_y
      - .offset:         38
        .size:           2
        .value_kind:     hidden_remainder_z
      - .offset:         56
        .size:           8
        .value_kind:     hidden_global_offset_x
      - .offset:         64
        .size:           8
        .value_kind:     hidden_global_offset_y
      - .offset:         72
        .size:           8
        .value_kind:     hidden_global_offset_z
      - .offset:         80
        .size:           2
        .value_kind:     hidden_grid_dims
    .group_segment_fixed_size: 0
    .kernarg_segment_align: 8
    .kernarg_segment_size: 272
    .language:       OpenCL C
    .language_version:
      - 2
      - 0
    .max_flat_workgroup_size: 32
    .name:           _Z26warp_inclusive_scan_kernelIN10test_utils16custom_test_typeIiEELj32ELj2EENSt9enable_ifIXsr10test_utilsE35device_test_enabled_for_warp_size_vIXT1_EEEvE4typeEPT_S7_
    .private_segment_fixed_size: 0
    .sgpr_count:     18
    .sgpr_spill_count: 0
    .symbol:         _Z26warp_inclusive_scan_kernelIN10test_utils16custom_test_typeIiEELj32ELj2EENSt9enable_ifIXsr10test_utilsE35device_test_enabled_for_warp_size_vIXT1_EEEvE4typeEPT_S7_.kd
    .uniform_work_group_size: 1
    .uses_dynamic_stack: false
    .vgpr_count:     7
    .vgpr_spill_count: 0
    .wavefront_size: 32
    .workgroup_processor_mode: 1
  - .args:
      - .address_space:  global
        .offset:         0
        .size:           8
        .value_kind:     global_buffer
      - .address_space:  global
        .offset:         8
        .size:           8
        .value_kind:     global_buffer
      - .offset:         16
        .size:           4
        .value_kind:     hidden_block_count_x
      - .offset:         20
        .size:           4
        .value_kind:     hidden_block_count_y
      - .offset:         24
        .size:           4
        .value_kind:     hidden_block_count_z
      - .offset:         28
        .size:           2
        .value_kind:     hidden_group_size_x
      - .offset:         30
        .size:           2
        .value_kind:     hidden_group_size_y
      - .offset:         32
        .size:           2
        .value_kind:     hidden_group_size_z
      - .offset:         34
        .size:           2
        .value_kind:     hidden_remainder_x
      - .offset:         36
        .size:           2
        .value_kind:     hidden_remainder_y
      - .offset:         38
        .size:           2
        .value_kind:     hidden_remainder_z
      - .offset:         56
        .size:           8
        .value_kind:     hidden_global_offset_x
      - .offset:         64
        .size:           8
        .value_kind:     hidden_global_offset_y
      - .offset:         72
        .size:           8
        .value_kind:     hidden_global_offset_z
      - .offset:         80
        .size:           2
        .value_kind:     hidden_grid_dims
    .group_segment_fixed_size: 0
    .kernarg_segment_align: 8
    .kernarg_segment_size: 272
    .language:       OpenCL C
    .language_version:
      - 2
      - 0
    .max_flat_workgroup_size: 64
    .name:           _Z26warp_inclusive_scan_kernelIN10test_utils16custom_test_typeIiEELj64ELj2EENSt9enable_ifIXsr10test_utilsE35device_test_enabled_for_warp_size_vIXT1_EEEvE4typeEPT_S7_
    .private_segment_fixed_size: 0
    .sgpr_count:     18
    .sgpr_spill_count: 0
    .symbol:         _Z26warp_inclusive_scan_kernelIN10test_utils16custom_test_typeIiEELj64ELj2EENSt9enable_ifIXsr10test_utilsE35device_test_enabled_for_warp_size_vIXT1_EEEvE4typeEPT_S7_.kd
    .uniform_work_group_size: 1
    .uses_dynamic_stack: false
    .vgpr_count:     7
    .vgpr_spill_count: 0
    .wavefront_size: 32
    .workgroup_processor_mode: 1
amdhsa.target:   amdgcn-amd-amdhsa--gfx1100
amdhsa.version:
  - 1
  - 2
...

	.end_amdgpu_metadata
